;; amdgpu-corpus repo=zjin-lcf/HeCBench kind=compiled arch=gfx950 opt=O3
	.amdgcn_target "amdgcn-amd-amdhsa--gfx950"
	.amdhsa_code_object_version 6
	.section	.text._ZN7rocprim17ROCPRIM_400000_NS6detail17trampoline_kernelINS0_14default_configENS1_22reduce_config_selectorIlEEZNS1_11reduce_implILb1ES3_PlS7_lN6hipcub16HIPCUB_304000_NS6detail34convert_binary_result_type_wrapperINS9_3SumENS9_22TransformInputIteratorIb7NonZeroIaEPalEElEEEE10hipError_tPvRmT1_T2_T3_mT4_P12ihipStream_tbEUlT_E0_NS1_11comp_targetILNS1_3genE0ELNS1_11target_archE4294967295ELNS1_3gpuE0ELNS1_3repE0EEENS1_30default_config_static_selectorELNS0_4arch9wavefront6targetE1EEEvSM_,"axG",@progbits,_ZN7rocprim17ROCPRIM_400000_NS6detail17trampoline_kernelINS0_14default_configENS1_22reduce_config_selectorIlEEZNS1_11reduce_implILb1ES3_PlS7_lN6hipcub16HIPCUB_304000_NS6detail34convert_binary_result_type_wrapperINS9_3SumENS9_22TransformInputIteratorIb7NonZeroIaEPalEElEEEE10hipError_tPvRmT1_T2_T3_mT4_P12ihipStream_tbEUlT_E0_NS1_11comp_targetILNS1_3genE0ELNS1_11target_archE4294967295ELNS1_3gpuE0ELNS1_3repE0EEENS1_30default_config_static_selectorELNS0_4arch9wavefront6targetE1EEEvSM_,comdat
	.protected	_ZN7rocprim17ROCPRIM_400000_NS6detail17trampoline_kernelINS0_14default_configENS1_22reduce_config_selectorIlEEZNS1_11reduce_implILb1ES3_PlS7_lN6hipcub16HIPCUB_304000_NS6detail34convert_binary_result_type_wrapperINS9_3SumENS9_22TransformInputIteratorIb7NonZeroIaEPalEElEEEE10hipError_tPvRmT1_T2_T3_mT4_P12ihipStream_tbEUlT_E0_NS1_11comp_targetILNS1_3genE0ELNS1_11target_archE4294967295ELNS1_3gpuE0ELNS1_3repE0EEENS1_30default_config_static_selectorELNS0_4arch9wavefront6targetE1EEEvSM_ ; -- Begin function _ZN7rocprim17ROCPRIM_400000_NS6detail17trampoline_kernelINS0_14default_configENS1_22reduce_config_selectorIlEEZNS1_11reduce_implILb1ES3_PlS7_lN6hipcub16HIPCUB_304000_NS6detail34convert_binary_result_type_wrapperINS9_3SumENS9_22TransformInputIteratorIb7NonZeroIaEPalEElEEEE10hipError_tPvRmT1_T2_T3_mT4_P12ihipStream_tbEUlT_E0_NS1_11comp_targetILNS1_3genE0ELNS1_11target_archE4294967295ELNS1_3gpuE0ELNS1_3repE0EEENS1_30default_config_static_selectorELNS0_4arch9wavefront6targetE1EEEvSM_
	.globl	_ZN7rocprim17ROCPRIM_400000_NS6detail17trampoline_kernelINS0_14default_configENS1_22reduce_config_selectorIlEEZNS1_11reduce_implILb1ES3_PlS7_lN6hipcub16HIPCUB_304000_NS6detail34convert_binary_result_type_wrapperINS9_3SumENS9_22TransformInputIteratorIb7NonZeroIaEPalEElEEEE10hipError_tPvRmT1_T2_T3_mT4_P12ihipStream_tbEUlT_E0_NS1_11comp_targetILNS1_3genE0ELNS1_11target_archE4294967295ELNS1_3gpuE0ELNS1_3repE0EEENS1_30default_config_static_selectorELNS0_4arch9wavefront6targetE1EEEvSM_
	.p2align	8
	.type	_ZN7rocprim17ROCPRIM_400000_NS6detail17trampoline_kernelINS0_14default_configENS1_22reduce_config_selectorIlEEZNS1_11reduce_implILb1ES3_PlS7_lN6hipcub16HIPCUB_304000_NS6detail34convert_binary_result_type_wrapperINS9_3SumENS9_22TransformInputIteratorIb7NonZeroIaEPalEElEEEE10hipError_tPvRmT1_T2_T3_mT4_P12ihipStream_tbEUlT_E0_NS1_11comp_targetILNS1_3genE0ELNS1_11target_archE4294967295ELNS1_3gpuE0ELNS1_3repE0EEENS1_30default_config_static_selectorELNS0_4arch9wavefront6targetE1EEEvSM_,@function
_ZN7rocprim17ROCPRIM_400000_NS6detail17trampoline_kernelINS0_14default_configENS1_22reduce_config_selectorIlEEZNS1_11reduce_implILb1ES3_PlS7_lN6hipcub16HIPCUB_304000_NS6detail34convert_binary_result_type_wrapperINS9_3SumENS9_22TransformInputIteratorIb7NonZeroIaEPalEElEEEE10hipError_tPvRmT1_T2_T3_mT4_P12ihipStream_tbEUlT_E0_NS1_11comp_targetILNS1_3genE0ELNS1_11target_archE4294967295ELNS1_3gpuE0ELNS1_3repE0EEENS1_30default_config_static_selectorELNS0_4arch9wavefront6targetE1EEEvSM_: ; @_ZN7rocprim17ROCPRIM_400000_NS6detail17trampoline_kernelINS0_14default_configENS1_22reduce_config_selectorIlEEZNS1_11reduce_implILb1ES3_PlS7_lN6hipcub16HIPCUB_304000_NS6detail34convert_binary_result_type_wrapperINS9_3SumENS9_22TransformInputIteratorIb7NonZeroIaEPalEElEEEE10hipError_tPvRmT1_T2_T3_mT4_P12ihipStream_tbEUlT_E0_NS1_11comp_targetILNS1_3genE0ELNS1_11target_archE4294967295ELNS1_3gpuE0ELNS1_3repE0EEENS1_30default_config_static_selectorELNS0_4arch9wavefront6targetE1EEEvSM_
; %bb.0:
	s_load_dwordx8 s[36:43], s[0:1], 0x0
	s_load_dwordx4 s[44:47], s[0:1], 0x20
	s_load_dwordx2 s[30:31], s[0:1], 0x30
	v_lshlrev_b32_e32 v34, 3, v0
	v_mbcnt_lo_u32_b32 v1, -1, 0
	s_waitcnt lgkmcnt(0)
	s_lshl_b64 s[0:1], s[38:39], 3
	s_add_u32 s8, s36, s0
	s_addc_u32 s9, s37, s1
	s_lshl_b32 s0, s2, 12
	s_mov_b32 s1, 0
	s_lshr_b64 s[4:5], s[40:41], 12
	s_lshl_b64 s[6:7], s[0:1], 3
	s_add_u32 s34, s8, s6
	s_mov_b32 s3, s1
	s_addc_u32 s35, s9, s7
	s_cmp_lg_u64 s[4:5], s[2:3]
	s_cbranch_scc0 .LBB0_6
; %bb.1:
	v_mov_b32_e32 v35, 0
	v_lshl_add_u64 v[2:3], s[34:35], 0, v[34:35]
	global_load_dwordx2 v[6:7], v34, s[34:35]
	global_load_dwordx2 v[8:9], v34, s[34:35] offset:2048
	v_add_co_u32_e32 v4, vcc, 0x1000, v2
	v_mov_b32_e32 v41, v35
	s_nop 0
	v_addc_co_u32_e32 v5, vcc, 0, v3, vcc
	v_add_co_u32_e32 v10, vcc, 0x2000, v2
	v_mov_b32_e32 v45, v35
	s_nop 0
	v_addc_co_u32_e32 v11, vcc, 0, v3, vcc
	global_load_dwordx2 v[12:13], v[4:5], off
	global_load_dwordx2 v[14:15], v[4:5], off offset:2048
	global_load_dwordx2 v[16:17], v[10:11], off
	global_load_dwordx2 v[18:19], v[10:11], off offset:2048
	v_add_co_u32_e32 v4, vcc, 0x3000, v2
	v_mov_b32_e32 v42, v35
	s_nop 0
	v_addc_co_u32_e32 v5, vcc, 0, v3, vcc
	v_add_co_u32_e32 v10, vcc, 0x4000, v2
	v_mov_b32_e32 v49, v35
	s_nop 0
	v_addc_co_u32_e32 v11, vcc, 0, v3, vcc
	global_load_dwordx2 v[20:21], v[4:5], off
	global_load_dwordx2 v[22:23], v[4:5], off offset:2048
	global_load_dwordx2 v[24:25], v[10:11], off
	global_load_dwordx2 v[26:27], v[10:11], off offset:2048
	;; [unrolled: 12-line block ×3, first 2 shown]
	v_add_co_u32_e32 v2, vcc, 0x7000, v2
	v_mov_b32_e32 v50, v35
	s_nop 0
	v_addc_co_u32_e32 v3, vcc, 0, v3, vcc
	global_load_dwordx2 v[10:11], v[2:3], off
	global_load_dwordx2 v[38:39], v[2:3], off offset:2048
	v_mov_b32_e32 v2, v35
	v_mov_b32_e32 v57, v35
	;; [unrolled: 1-line block ×3, first 2 shown]
	v_mbcnt_hi_u32_b32 v4, -1, v1
	v_mov_b32_e32 v59, v35
	v_lshlrev_b32_e32 v5, 2, v4
	v_or_b32_e32 v35, 0xfc, v5
	v_cmp_eq_u32_e32 vcc, 0, v4
	s_waitcnt vmcnt(14)
	v_lshl_add_u64 v[6:7], v[8:9], 0, v[6:7]
	s_waitcnt vmcnt(13)
	v_lshl_add_u64 v[6:7], v[6:7], 0, v[12:13]
	;; [unrolled: 2-line block ×15, first 2 shown]
	s_nop 1
	v_mov_b32_dpp v40, v6 quad_perm:[1,0,3,2] row_mask:0xf bank_mask:0xf bound_ctrl:1
	v_mov_b32_dpp v3, v7 quad_perm:[1,0,3,2] row_mask:0xf bank_mask:0xf bound_ctrl:1
	v_lshl_add_u64 v[6:7], v[6:7], 0, v[40:41]
	v_lshl_add_u64 v[2:3], v[2:3], 0, v[6:7]
	s_nop 0
	v_mov_b32_dpp v44, v6 quad_perm:[2,3,0,1] row_mask:0xf bank_mask:0xf bound_ctrl:1
	v_mov_b32_dpp v43, v3 quad_perm:[2,3,0,1] row_mask:0xf bank_mask:0xf bound_ctrl:1
	v_lshl_add_u64 v[2:3], v[2:3], 0, v[44:45]
	v_lshl_add_u64 v[6:7], v[2:3], 0, v[42:43]
	s_nop 0
	v_mov_b32_dpp v48, v2 row_ror:4 row_mask:0xf bank_mask:0xf bound_ctrl:1
	v_mov_b32_dpp v47, v7 row_ror:4 row_mask:0xf bank_mask:0xf bound_ctrl:1
	v_lshl_add_u64 v[2:3], v[6:7], 0, v[48:49]
	v_lshl_add_u64 v[6:7], v[2:3], 0, v[46:47]
	s_nop 0
	v_mov_b32_dpp v52, v2 row_ror:8 row_mask:0xf bank_mask:0xf bound_ctrl:1
	v_mov_b32_dpp v51, v7 row_ror:8 row_mask:0xf bank_mask:0xf bound_ctrl:1
	v_lshl_add_u64 v[2:3], v[6:7], 0, v[52:53]
	v_lshl_add_u64 v[6:7], v[2:3], 0, v[50:51]
	s_nop 0
	v_mov_b32_dpp v56, v2 row_bcast:15 row_mask:0xf bank_mask:0xf bound_ctrl:1
	v_mov_b32_dpp v55, v7 row_bcast:15 row_mask:0xf bank_mask:0xf bound_ctrl:1
	v_lshl_add_u64 v[2:3], v[6:7], 0, v[56:57]
	v_lshl_add_u64 v[6:7], v[2:3], 0, v[54:55]
	s_nop 0
	v_mov_b32_dpp v58, v2 row_bcast:31 row_mask:0xf bank_mask:0xf bound_ctrl:1
	v_lshl_add_u64 v[2:3], v[6:7], 0, v[58:59]
	ds_bpermute_b32 v2, v35, v2
	s_nop 0
	v_add_u32_dpp v3, v7, v3 row_bcast:31 row_mask:0xf bank_mask:0xf bound_ctrl:1
	ds_bpermute_b32 v3, v35, v3
	s_and_saveexec_b64 s[4:5], vcc
	s_cbranch_execz .LBB0_3
; %bb.2:
	v_lshrrev_b32_e32 v6, 3, v0
	v_and_b32_e32 v6, 24, v6
	s_waitcnt lgkmcnt(0)
	ds_write_b64 v6, v[2:3]
.LBB0_3:
	s_or_b64 exec, exec, s[4:5]
	v_cmp_gt_u32_e32 vcc, 64, v0
	s_waitcnt lgkmcnt(0)
	s_barrier
	s_and_saveexec_b64 s[4:5], vcc
	s_cbranch_execz .LBB0_5
; %bb.4:
	v_and_b32_e32 v6, 3, v4
	v_lshlrev_b32_e32 v2, 3, v6
	ds_read_b64 v[2:3], v2
	v_cmp_ne_u32_e32 vcc, 3, v6
	v_or_b32_e32 v8, 8, v5
	s_nop 0
	v_addc_co_u32_e32 v4, vcc, 0, v4, vcc
	v_lshlrev_b32_e32 v6, 2, v4
	s_waitcnt lgkmcnt(0)
	ds_bpermute_b32 v4, v6, v2
	ds_bpermute_b32 v7, v6, v3
	v_mov_b32_e32 v6, 0
	v_mov_b32_e32 v5, v6
	s_waitcnt lgkmcnt(1)
	v_lshl_add_u64 v[2:3], v[2:3], 0, v[4:5]
	s_waitcnt lgkmcnt(0)
	v_lshl_add_u64 v[4:5], v[6:7], 0, v[2:3]
	ds_bpermute_b32 v2, v8, v2
	ds_bpermute_b32 v7, v8, v5
	v_mov_b32_e32 v3, v6
	s_waitcnt lgkmcnt(1)
	v_lshl_add_u64 v[2:3], v[4:5], 0, v[2:3]
	s_waitcnt lgkmcnt(0)
	v_lshl_add_u64 v[2:3], v[2:3], 0, v[6:7]
.LBB0_5:
	s_or_b64 exec, exec, s[4:5]
	s_branch .LBB0_48
.LBB0_6:
                                        ; implicit-def: $vgpr2_vgpr3
	s_cbranch_execz .LBB0_48
; %bb.7:
	s_sub_i32 s33, s40, s0
	v_mov_b32_e32 v2, 0
	v_cmp_gt_u32_e32 vcc, s33, v0
	v_mov_b32_e32 v3, v2
	v_mov_b32_e32 v4, v2
	;; [unrolled: 1-line block ×31, first 2 shown]
	s_and_saveexec_b64 s[0:1], vcc
	s_cbranch_execz .LBB0_9
; %bb.8:
	global_load_dwordx2 v[36:37], v34, s[34:35]
	v_mov_b32_e32 v38, v2
	v_mov_b32_e32 v39, v2
	;; [unrolled: 1-line block ×30, first 2 shown]
	s_waitcnt vmcnt(0)
	v_mov_b64_e32 v[2:3], v[36:37]
	v_mov_b64_e32 v[4:5], v[38:39]
	v_mov_b64_e32 v[6:7], v[40:41]
	v_mov_b64_e32 v[8:9], v[42:43]
	v_mov_b64_e32 v[10:11], v[44:45]
	v_mov_b64_e32 v[12:13], v[46:47]
	v_mov_b64_e32 v[14:15], v[48:49]
	v_mov_b64_e32 v[16:17], v[50:51]
	v_mov_b64_e32 v[18:19], v[52:53]
	v_mov_b64_e32 v[20:21], v[54:55]
	v_mov_b64_e32 v[22:23], v[56:57]
	v_mov_b64_e32 v[24:25], v[58:59]
	v_mov_b64_e32 v[26:27], v[60:61]
	v_mov_b64_e32 v[28:29], v[62:63]
	v_mov_b64_e32 v[30:31], v[64:65]
	v_mov_b64_e32 v[32:33], v[66:67]
.LBB0_9:
	s_or_b64 exec, exec, s[0:1]
	v_or_b32_e32 v35, 0x100, v0
	v_cmp_gt_u32_e32 vcc, s33, v35
	s_and_saveexec_b64 s[0:1], vcc
	s_cbranch_execz .LBB0_11
; %bb.10:
	global_load_dwordx2 v[4:5], v34, s[34:35] offset:2048
.LBB0_11:
	s_or_b64 exec, exec, s[0:1]
	v_or_b32_e32 v34, 0x200, v0
	v_cmp_gt_u32_e64 s[0:1], s33, v34
	s_and_saveexec_b64 s[4:5], s[0:1]
	s_cbranch_execz .LBB0_13
; %bb.12:
	v_lshlrev_b32_e32 v6, 3, v34
	global_load_dwordx2 v[6:7], v6, s[34:35]
.LBB0_13:
	s_or_b64 exec, exec, s[4:5]
	v_or_b32_e32 v34, 0x300, v0
	v_cmp_gt_u32_e64 s[4:5], s33, v34
	s_and_saveexec_b64 s[6:7], s[4:5]
	s_cbranch_execz .LBB0_15
; %bb.14:
	v_lshlrev_b32_e32 v8, 3, v34
	global_load_dwordx2 v[8:9], v8, s[34:35]
.LBB0_15:
	s_or_b64 exec, exec, s[6:7]
	v_or_b32_e32 v34, 0x400, v0
	v_cmp_gt_u32_e64 s[6:7], s33, v34
	s_and_saveexec_b64 s[8:9], s[6:7]
	s_cbranch_execz .LBB0_17
; %bb.16:
	v_lshlrev_b32_e32 v10, 3, v34
	global_load_dwordx2 v[10:11], v10, s[34:35]
.LBB0_17:
	s_or_b64 exec, exec, s[8:9]
	v_or_b32_e32 v34, 0x500, v0
	v_cmp_gt_u32_e64 s[8:9], s33, v34
	s_and_saveexec_b64 s[10:11], s[8:9]
	s_cbranch_execz .LBB0_19
; %bb.18:
	v_lshlrev_b32_e32 v12, 3, v34
	global_load_dwordx2 v[12:13], v12, s[34:35]
.LBB0_19:
	s_or_b64 exec, exec, s[10:11]
	v_or_b32_e32 v34, 0x600, v0
	v_cmp_gt_u32_e64 s[10:11], s33, v34
	s_and_saveexec_b64 s[12:13], s[10:11]
	s_cbranch_execz .LBB0_21
; %bb.20:
	v_lshlrev_b32_e32 v14, 3, v34
	global_load_dwordx2 v[14:15], v14, s[34:35]
.LBB0_21:
	s_or_b64 exec, exec, s[12:13]
	v_or_b32_e32 v34, 0x700, v0
	v_cmp_gt_u32_e64 s[12:13], s33, v34
	s_and_saveexec_b64 s[14:15], s[12:13]
	s_cbranch_execz .LBB0_23
; %bb.22:
	v_lshlrev_b32_e32 v16, 3, v34
	global_load_dwordx2 v[16:17], v16, s[34:35]
.LBB0_23:
	s_or_b64 exec, exec, s[14:15]
	v_or_b32_e32 v34, 0x800, v0
	v_cmp_gt_u32_e64 s[14:15], s33, v34
	s_and_saveexec_b64 s[16:17], s[14:15]
	s_cbranch_execz .LBB0_25
; %bb.24:
	v_lshlrev_b32_e32 v18, 3, v34
	global_load_dwordx2 v[18:19], v18, s[34:35]
.LBB0_25:
	s_or_b64 exec, exec, s[16:17]
	v_or_b32_e32 v34, 0x900, v0
	v_cmp_gt_u32_e64 s[16:17], s33, v34
	s_and_saveexec_b64 s[18:19], s[16:17]
	s_cbranch_execz .LBB0_27
; %bb.26:
	v_lshlrev_b32_e32 v20, 3, v34
	global_load_dwordx2 v[20:21], v20, s[34:35]
.LBB0_27:
	s_or_b64 exec, exec, s[18:19]
	v_or_b32_e32 v34, 0xa00, v0
	v_cmp_gt_u32_e64 s[18:19], s33, v34
	s_and_saveexec_b64 s[20:21], s[18:19]
	s_cbranch_execz .LBB0_29
; %bb.28:
	v_lshlrev_b32_e32 v22, 3, v34
	global_load_dwordx2 v[22:23], v22, s[34:35]
.LBB0_29:
	s_or_b64 exec, exec, s[20:21]
	v_or_b32_e32 v34, 0xb00, v0
	v_cmp_gt_u32_e64 s[20:21], s33, v34
	s_and_saveexec_b64 s[22:23], s[20:21]
	s_cbranch_execz .LBB0_31
; %bb.30:
	v_lshlrev_b32_e32 v24, 3, v34
	global_load_dwordx2 v[24:25], v24, s[34:35]
.LBB0_31:
	s_or_b64 exec, exec, s[22:23]
	v_or_b32_e32 v34, 0xc00, v0
	v_cmp_gt_u32_e64 s[22:23], s33, v34
	s_and_saveexec_b64 s[24:25], s[22:23]
	s_cbranch_execz .LBB0_33
; %bb.32:
	v_lshlrev_b32_e32 v26, 3, v34
	global_load_dwordx2 v[26:27], v26, s[34:35]
.LBB0_33:
	s_or_b64 exec, exec, s[24:25]
	v_or_b32_e32 v34, 0xd00, v0
	v_cmp_gt_u32_e64 s[24:25], s33, v34
	s_and_saveexec_b64 s[26:27], s[24:25]
	s_cbranch_execz .LBB0_35
; %bb.34:
	v_lshlrev_b32_e32 v28, 3, v34
	global_load_dwordx2 v[28:29], v28, s[34:35]
.LBB0_35:
	s_or_b64 exec, exec, s[26:27]
	v_or_b32_e32 v34, 0xe00, v0
	v_cmp_gt_u32_e64 s[26:27], s33, v34
	s_and_saveexec_b64 s[28:29], s[26:27]
	s_cbranch_execz .LBB0_37
; %bb.36:
	v_lshlrev_b32_e32 v30, 3, v34
	global_load_dwordx2 v[30:31], v30, s[34:35]
.LBB0_37:
	s_or_b64 exec, exec, s[28:29]
	v_or_b32_e32 v34, 0xf00, v0
	v_cmp_gt_u32_e64 s[28:29], s33, v34
	s_and_saveexec_b64 s[36:37], s[28:29]
	s_cbranch_execz .LBB0_39
; %bb.38:
	v_lshlrev_b32_e32 v32, 3, v34
	global_load_dwordx2 v[32:33], v32, s[34:35]
.LBB0_39:
	s_or_b64 exec, exec, s[36:37]
	s_waitcnt vmcnt(0)
	v_cndmask_b32_e32 v5, 0, v5, vcc
	v_cndmask_b32_e32 v4, 0, v4, vcc
	v_lshl_add_u64 v[2:3], v[4:5], 0, v[2:3]
	v_cndmask_b32_e64 v5, 0, v7, s[0:1]
	v_cndmask_b32_e64 v4, 0, v6, s[0:1]
	v_lshl_add_u64 v[2:3], v[2:3], 0, v[4:5]
	v_cndmask_b32_e64 v5, 0, v9, s[4:5]
	v_cndmask_b32_e64 v4, 0, v8, s[4:5]
	;; [unrolled: 3-line block ×13, first 2 shown]
	v_mbcnt_hi_u32_b32 v1, -1, v1
	v_lshl_add_u64 v[2:3], v[2:3], 0, v[4:5]
	v_cndmask_b32_e64 v5, 0, v33, s[28:29]
	v_cndmask_b32_e64 v4, 0, v32, s[28:29]
	v_and_b32_e32 v9, 63, v1
	v_lshl_add_u64 v[2:3], v[2:3], 0, v[4:5]
	s_min_u32 s6, s33, 0x100
	v_and_b32_e32 v4, 0xc0, v0
	v_cmp_ne_u32_e32 vcc, 63, v9
	v_sub_u32_e64 v8, s6, v4 clamp
	v_mov_b32_e32 v6, 0
	v_addc_co_u32_e32 v4, vcc, 0, v1, vcc
	v_lshlrev_b32_e32 v5, 2, v4
	ds_bpermute_b32 v4, v5, v2
	ds_bpermute_b32 v7, v5, v3
	v_add_u32_e32 v10, 1, v9
	v_mov_b32_e32 v5, v6
	v_cmp_lt_u32_e64 s[0:1], v10, v8
	s_waitcnt lgkmcnt(1)
	v_lshl_add_u64 v[4:5], v[2:3], 0, v[4:5]
	v_cmp_gt_u32_e32 vcc, 62, v9
	s_waitcnt lgkmcnt(0)
	v_lshl_add_u64 v[6:7], v[4:5], 0, v[6:7]
	v_cndmask_b32_e64 v12, v2, v4, s[0:1]
	v_cndmask_b32_e64 v4, 0, 2, vcc
	v_cndmask_b32_e64 v5, v3, v7, s[0:1]
	v_add_lshl_u32 v4, v4, v1, 2
	ds_bpermute_b32 v10, v4, v12
	ds_bpermute_b32 v11, v4, v5
	v_cndmask_b32_e64 v4, v2, v6, s[0:1]
	v_add_u32_e32 v13, 2, v9
	v_cmp_lt_u32_e32 vcc, v13, v8
	v_cmp_gt_u32_e64 s[4:5], 60, v9
	s_waitcnt lgkmcnt(0)
	v_lshl_add_u64 v[6:7], v[10:11], 0, v[4:5]
	v_cndmask_b32_e32 v5, v5, v7, vcc
	v_cndmask_b32_e64 v7, 0, 4, s[4:5]
	v_cndmask_b32_e32 v12, v12, v6, vcc
	v_add_lshl_u32 v7, v7, v1, 2
	ds_bpermute_b32 v10, v7, v12
	ds_bpermute_b32 v11, v7, v5
	v_cndmask_b32_e32 v4, v4, v6, vcc
	v_add_u32_e32 v13, 4, v9
	v_cmp_lt_u32_e32 vcc, v13, v8
	v_cmp_gt_u32_e64 s[4:5], 56, v9
	s_waitcnt lgkmcnt(0)
	v_lshl_add_u64 v[6:7], v[10:11], 0, v[4:5]
	v_cndmask_b32_e32 v5, v5, v7, vcc
	v_cndmask_b32_e64 v7, 0, 8, s[4:5]
	v_cndmask_b32_e32 v12, v12, v6, vcc
	v_add_lshl_u32 v7, v7, v1, 2
	ds_bpermute_b32 v10, v7, v12
	ds_bpermute_b32 v11, v7, v5
	v_cndmask_b32_e32 v4, v4, v6, vcc
	;; [unrolled: 12-line block ×3, first 2 shown]
	v_add_u32_e32 v13, 16, v9
	v_cmp_lt_u32_e32 vcc, v13, v8
	s_waitcnt lgkmcnt(0)
	v_lshl_add_u64 v[6:7], v[10:11], 0, v[4:5]
	v_lshlrev_b32_e32 v10, 2, v1
	v_cndmask_b32_e32 v13, v5, v7, vcc
	v_cndmask_b32_e32 v11, v12, v6, vcc
	v_or_b32_e32 v12, 0x80, v10
	ds_bpermute_b32 v11, v12, v11
	ds_bpermute_b32 v12, v12, v13
	s_and_saveexec_b64 s[4:5], s[0:1]
	s_cbranch_execz .LBB0_41
; %bb.40:
	v_add_u32_e32 v9, 32, v9
	v_cndmask_b32_e32 v3, v5, v7, vcc
	v_cndmask_b32_e32 v2, v4, v6, vcc
	v_cmp_lt_u32_e32 vcc, v9, v8
	s_waitcnt lgkmcnt(0)
	s_nop 0
	v_cndmask_b32_e32 v5, 0, v12, vcc
	v_cndmask_b32_e32 v4, 0, v11, vcc
	v_lshl_add_u64 v[2:3], v[2:3], 0, v[4:5]
.LBB0_41:
	s_or_b64 exec, exec, s[4:5]
	v_cmp_eq_u32_e32 vcc, 0, v1
	s_and_saveexec_b64 s[0:1], vcc
; %bb.42:
	v_lshrrev_b32_e32 v4, 3, v0
	v_and_b32_e32 v4, 24, v4
	ds_write_b64 v4, v[2:3] offset:32
; %bb.43:
	s_or_b64 exec, exec, s[0:1]
	v_cmp_gt_u32_e32 vcc, 4, v0
	s_waitcnt lgkmcnt(0)
	s_barrier
	s_and_saveexec_b64 s[0:1], vcc
	s_cbranch_execz .LBB0_47
; %bb.44:
	v_lshlrev_b32_e32 v2, 3, v1
	ds_read_b64 v[2:3], v2 offset:32
	v_and_b32_e32 v6, 3, v1
	v_cmp_ne_u32_e32 vcc, 3, v6
	v_mov_b32_e32 v8, 0
	s_add_i32 s6, s6, 63
	v_addc_co_u32_e32 v1, vcc, 0, v1, vcc
	v_lshlrev_b32_e32 v1, 2, v1
	s_waitcnt lgkmcnt(0)
	ds_bpermute_b32 v4, v1, v2
	ds_bpermute_b32 v9, v1, v3
	v_mov_b32_e32 v5, v8
	s_lshr_b32 s6, s6, 6
	v_add_u32_e32 v1, 1, v6
	s_waitcnt lgkmcnt(1)
	v_lshl_add_u64 v[12:13], v[2:3], 0, v[4:5]
	s_waitcnt lgkmcnt(0)
	v_lshl_add_u64 v[4:5], v[8:9], 0, v[12:13]
	v_cmp_gt_u32_e32 vcc, s6, v1
	v_or_b32_e32 v8, 8, v10
	s_nop 0
	v_cndmask_b32_e32 v7, v3, v5, vcc
	v_cndmask_b32_e32 v1, v2, v12, vcc
	ds_bpermute_b32 v1, v8, v1
	ds_bpermute_b32 v7, v8, v7
	s_and_saveexec_b64 s[4:5], vcc
	s_cbranch_execz .LBB0_46
; %bb.45:
	v_add_u32_e32 v2, 2, v6
	v_cmp_gt_u32_e32 vcc, s6, v2
	s_waitcnt lgkmcnt(0)
	s_nop 0
	v_cndmask_b32_e32 v3, 0, v7, vcc
	v_cndmask_b32_e32 v2, 0, v1, vcc
	v_lshl_add_u64 v[2:3], v[2:3], 0, v[4:5]
.LBB0_46:
	s_or_b64 exec, exec, s[4:5]
.LBB0_47:
	s_or_b64 exec, exec, s[0:1]
.LBB0_48:
	v_cmp_eq_u32_e32 vcc, 0, v0
	s_and_saveexec_b64 s[0:1], vcc
	s_cbranch_execnz .LBB0_50
; %bb.49:
	s_endpgm
.LBB0_50:
	s_mul_i32 s0, s46, s45
	s_mul_hi_u32 s1, s46, s44
	s_add_i32 s0, s1, s0
	s_mul_i32 s1, s47, s44
	s_add_i32 s1, s0, s1
	s_mul_i32 s0, s46, s44
	s_lshl_b64 s[0:1], s[0:1], 3
	s_add_u32 s4, s42, s0
	s_addc_u32 s5, s43, s1
	s_cmp_eq_u64 s[40:41], 0
	v_mov_b32_e32 v0, s31
	s_cselect_b64 vcc, -1, 0
	s_lshl_b64 s[0:1], s[2:3], 3
	s_waitcnt lgkmcnt(1)
	v_cndmask_b32_e32 v1, v3, v0, vcc
	v_mov_b32_e32 v0, s30
	s_add_u32 s0, s4, s0
	v_cndmask_b32_e32 v0, v2, v0, vcc
	s_addc_u32 s1, s5, s1
	v_mov_b32_e32 v2, 0
	global_store_dwordx2 v2, v[0:1], s[0:1]
	s_endpgm
	.section	.rodata,"a",@progbits
	.p2align	6, 0x0
	.amdhsa_kernel _ZN7rocprim17ROCPRIM_400000_NS6detail17trampoline_kernelINS0_14default_configENS1_22reduce_config_selectorIlEEZNS1_11reduce_implILb1ES3_PlS7_lN6hipcub16HIPCUB_304000_NS6detail34convert_binary_result_type_wrapperINS9_3SumENS9_22TransformInputIteratorIb7NonZeroIaEPalEElEEEE10hipError_tPvRmT1_T2_T3_mT4_P12ihipStream_tbEUlT_E0_NS1_11comp_targetILNS1_3genE0ELNS1_11target_archE4294967295ELNS1_3gpuE0ELNS1_3repE0EEENS1_30default_config_static_selectorELNS0_4arch9wavefront6targetE1EEEvSM_
		.amdhsa_group_segment_fixed_size 64
		.amdhsa_private_segment_fixed_size 0
		.amdhsa_kernarg_size 64
		.amdhsa_user_sgpr_count 2
		.amdhsa_user_sgpr_dispatch_ptr 0
		.amdhsa_user_sgpr_queue_ptr 0
		.amdhsa_user_sgpr_kernarg_segment_ptr 1
		.amdhsa_user_sgpr_dispatch_id 0
		.amdhsa_user_sgpr_kernarg_preload_length 0
		.amdhsa_user_sgpr_kernarg_preload_offset 0
		.amdhsa_user_sgpr_private_segment_size 0
		.amdhsa_uses_dynamic_stack 0
		.amdhsa_enable_private_segment 0
		.amdhsa_system_sgpr_workgroup_id_x 1
		.amdhsa_system_sgpr_workgroup_id_y 0
		.amdhsa_system_sgpr_workgroup_id_z 0
		.amdhsa_system_sgpr_workgroup_info 0
		.amdhsa_system_vgpr_workitem_id 0
		.amdhsa_next_free_vgpr 68
		.amdhsa_next_free_sgpr 48
		.amdhsa_accum_offset 68
		.amdhsa_reserve_vcc 1
		.amdhsa_float_round_mode_32 0
		.amdhsa_float_round_mode_16_64 0
		.amdhsa_float_denorm_mode_32 3
		.amdhsa_float_denorm_mode_16_64 3
		.amdhsa_dx10_clamp 1
		.amdhsa_ieee_mode 1
		.amdhsa_fp16_overflow 0
		.amdhsa_tg_split 0
		.amdhsa_exception_fp_ieee_invalid_op 0
		.amdhsa_exception_fp_denorm_src 0
		.amdhsa_exception_fp_ieee_div_zero 0
		.amdhsa_exception_fp_ieee_overflow 0
		.amdhsa_exception_fp_ieee_underflow 0
		.amdhsa_exception_fp_ieee_inexact 0
		.amdhsa_exception_int_div_zero 0
	.end_amdhsa_kernel
	.section	.text._ZN7rocprim17ROCPRIM_400000_NS6detail17trampoline_kernelINS0_14default_configENS1_22reduce_config_selectorIlEEZNS1_11reduce_implILb1ES3_PlS7_lN6hipcub16HIPCUB_304000_NS6detail34convert_binary_result_type_wrapperINS9_3SumENS9_22TransformInputIteratorIb7NonZeroIaEPalEElEEEE10hipError_tPvRmT1_T2_T3_mT4_P12ihipStream_tbEUlT_E0_NS1_11comp_targetILNS1_3genE0ELNS1_11target_archE4294967295ELNS1_3gpuE0ELNS1_3repE0EEENS1_30default_config_static_selectorELNS0_4arch9wavefront6targetE1EEEvSM_,"axG",@progbits,_ZN7rocprim17ROCPRIM_400000_NS6detail17trampoline_kernelINS0_14default_configENS1_22reduce_config_selectorIlEEZNS1_11reduce_implILb1ES3_PlS7_lN6hipcub16HIPCUB_304000_NS6detail34convert_binary_result_type_wrapperINS9_3SumENS9_22TransformInputIteratorIb7NonZeroIaEPalEElEEEE10hipError_tPvRmT1_T2_T3_mT4_P12ihipStream_tbEUlT_E0_NS1_11comp_targetILNS1_3genE0ELNS1_11target_archE4294967295ELNS1_3gpuE0ELNS1_3repE0EEENS1_30default_config_static_selectorELNS0_4arch9wavefront6targetE1EEEvSM_,comdat
.Lfunc_end0:
	.size	_ZN7rocprim17ROCPRIM_400000_NS6detail17trampoline_kernelINS0_14default_configENS1_22reduce_config_selectorIlEEZNS1_11reduce_implILb1ES3_PlS7_lN6hipcub16HIPCUB_304000_NS6detail34convert_binary_result_type_wrapperINS9_3SumENS9_22TransformInputIteratorIb7NonZeroIaEPalEElEEEE10hipError_tPvRmT1_T2_T3_mT4_P12ihipStream_tbEUlT_E0_NS1_11comp_targetILNS1_3genE0ELNS1_11target_archE4294967295ELNS1_3gpuE0ELNS1_3repE0EEENS1_30default_config_static_selectorELNS0_4arch9wavefront6targetE1EEEvSM_, .Lfunc_end0-_ZN7rocprim17ROCPRIM_400000_NS6detail17trampoline_kernelINS0_14default_configENS1_22reduce_config_selectorIlEEZNS1_11reduce_implILb1ES3_PlS7_lN6hipcub16HIPCUB_304000_NS6detail34convert_binary_result_type_wrapperINS9_3SumENS9_22TransformInputIteratorIb7NonZeroIaEPalEElEEEE10hipError_tPvRmT1_T2_T3_mT4_P12ihipStream_tbEUlT_E0_NS1_11comp_targetILNS1_3genE0ELNS1_11target_archE4294967295ELNS1_3gpuE0ELNS1_3repE0EEENS1_30default_config_static_selectorELNS0_4arch9wavefront6targetE1EEEvSM_
                                        ; -- End function
	.set _ZN7rocprim17ROCPRIM_400000_NS6detail17trampoline_kernelINS0_14default_configENS1_22reduce_config_selectorIlEEZNS1_11reduce_implILb1ES3_PlS7_lN6hipcub16HIPCUB_304000_NS6detail34convert_binary_result_type_wrapperINS9_3SumENS9_22TransformInputIteratorIb7NonZeroIaEPalEElEEEE10hipError_tPvRmT1_T2_T3_mT4_P12ihipStream_tbEUlT_E0_NS1_11comp_targetILNS1_3genE0ELNS1_11target_archE4294967295ELNS1_3gpuE0ELNS1_3repE0EEENS1_30default_config_static_selectorELNS0_4arch9wavefront6targetE1EEEvSM_.num_vgpr, 68
	.set _ZN7rocprim17ROCPRIM_400000_NS6detail17trampoline_kernelINS0_14default_configENS1_22reduce_config_selectorIlEEZNS1_11reduce_implILb1ES3_PlS7_lN6hipcub16HIPCUB_304000_NS6detail34convert_binary_result_type_wrapperINS9_3SumENS9_22TransformInputIteratorIb7NonZeroIaEPalEElEEEE10hipError_tPvRmT1_T2_T3_mT4_P12ihipStream_tbEUlT_E0_NS1_11comp_targetILNS1_3genE0ELNS1_11target_archE4294967295ELNS1_3gpuE0ELNS1_3repE0EEENS1_30default_config_static_selectorELNS0_4arch9wavefront6targetE1EEEvSM_.num_agpr, 0
	.set _ZN7rocprim17ROCPRIM_400000_NS6detail17trampoline_kernelINS0_14default_configENS1_22reduce_config_selectorIlEEZNS1_11reduce_implILb1ES3_PlS7_lN6hipcub16HIPCUB_304000_NS6detail34convert_binary_result_type_wrapperINS9_3SumENS9_22TransformInputIteratorIb7NonZeroIaEPalEElEEEE10hipError_tPvRmT1_T2_T3_mT4_P12ihipStream_tbEUlT_E0_NS1_11comp_targetILNS1_3genE0ELNS1_11target_archE4294967295ELNS1_3gpuE0ELNS1_3repE0EEENS1_30default_config_static_selectorELNS0_4arch9wavefront6targetE1EEEvSM_.numbered_sgpr, 48
	.set _ZN7rocprim17ROCPRIM_400000_NS6detail17trampoline_kernelINS0_14default_configENS1_22reduce_config_selectorIlEEZNS1_11reduce_implILb1ES3_PlS7_lN6hipcub16HIPCUB_304000_NS6detail34convert_binary_result_type_wrapperINS9_3SumENS9_22TransformInputIteratorIb7NonZeroIaEPalEElEEEE10hipError_tPvRmT1_T2_T3_mT4_P12ihipStream_tbEUlT_E0_NS1_11comp_targetILNS1_3genE0ELNS1_11target_archE4294967295ELNS1_3gpuE0ELNS1_3repE0EEENS1_30default_config_static_selectorELNS0_4arch9wavefront6targetE1EEEvSM_.num_named_barrier, 0
	.set _ZN7rocprim17ROCPRIM_400000_NS6detail17trampoline_kernelINS0_14default_configENS1_22reduce_config_selectorIlEEZNS1_11reduce_implILb1ES3_PlS7_lN6hipcub16HIPCUB_304000_NS6detail34convert_binary_result_type_wrapperINS9_3SumENS9_22TransformInputIteratorIb7NonZeroIaEPalEElEEEE10hipError_tPvRmT1_T2_T3_mT4_P12ihipStream_tbEUlT_E0_NS1_11comp_targetILNS1_3genE0ELNS1_11target_archE4294967295ELNS1_3gpuE0ELNS1_3repE0EEENS1_30default_config_static_selectorELNS0_4arch9wavefront6targetE1EEEvSM_.private_seg_size, 0
	.set _ZN7rocprim17ROCPRIM_400000_NS6detail17trampoline_kernelINS0_14default_configENS1_22reduce_config_selectorIlEEZNS1_11reduce_implILb1ES3_PlS7_lN6hipcub16HIPCUB_304000_NS6detail34convert_binary_result_type_wrapperINS9_3SumENS9_22TransformInputIteratorIb7NonZeroIaEPalEElEEEE10hipError_tPvRmT1_T2_T3_mT4_P12ihipStream_tbEUlT_E0_NS1_11comp_targetILNS1_3genE0ELNS1_11target_archE4294967295ELNS1_3gpuE0ELNS1_3repE0EEENS1_30default_config_static_selectorELNS0_4arch9wavefront6targetE1EEEvSM_.uses_vcc, 1
	.set _ZN7rocprim17ROCPRIM_400000_NS6detail17trampoline_kernelINS0_14default_configENS1_22reduce_config_selectorIlEEZNS1_11reduce_implILb1ES3_PlS7_lN6hipcub16HIPCUB_304000_NS6detail34convert_binary_result_type_wrapperINS9_3SumENS9_22TransformInputIteratorIb7NonZeroIaEPalEElEEEE10hipError_tPvRmT1_T2_T3_mT4_P12ihipStream_tbEUlT_E0_NS1_11comp_targetILNS1_3genE0ELNS1_11target_archE4294967295ELNS1_3gpuE0ELNS1_3repE0EEENS1_30default_config_static_selectorELNS0_4arch9wavefront6targetE1EEEvSM_.uses_flat_scratch, 0
	.set _ZN7rocprim17ROCPRIM_400000_NS6detail17trampoline_kernelINS0_14default_configENS1_22reduce_config_selectorIlEEZNS1_11reduce_implILb1ES3_PlS7_lN6hipcub16HIPCUB_304000_NS6detail34convert_binary_result_type_wrapperINS9_3SumENS9_22TransformInputIteratorIb7NonZeroIaEPalEElEEEE10hipError_tPvRmT1_T2_T3_mT4_P12ihipStream_tbEUlT_E0_NS1_11comp_targetILNS1_3genE0ELNS1_11target_archE4294967295ELNS1_3gpuE0ELNS1_3repE0EEENS1_30default_config_static_selectorELNS0_4arch9wavefront6targetE1EEEvSM_.has_dyn_sized_stack, 0
	.set _ZN7rocprim17ROCPRIM_400000_NS6detail17trampoline_kernelINS0_14default_configENS1_22reduce_config_selectorIlEEZNS1_11reduce_implILb1ES3_PlS7_lN6hipcub16HIPCUB_304000_NS6detail34convert_binary_result_type_wrapperINS9_3SumENS9_22TransformInputIteratorIb7NonZeroIaEPalEElEEEE10hipError_tPvRmT1_T2_T3_mT4_P12ihipStream_tbEUlT_E0_NS1_11comp_targetILNS1_3genE0ELNS1_11target_archE4294967295ELNS1_3gpuE0ELNS1_3repE0EEENS1_30default_config_static_selectorELNS0_4arch9wavefront6targetE1EEEvSM_.has_recursion, 0
	.set _ZN7rocprim17ROCPRIM_400000_NS6detail17trampoline_kernelINS0_14default_configENS1_22reduce_config_selectorIlEEZNS1_11reduce_implILb1ES3_PlS7_lN6hipcub16HIPCUB_304000_NS6detail34convert_binary_result_type_wrapperINS9_3SumENS9_22TransformInputIteratorIb7NonZeroIaEPalEElEEEE10hipError_tPvRmT1_T2_T3_mT4_P12ihipStream_tbEUlT_E0_NS1_11comp_targetILNS1_3genE0ELNS1_11target_archE4294967295ELNS1_3gpuE0ELNS1_3repE0EEENS1_30default_config_static_selectorELNS0_4arch9wavefront6targetE1EEEvSM_.has_indirect_call, 0
	.section	.AMDGPU.csdata,"",@progbits
; Kernel info:
; codeLenInByte = 3128
; TotalNumSgprs: 54
; NumVgprs: 68
; NumAgprs: 0
; TotalNumVgprs: 68
; ScratchSize: 0
; MemoryBound: 0
; FloatMode: 240
; IeeeMode: 1
; LDSByteSize: 64 bytes/workgroup (compile time only)
; SGPRBlocks: 6
; VGPRBlocks: 8
; NumSGPRsForWavesPerEU: 54
; NumVGPRsForWavesPerEU: 68
; AccumOffset: 68
; Occupancy: 7
; WaveLimiterHint : 1
; COMPUTE_PGM_RSRC2:SCRATCH_EN: 0
; COMPUTE_PGM_RSRC2:USER_SGPR: 2
; COMPUTE_PGM_RSRC2:TRAP_HANDLER: 0
; COMPUTE_PGM_RSRC2:TGID_X_EN: 1
; COMPUTE_PGM_RSRC2:TGID_Y_EN: 0
; COMPUTE_PGM_RSRC2:TGID_Z_EN: 0
; COMPUTE_PGM_RSRC2:TIDIG_COMP_CNT: 0
; COMPUTE_PGM_RSRC3_GFX90A:ACCUM_OFFSET: 16
; COMPUTE_PGM_RSRC3_GFX90A:TG_SPLIT: 0
	.section	.text._ZN7rocprim17ROCPRIM_400000_NS6detail17trampoline_kernelINS0_14default_configENS1_22reduce_config_selectorIlEEZNS1_11reduce_implILb1ES3_PlS7_lN6hipcub16HIPCUB_304000_NS6detail34convert_binary_result_type_wrapperINS9_3SumENS9_22TransformInputIteratorIb7NonZeroIaEPalEElEEEE10hipError_tPvRmT1_T2_T3_mT4_P12ihipStream_tbEUlT_E0_NS1_11comp_targetILNS1_3genE5ELNS1_11target_archE942ELNS1_3gpuE9ELNS1_3repE0EEENS1_30default_config_static_selectorELNS0_4arch9wavefront6targetE1EEEvSM_,"axG",@progbits,_ZN7rocprim17ROCPRIM_400000_NS6detail17trampoline_kernelINS0_14default_configENS1_22reduce_config_selectorIlEEZNS1_11reduce_implILb1ES3_PlS7_lN6hipcub16HIPCUB_304000_NS6detail34convert_binary_result_type_wrapperINS9_3SumENS9_22TransformInputIteratorIb7NonZeroIaEPalEElEEEE10hipError_tPvRmT1_T2_T3_mT4_P12ihipStream_tbEUlT_E0_NS1_11comp_targetILNS1_3genE5ELNS1_11target_archE942ELNS1_3gpuE9ELNS1_3repE0EEENS1_30default_config_static_selectorELNS0_4arch9wavefront6targetE1EEEvSM_,comdat
	.protected	_ZN7rocprim17ROCPRIM_400000_NS6detail17trampoline_kernelINS0_14default_configENS1_22reduce_config_selectorIlEEZNS1_11reduce_implILb1ES3_PlS7_lN6hipcub16HIPCUB_304000_NS6detail34convert_binary_result_type_wrapperINS9_3SumENS9_22TransformInputIteratorIb7NonZeroIaEPalEElEEEE10hipError_tPvRmT1_T2_T3_mT4_P12ihipStream_tbEUlT_E0_NS1_11comp_targetILNS1_3genE5ELNS1_11target_archE942ELNS1_3gpuE9ELNS1_3repE0EEENS1_30default_config_static_selectorELNS0_4arch9wavefront6targetE1EEEvSM_ ; -- Begin function _ZN7rocprim17ROCPRIM_400000_NS6detail17trampoline_kernelINS0_14default_configENS1_22reduce_config_selectorIlEEZNS1_11reduce_implILb1ES3_PlS7_lN6hipcub16HIPCUB_304000_NS6detail34convert_binary_result_type_wrapperINS9_3SumENS9_22TransformInputIteratorIb7NonZeroIaEPalEElEEEE10hipError_tPvRmT1_T2_T3_mT4_P12ihipStream_tbEUlT_E0_NS1_11comp_targetILNS1_3genE5ELNS1_11target_archE942ELNS1_3gpuE9ELNS1_3repE0EEENS1_30default_config_static_selectorELNS0_4arch9wavefront6targetE1EEEvSM_
	.globl	_ZN7rocprim17ROCPRIM_400000_NS6detail17trampoline_kernelINS0_14default_configENS1_22reduce_config_selectorIlEEZNS1_11reduce_implILb1ES3_PlS7_lN6hipcub16HIPCUB_304000_NS6detail34convert_binary_result_type_wrapperINS9_3SumENS9_22TransformInputIteratorIb7NonZeroIaEPalEElEEEE10hipError_tPvRmT1_T2_T3_mT4_P12ihipStream_tbEUlT_E0_NS1_11comp_targetILNS1_3genE5ELNS1_11target_archE942ELNS1_3gpuE9ELNS1_3repE0EEENS1_30default_config_static_selectorELNS0_4arch9wavefront6targetE1EEEvSM_
	.p2align	8
	.type	_ZN7rocprim17ROCPRIM_400000_NS6detail17trampoline_kernelINS0_14default_configENS1_22reduce_config_selectorIlEEZNS1_11reduce_implILb1ES3_PlS7_lN6hipcub16HIPCUB_304000_NS6detail34convert_binary_result_type_wrapperINS9_3SumENS9_22TransformInputIteratorIb7NonZeroIaEPalEElEEEE10hipError_tPvRmT1_T2_T3_mT4_P12ihipStream_tbEUlT_E0_NS1_11comp_targetILNS1_3genE5ELNS1_11target_archE942ELNS1_3gpuE9ELNS1_3repE0EEENS1_30default_config_static_selectorELNS0_4arch9wavefront6targetE1EEEvSM_,@function
_ZN7rocprim17ROCPRIM_400000_NS6detail17trampoline_kernelINS0_14default_configENS1_22reduce_config_selectorIlEEZNS1_11reduce_implILb1ES3_PlS7_lN6hipcub16HIPCUB_304000_NS6detail34convert_binary_result_type_wrapperINS9_3SumENS9_22TransformInputIteratorIb7NonZeroIaEPalEElEEEE10hipError_tPvRmT1_T2_T3_mT4_P12ihipStream_tbEUlT_E0_NS1_11comp_targetILNS1_3genE5ELNS1_11target_archE942ELNS1_3gpuE9ELNS1_3repE0EEENS1_30default_config_static_selectorELNS0_4arch9wavefront6targetE1EEEvSM_: ; @_ZN7rocprim17ROCPRIM_400000_NS6detail17trampoline_kernelINS0_14default_configENS1_22reduce_config_selectorIlEEZNS1_11reduce_implILb1ES3_PlS7_lN6hipcub16HIPCUB_304000_NS6detail34convert_binary_result_type_wrapperINS9_3SumENS9_22TransformInputIteratorIb7NonZeroIaEPalEElEEEE10hipError_tPvRmT1_T2_T3_mT4_P12ihipStream_tbEUlT_E0_NS1_11comp_targetILNS1_3genE5ELNS1_11target_archE942ELNS1_3gpuE9ELNS1_3repE0EEENS1_30default_config_static_selectorELNS0_4arch9wavefront6targetE1EEEvSM_
; %bb.0:
	.section	.rodata,"a",@progbits
	.p2align	6, 0x0
	.amdhsa_kernel _ZN7rocprim17ROCPRIM_400000_NS6detail17trampoline_kernelINS0_14default_configENS1_22reduce_config_selectorIlEEZNS1_11reduce_implILb1ES3_PlS7_lN6hipcub16HIPCUB_304000_NS6detail34convert_binary_result_type_wrapperINS9_3SumENS9_22TransformInputIteratorIb7NonZeroIaEPalEElEEEE10hipError_tPvRmT1_T2_T3_mT4_P12ihipStream_tbEUlT_E0_NS1_11comp_targetILNS1_3genE5ELNS1_11target_archE942ELNS1_3gpuE9ELNS1_3repE0EEENS1_30default_config_static_selectorELNS0_4arch9wavefront6targetE1EEEvSM_
		.amdhsa_group_segment_fixed_size 0
		.amdhsa_private_segment_fixed_size 0
		.amdhsa_kernarg_size 64
		.amdhsa_user_sgpr_count 2
		.amdhsa_user_sgpr_dispatch_ptr 0
		.amdhsa_user_sgpr_queue_ptr 0
		.amdhsa_user_sgpr_kernarg_segment_ptr 1
		.amdhsa_user_sgpr_dispatch_id 0
		.amdhsa_user_sgpr_kernarg_preload_length 0
		.amdhsa_user_sgpr_kernarg_preload_offset 0
		.amdhsa_user_sgpr_private_segment_size 0
		.amdhsa_uses_dynamic_stack 0
		.amdhsa_enable_private_segment 0
		.amdhsa_system_sgpr_workgroup_id_x 1
		.amdhsa_system_sgpr_workgroup_id_y 0
		.amdhsa_system_sgpr_workgroup_id_z 0
		.amdhsa_system_sgpr_workgroup_info 0
		.amdhsa_system_vgpr_workitem_id 0
		.amdhsa_next_free_vgpr 1
		.amdhsa_next_free_sgpr 0
		.amdhsa_accum_offset 4
		.amdhsa_reserve_vcc 0
		.amdhsa_float_round_mode_32 0
		.amdhsa_float_round_mode_16_64 0
		.amdhsa_float_denorm_mode_32 3
		.amdhsa_float_denorm_mode_16_64 3
		.amdhsa_dx10_clamp 1
		.amdhsa_ieee_mode 1
		.amdhsa_fp16_overflow 0
		.amdhsa_tg_split 0
		.amdhsa_exception_fp_ieee_invalid_op 0
		.amdhsa_exception_fp_denorm_src 0
		.amdhsa_exception_fp_ieee_div_zero 0
		.amdhsa_exception_fp_ieee_overflow 0
		.amdhsa_exception_fp_ieee_underflow 0
		.amdhsa_exception_fp_ieee_inexact 0
		.amdhsa_exception_int_div_zero 0
	.end_amdhsa_kernel
	.section	.text._ZN7rocprim17ROCPRIM_400000_NS6detail17trampoline_kernelINS0_14default_configENS1_22reduce_config_selectorIlEEZNS1_11reduce_implILb1ES3_PlS7_lN6hipcub16HIPCUB_304000_NS6detail34convert_binary_result_type_wrapperINS9_3SumENS9_22TransformInputIteratorIb7NonZeroIaEPalEElEEEE10hipError_tPvRmT1_T2_T3_mT4_P12ihipStream_tbEUlT_E0_NS1_11comp_targetILNS1_3genE5ELNS1_11target_archE942ELNS1_3gpuE9ELNS1_3repE0EEENS1_30default_config_static_selectorELNS0_4arch9wavefront6targetE1EEEvSM_,"axG",@progbits,_ZN7rocprim17ROCPRIM_400000_NS6detail17trampoline_kernelINS0_14default_configENS1_22reduce_config_selectorIlEEZNS1_11reduce_implILb1ES3_PlS7_lN6hipcub16HIPCUB_304000_NS6detail34convert_binary_result_type_wrapperINS9_3SumENS9_22TransformInputIteratorIb7NonZeroIaEPalEElEEEE10hipError_tPvRmT1_T2_T3_mT4_P12ihipStream_tbEUlT_E0_NS1_11comp_targetILNS1_3genE5ELNS1_11target_archE942ELNS1_3gpuE9ELNS1_3repE0EEENS1_30default_config_static_selectorELNS0_4arch9wavefront6targetE1EEEvSM_,comdat
.Lfunc_end1:
	.size	_ZN7rocprim17ROCPRIM_400000_NS6detail17trampoline_kernelINS0_14default_configENS1_22reduce_config_selectorIlEEZNS1_11reduce_implILb1ES3_PlS7_lN6hipcub16HIPCUB_304000_NS6detail34convert_binary_result_type_wrapperINS9_3SumENS9_22TransformInputIteratorIb7NonZeroIaEPalEElEEEE10hipError_tPvRmT1_T2_T3_mT4_P12ihipStream_tbEUlT_E0_NS1_11comp_targetILNS1_3genE5ELNS1_11target_archE942ELNS1_3gpuE9ELNS1_3repE0EEENS1_30default_config_static_selectorELNS0_4arch9wavefront6targetE1EEEvSM_, .Lfunc_end1-_ZN7rocprim17ROCPRIM_400000_NS6detail17trampoline_kernelINS0_14default_configENS1_22reduce_config_selectorIlEEZNS1_11reduce_implILb1ES3_PlS7_lN6hipcub16HIPCUB_304000_NS6detail34convert_binary_result_type_wrapperINS9_3SumENS9_22TransformInputIteratorIb7NonZeroIaEPalEElEEEE10hipError_tPvRmT1_T2_T3_mT4_P12ihipStream_tbEUlT_E0_NS1_11comp_targetILNS1_3genE5ELNS1_11target_archE942ELNS1_3gpuE9ELNS1_3repE0EEENS1_30default_config_static_selectorELNS0_4arch9wavefront6targetE1EEEvSM_
                                        ; -- End function
	.set _ZN7rocprim17ROCPRIM_400000_NS6detail17trampoline_kernelINS0_14default_configENS1_22reduce_config_selectorIlEEZNS1_11reduce_implILb1ES3_PlS7_lN6hipcub16HIPCUB_304000_NS6detail34convert_binary_result_type_wrapperINS9_3SumENS9_22TransformInputIteratorIb7NonZeroIaEPalEElEEEE10hipError_tPvRmT1_T2_T3_mT4_P12ihipStream_tbEUlT_E0_NS1_11comp_targetILNS1_3genE5ELNS1_11target_archE942ELNS1_3gpuE9ELNS1_3repE0EEENS1_30default_config_static_selectorELNS0_4arch9wavefront6targetE1EEEvSM_.num_vgpr, 0
	.set _ZN7rocprim17ROCPRIM_400000_NS6detail17trampoline_kernelINS0_14default_configENS1_22reduce_config_selectorIlEEZNS1_11reduce_implILb1ES3_PlS7_lN6hipcub16HIPCUB_304000_NS6detail34convert_binary_result_type_wrapperINS9_3SumENS9_22TransformInputIteratorIb7NonZeroIaEPalEElEEEE10hipError_tPvRmT1_T2_T3_mT4_P12ihipStream_tbEUlT_E0_NS1_11comp_targetILNS1_3genE5ELNS1_11target_archE942ELNS1_3gpuE9ELNS1_3repE0EEENS1_30default_config_static_selectorELNS0_4arch9wavefront6targetE1EEEvSM_.num_agpr, 0
	.set _ZN7rocprim17ROCPRIM_400000_NS6detail17trampoline_kernelINS0_14default_configENS1_22reduce_config_selectorIlEEZNS1_11reduce_implILb1ES3_PlS7_lN6hipcub16HIPCUB_304000_NS6detail34convert_binary_result_type_wrapperINS9_3SumENS9_22TransformInputIteratorIb7NonZeroIaEPalEElEEEE10hipError_tPvRmT1_T2_T3_mT4_P12ihipStream_tbEUlT_E0_NS1_11comp_targetILNS1_3genE5ELNS1_11target_archE942ELNS1_3gpuE9ELNS1_3repE0EEENS1_30default_config_static_selectorELNS0_4arch9wavefront6targetE1EEEvSM_.numbered_sgpr, 0
	.set _ZN7rocprim17ROCPRIM_400000_NS6detail17trampoline_kernelINS0_14default_configENS1_22reduce_config_selectorIlEEZNS1_11reduce_implILb1ES3_PlS7_lN6hipcub16HIPCUB_304000_NS6detail34convert_binary_result_type_wrapperINS9_3SumENS9_22TransformInputIteratorIb7NonZeroIaEPalEElEEEE10hipError_tPvRmT1_T2_T3_mT4_P12ihipStream_tbEUlT_E0_NS1_11comp_targetILNS1_3genE5ELNS1_11target_archE942ELNS1_3gpuE9ELNS1_3repE0EEENS1_30default_config_static_selectorELNS0_4arch9wavefront6targetE1EEEvSM_.num_named_barrier, 0
	.set _ZN7rocprim17ROCPRIM_400000_NS6detail17trampoline_kernelINS0_14default_configENS1_22reduce_config_selectorIlEEZNS1_11reduce_implILb1ES3_PlS7_lN6hipcub16HIPCUB_304000_NS6detail34convert_binary_result_type_wrapperINS9_3SumENS9_22TransformInputIteratorIb7NonZeroIaEPalEElEEEE10hipError_tPvRmT1_T2_T3_mT4_P12ihipStream_tbEUlT_E0_NS1_11comp_targetILNS1_3genE5ELNS1_11target_archE942ELNS1_3gpuE9ELNS1_3repE0EEENS1_30default_config_static_selectorELNS0_4arch9wavefront6targetE1EEEvSM_.private_seg_size, 0
	.set _ZN7rocprim17ROCPRIM_400000_NS6detail17trampoline_kernelINS0_14default_configENS1_22reduce_config_selectorIlEEZNS1_11reduce_implILb1ES3_PlS7_lN6hipcub16HIPCUB_304000_NS6detail34convert_binary_result_type_wrapperINS9_3SumENS9_22TransformInputIteratorIb7NonZeroIaEPalEElEEEE10hipError_tPvRmT1_T2_T3_mT4_P12ihipStream_tbEUlT_E0_NS1_11comp_targetILNS1_3genE5ELNS1_11target_archE942ELNS1_3gpuE9ELNS1_3repE0EEENS1_30default_config_static_selectorELNS0_4arch9wavefront6targetE1EEEvSM_.uses_vcc, 0
	.set _ZN7rocprim17ROCPRIM_400000_NS6detail17trampoline_kernelINS0_14default_configENS1_22reduce_config_selectorIlEEZNS1_11reduce_implILb1ES3_PlS7_lN6hipcub16HIPCUB_304000_NS6detail34convert_binary_result_type_wrapperINS9_3SumENS9_22TransformInputIteratorIb7NonZeroIaEPalEElEEEE10hipError_tPvRmT1_T2_T3_mT4_P12ihipStream_tbEUlT_E0_NS1_11comp_targetILNS1_3genE5ELNS1_11target_archE942ELNS1_3gpuE9ELNS1_3repE0EEENS1_30default_config_static_selectorELNS0_4arch9wavefront6targetE1EEEvSM_.uses_flat_scratch, 0
	.set _ZN7rocprim17ROCPRIM_400000_NS6detail17trampoline_kernelINS0_14default_configENS1_22reduce_config_selectorIlEEZNS1_11reduce_implILb1ES3_PlS7_lN6hipcub16HIPCUB_304000_NS6detail34convert_binary_result_type_wrapperINS9_3SumENS9_22TransformInputIteratorIb7NonZeroIaEPalEElEEEE10hipError_tPvRmT1_T2_T3_mT4_P12ihipStream_tbEUlT_E0_NS1_11comp_targetILNS1_3genE5ELNS1_11target_archE942ELNS1_3gpuE9ELNS1_3repE0EEENS1_30default_config_static_selectorELNS0_4arch9wavefront6targetE1EEEvSM_.has_dyn_sized_stack, 0
	.set _ZN7rocprim17ROCPRIM_400000_NS6detail17trampoline_kernelINS0_14default_configENS1_22reduce_config_selectorIlEEZNS1_11reduce_implILb1ES3_PlS7_lN6hipcub16HIPCUB_304000_NS6detail34convert_binary_result_type_wrapperINS9_3SumENS9_22TransformInputIteratorIb7NonZeroIaEPalEElEEEE10hipError_tPvRmT1_T2_T3_mT4_P12ihipStream_tbEUlT_E0_NS1_11comp_targetILNS1_3genE5ELNS1_11target_archE942ELNS1_3gpuE9ELNS1_3repE0EEENS1_30default_config_static_selectorELNS0_4arch9wavefront6targetE1EEEvSM_.has_recursion, 0
	.set _ZN7rocprim17ROCPRIM_400000_NS6detail17trampoline_kernelINS0_14default_configENS1_22reduce_config_selectorIlEEZNS1_11reduce_implILb1ES3_PlS7_lN6hipcub16HIPCUB_304000_NS6detail34convert_binary_result_type_wrapperINS9_3SumENS9_22TransformInputIteratorIb7NonZeroIaEPalEElEEEE10hipError_tPvRmT1_T2_T3_mT4_P12ihipStream_tbEUlT_E0_NS1_11comp_targetILNS1_3genE5ELNS1_11target_archE942ELNS1_3gpuE9ELNS1_3repE0EEENS1_30default_config_static_selectorELNS0_4arch9wavefront6targetE1EEEvSM_.has_indirect_call, 0
	.section	.AMDGPU.csdata,"",@progbits
; Kernel info:
; codeLenInByte = 0
; TotalNumSgprs: 6
; NumVgprs: 0
; NumAgprs: 0
; TotalNumVgprs: 0
; ScratchSize: 0
; MemoryBound: 0
; FloatMode: 240
; IeeeMode: 1
; LDSByteSize: 0 bytes/workgroup (compile time only)
; SGPRBlocks: 0
; VGPRBlocks: 0
; NumSGPRsForWavesPerEU: 6
; NumVGPRsForWavesPerEU: 1
; AccumOffset: 4
; Occupancy: 8
; WaveLimiterHint : 0
; COMPUTE_PGM_RSRC2:SCRATCH_EN: 0
; COMPUTE_PGM_RSRC2:USER_SGPR: 2
; COMPUTE_PGM_RSRC2:TRAP_HANDLER: 0
; COMPUTE_PGM_RSRC2:TGID_X_EN: 1
; COMPUTE_PGM_RSRC2:TGID_Y_EN: 0
; COMPUTE_PGM_RSRC2:TGID_Z_EN: 0
; COMPUTE_PGM_RSRC2:TIDIG_COMP_CNT: 0
; COMPUTE_PGM_RSRC3_GFX90A:ACCUM_OFFSET: 0
; COMPUTE_PGM_RSRC3_GFX90A:TG_SPLIT: 0
	.section	.text._ZN7rocprim17ROCPRIM_400000_NS6detail17trampoline_kernelINS0_14default_configENS1_22reduce_config_selectorIlEEZNS1_11reduce_implILb1ES3_PlS7_lN6hipcub16HIPCUB_304000_NS6detail34convert_binary_result_type_wrapperINS9_3SumENS9_22TransformInputIteratorIb7NonZeroIaEPalEElEEEE10hipError_tPvRmT1_T2_T3_mT4_P12ihipStream_tbEUlT_E0_NS1_11comp_targetILNS1_3genE4ELNS1_11target_archE910ELNS1_3gpuE8ELNS1_3repE0EEENS1_30default_config_static_selectorELNS0_4arch9wavefront6targetE1EEEvSM_,"axG",@progbits,_ZN7rocprim17ROCPRIM_400000_NS6detail17trampoline_kernelINS0_14default_configENS1_22reduce_config_selectorIlEEZNS1_11reduce_implILb1ES3_PlS7_lN6hipcub16HIPCUB_304000_NS6detail34convert_binary_result_type_wrapperINS9_3SumENS9_22TransformInputIteratorIb7NonZeroIaEPalEElEEEE10hipError_tPvRmT1_T2_T3_mT4_P12ihipStream_tbEUlT_E0_NS1_11comp_targetILNS1_3genE4ELNS1_11target_archE910ELNS1_3gpuE8ELNS1_3repE0EEENS1_30default_config_static_selectorELNS0_4arch9wavefront6targetE1EEEvSM_,comdat
	.protected	_ZN7rocprim17ROCPRIM_400000_NS6detail17trampoline_kernelINS0_14default_configENS1_22reduce_config_selectorIlEEZNS1_11reduce_implILb1ES3_PlS7_lN6hipcub16HIPCUB_304000_NS6detail34convert_binary_result_type_wrapperINS9_3SumENS9_22TransformInputIteratorIb7NonZeroIaEPalEElEEEE10hipError_tPvRmT1_T2_T3_mT4_P12ihipStream_tbEUlT_E0_NS1_11comp_targetILNS1_3genE4ELNS1_11target_archE910ELNS1_3gpuE8ELNS1_3repE0EEENS1_30default_config_static_selectorELNS0_4arch9wavefront6targetE1EEEvSM_ ; -- Begin function _ZN7rocprim17ROCPRIM_400000_NS6detail17trampoline_kernelINS0_14default_configENS1_22reduce_config_selectorIlEEZNS1_11reduce_implILb1ES3_PlS7_lN6hipcub16HIPCUB_304000_NS6detail34convert_binary_result_type_wrapperINS9_3SumENS9_22TransformInputIteratorIb7NonZeroIaEPalEElEEEE10hipError_tPvRmT1_T2_T3_mT4_P12ihipStream_tbEUlT_E0_NS1_11comp_targetILNS1_3genE4ELNS1_11target_archE910ELNS1_3gpuE8ELNS1_3repE0EEENS1_30default_config_static_selectorELNS0_4arch9wavefront6targetE1EEEvSM_
	.globl	_ZN7rocprim17ROCPRIM_400000_NS6detail17trampoline_kernelINS0_14default_configENS1_22reduce_config_selectorIlEEZNS1_11reduce_implILb1ES3_PlS7_lN6hipcub16HIPCUB_304000_NS6detail34convert_binary_result_type_wrapperINS9_3SumENS9_22TransformInputIteratorIb7NonZeroIaEPalEElEEEE10hipError_tPvRmT1_T2_T3_mT4_P12ihipStream_tbEUlT_E0_NS1_11comp_targetILNS1_3genE4ELNS1_11target_archE910ELNS1_3gpuE8ELNS1_3repE0EEENS1_30default_config_static_selectorELNS0_4arch9wavefront6targetE1EEEvSM_
	.p2align	8
	.type	_ZN7rocprim17ROCPRIM_400000_NS6detail17trampoline_kernelINS0_14default_configENS1_22reduce_config_selectorIlEEZNS1_11reduce_implILb1ES3_PlS7_lN6hipcub16HIPCUB_304000_NS6detail34convert_binary_result_type_wrapperINS9_3SumENS9_22TransformInputIteratorIb7NonZeroIaEPalEElEEEE10hipError_tPvRmT1_T2_T3_mT4_P12ihipStream_tbEUlT_E0_NS1_11comp_targetILNS1_3genE4ELNS1_11target_archE910ELNS1_3gpuE8ELNS1_3repE0EEENS1_30default_config_static_selectorELNS0_4arch9wavefront6targetE1EEEvSM_,@function
_ZN7rocprim17ROCPRIM_400000_NS6detail17trampoline_kernelINS0_14default_configENS1_22reduce_config_selectorIlEEZNS1_11reduce_implILb1ES3_PlS7_lN6hipcub16HIPCUB_304000_NS6detail34convert_binary_result_type_wrapperINS9_3SumENS9_22TransformInputIteratorIb7NonZeroIaEPalEElEEEE10hipError_tPvRmT1_T2_T3_mT4_P12ihipStream_tbEUlT_E0_NS1_11comp_targetILNS1_3genE4ELNS1_11target_archE910ELNS1_3gpuE8ELNS1_3repE0EEENS1_30default_config_static_selectorELNS0_4arch9wavefront6targetE1EEEvSM_: ; @_ZN7rocprim17ROCPRIM_400000_NS6detail17trampoline_kernelINS0_14default_configENS1_22reduce_config_selectorIlEEZNS1_11reduce_implILb1ES3_PlS7_lN6hipcub16HIPCUB_304000_NS6detail34convert_binary_result_type_wrapperINS9_3SumENS9_22TransformInputIteratorIb7NonZeroIaEPalEElEEEE10hipError_tPvRmT1_T2_T3_mT4_P12ihipStream_tbEUlT_E0_NS1_11comp_targetILNS1_3genE4ELNS1_11target_archE910ELNS1_3gpuE8ELNS1_3repE0EEENS1_30default_config_static_selectorELNS0_4arch9wavefront6targetE1EEEvSM_
; %bb.0:
	.section	.rodata,"a",@progbits
	.p2align	6, 0x0
	.amdhsa_kernel _ZN7rocprim17ROCPRIM_400000_NS6detail17trampoline_kernelINS0_14default_configENS1_22reduce_config_selectorIlEEZNS1_11reduce_implILb1ES3_PlS7_lN6hipcub16HIPCUB_304000_NS6detail34convert_binary_result_type_wrapperINS9_3SumENS9_22TransformInputIteratorIb7NonZeroIaEPalEElEEEE10hipError_tPvRmT1_T2_T3_mT4_P12ihipStream_tbEUlT_E0_NS1_11comp_targetILNS1_3genE4ELNS1_11target_archE910ELNS1_3gpuE8ELNS1_3repE0EEENS1_30default_config_static_selectorELNS0_4arch9wavefront6targetE1EEEvSM_
		.amdhsa_group_segment_fixed_size 0
		.amdhsa_private_segment_fixed_size 0
		.amdhsa_kernarg_size 64
		.amdhsa_user_sgpr_count 2
		.amdhsa_user_sgpr_dispatch_ptr 0
		.amdhsa_user_sgpr_queue_ptr 0
		.amdhsa_user_sgpr_kernarg_segment_ptr 1
		.amdhsa_user_sgpr_dispatch_id 0
		.amdhsa_user_sgpr_kernarg_preload_length 0
		.amdhsa_user_sgpr_kernarg_preload_offset 0
		.amdhsa_user_sgpr_private_segment_size 0
		.amdhsa_uses_dynamic_stack 0
		.amdhsa_enable_private_segment 0
		.amdhsa_system_sgpr_workgroup_id_x 1
		.amdhsa_system_sgpr_workgroup_id_y 0
		.amdhsa_system_sgpr_workgroup_id_z 0
		.amdhsa_system_sgpr_workgroup_info 0
		.amdhsa_system_vgpr_workitem_id 0
		.amdhsa_next_free_vgpr 1
		.amdhsa_next_free_sgpr 0
		.amdhsa_accum_offset 4
		.amdhsa_reserve_vcc 0
		.amdhsa_float_round_mode_32 0
		.amdhsa_float_round_mode_16_64 0
		.amdhsa_float_denorm_mode_32 3
		.amdhsa_float_denorm_mode_16_64 3
		.amdhsa_dx10_clamp 1
		.amdhsa_ieee_mode 1
		.amdhsa_fp16_overflow 0
		.amdhsa_tg_split 0
		.amdhsa_exception_fp_ieee_invalid_op 0
		.amdhsa_exception_fp_denorm_src 0
		.amdhsa_exception_fp_ieee_div_zero 0
		.amdhsa_exception_fp_ieee_overflow 0
		.amdhsa_exception_fp_ieee_underflow 0
		.amdhsa_exception_fp_ieee_inexact 0
		.amdhsa_exception_int_div_zero 0
	.end_amdhsa_kernel
	.section	.text._ZN7rocprim17ROCPRIM_400000_NS6detail17trampoline_kernelINS0_14default_configENS1_22reduce_config_selectorIlEEZNS1_11reduce_implILb1ES3_PlS7_lN6hipcub16HIPCUB_304000_NS6detail34convert_binary_result_type_wrapperINS9_3SumENS9_22TransformInputIteratorIb7NonZeroIaEPalEElEEEE10hipError_tPvRmT1_T2_T3_mT4_P12ihipStream_tbEUlT_E0_NS1_11comp_targetILNS1_3genE4ELNS1_11target_archE910ELNS1_3gpuE8ELNS1_3repE0EEENS1_30default_config_static_selectorELNS0_4arch9wavefront6targetE1EEEvSM_,"axG",@progbits,_ZN7rocprim17ROCPRIM_400000_NS6detail17trampoline_kernelINS0_14default_configENS1_22reduce_config_selectorIlEEZNS1_11reduce_implILb1ES3_PlS7_lN6hipcub16HIPCUB_304000_NS6detail34convert_binary_result_type_wrapperINS9_3SumENS9_22TransformInputIteratorIb7NonZeroIaEPalEElEEEE10hipError_tPvRmT1_T2_T3_mT4_P12ihipStream_tbEUlT_E0_NS1_11comp_targetILNS1_3genE4ELNS1_11target_archE910ELNS1_3gpuE8ELNS1_3repE0EEENS1_30default_config_static_selectorELNS0_4arch9wavefront6targetE1EEEvSM_,comdat
.Lfunc_end2:
	.size	_ZN7rocprim17ROCPRIM_400000_NS6detail17trampoline_kernelINS0_14default_configENS1_22reduce_config_selectorIlEEZNS1_11reduce_implILb1ES3_PlS7_lN6hipcub16HIPCUB_304000_NS6detail34convert_binary_result_type_wrapperINS9_3SumENS9_22TransformInputIteratorIb7NonZeroIaEPalEElEEEE10hipError_tPvRmT1_T2_T3_mT4_P12ihipStream_tbEUlT_E0_NS1_11comp_targetILNS1_3genE4ELNS1_11target_archE910ELNS1_3gpuE8ELNS1_3repE0EEENS1_30default_config_static_selectorELNS0_4arch9wavefront6targetE1EEEvSM_, .Lfunc_end2-_ZN7rocprim17ROCPRIM_400000_NS6detail17trampoline_kernelINS0_14default_configENS1_22reduce_config_selectorIlEEZNS1_11reduce_implILb1ES3_PlS7_lN6hipcub16HIPCUB_304000_NS6detail34convert_binary_result_type_wrapperINS9_3SumENS9_22TransformInputIteratorIb7NonZeroIaEPalEElEEEE10hipError_tPvRmT1_T2_T3_mT4_P12ihipStream_tbEUlT_E0_NS1_11comp_targetILNS1_3genE4ELNS1_11target_archE910ELNS1_3gpuE8ELNS1_3repE0EEENS1_30default_config_static_selectorELNS0_4arch9wavefront6targetE1EEEvSM_
                                        ; -- End function
	.set _ZN7rocprim17ROCPRIM_400000_NS6detail17trampoline_kernelINS0_14default_configENS1_22reduce_config_selectorIlEEZNS1_11reduce_implILb1ES3_PlS7_lN6hipcub16HIPCUB_304000_NS6detail34convert_binary_result_type_wrapperINS9_3SumENS9_22TransformInputIteratorIb7NonZeroIaEPalEElEEEE10hipError_tPvRmT1_T2_T3_mT4_P12ihipStream_tbEUlT_E0_NS1_11comp_targetILNS1_3genE4ELNS1_11target_archE910ELNS1_3gpuE8ELNS1_3repE0EEENS1_30default_config_static_selectorELNS0_4arch9wavefront6targetE1EEEvSM_.num_vgpr, 0
	.set _ZN7rocprim17ROCPRIM_400000_NS6detail17trampoline_kernelINS0_14default_configENS1_22reduce_config_selectorIlEEZNS1_11reduce_implILb1ES3_PlS7_lN6hipcub16HIPCUB_304000_NS6detail34convert_binary_result_type_wrapperINS9_3SumENS9_22TransformInputIteratorIb7NonZeroIaEPalEElEEEE10hipError_tPvRmT1_T2_T3_mT4_P12ihipStream_tbEUlT_E0_NS1_11comp_targetILNS1_3genE4ELNS1_11target_archE910ELNS1_3gpuE8ELNS1_3repE0EEENS1_30default_config_static_selectorELNS0_4arch9wavefront6targetE1EEEvSM_.num_agpr, 0
	.set _ZN7rocprim17ROCPRIM_400000_NS6detail17trampoline_kernelINS0_14default_configENS1_22reduce_config_selectorIlEEZNS1_11reduce_implILb1ES3_PlS7_lN6hipcub16HIPCUB_304000_NS6detail34convert_binary_result_type_wrapperINS9_3SumENS9_22TransformInputIteratorIb7NonZeroIaEPalEElEEEE10hipError_tPvRmT1_T2_T3_mT4_P12ihipStream_tbEUlT_E0_NS1_11comp_targetILNS1_3genE4ELNS1_11target_archE910ELNS1_3gpuE8ELNS1_3repE0EEENS1_30default_config_static_selectorELNS0_4arch9wavefront6targetE1EEEvSM_.numbered_sgpr, 0
	.set _ZN7rocprim17ROCPRIM_400000_NS6detail17trampoline_kernelINS0_14default_configENS1_22reduce_config_selectorIlEEZNS1_11reduce_implILb1ES3_PlS7_lN6hipcub16HIPCUB_304000_NS6detail34convert_binary_result_type_wrapperINS9_3SumENS9_22TransformInputIteratorIb7NonZeroIaEPalEElEEEE10hipError_tPvRmT1_T2_T3_mT4_P12ihipStream_tbEUlT_E0_NS1_11comp_targetILNS1_3genE4ELNS1_11target_archE910ELNS1_3gpuE8ELNS1_3repE0EEENS1_30default_config_static_selectorELNS0_4arch9wavefront6targetE1EEEvSM_.num_named_barrier, 0
	.set _ZN7rocprim17ROCPRIM_400000_NS6detail17trampoline_kernelINS0_14default_configENS1_22reduce_config_selectorIlEEZNS1_11reduce_implILb1ES3_PlS7_lN6hipcub16HIPCUB_304000_NS6detail34convert_binary_result_type_wrapperINS9_3SumENS9_22TransformInputIteratorIb7NonZeroIaEPalEElEEEE10hipError_tPvRmT1_T2_T3_mT4_P12ihipStream_tbEUlT_E0_NS1_11comp_targetILNS1_3genE4ELNS1_11target_archE910ELNS1_3gpuE8ELNS1_3repE0EEENS1_30default_config_static_selectorELNS0_4arch9wavefront6targetE1EEEvSM_.private_seg_size, 0
	.set _ZN7rocprim17ROCPRIM_400000_NS6detail17trampoline_kernelINS0_14default_configENS1_22reduce_config_selectorIlEEZNS1_11reduce_implILb1ES3_PlS7_lN6hipcub16HIPCUB_304000_NS6detail34convert_binary_result_type_wrapperINS9_3SumENS9_22TransformInputIteratorIb7NonZeroIaEPalEElEEEE10hipError_tPvRmT1_T2_T3_mT4_P12ihipStream_tbEUlT_E0_NS1_11comp_targetILNS1_3genE4ELNS1_11target_archE910ELNS1_3gpuE8ELNS1_3repE0EEENS1_30default_config_static_selectorELNS0_4arch9wavefront6targetE1EEEvSM_.uses_vcc, 0
	.set _ZN7rocprim17ROCPRIM_400000_NS6detail17trampoline_kernelINS0_14default_configENS1_22reduce_config_selectorIlEEZNS1_11reduce_implILb1ES3_PlS7_lN6hipcub16HIPCUB_304000_NS6detail34convert_binary_result_type_wrapperINS9_3SumENS9_22TransformInputIteratorIb7NonZeroIaEPalEElEEEE10hipError_tPvRmT1_T2_T3_mT4_P12ihipStream_tbEUlT_E0_NS1_11comp_targetILNS1_3genE4ELNS1_11target_archE910ELNS1_3gpuE8ELNS1_3repE0EEENS1_30default_config_static_selectorELNS0_4arch9wavefront6targetE1EEEvSM_.uses_flat_scratch, 0
	.set _ZN7rocprim17ROCPRIM_400000_NS6detail17trampoline_kernelINS0_14default_configENS1_22reduce_config_selectorIlEEZNS1_11reduce_implILb1ES3_PlS7_lN6hipcub16HIPCUB_304000_NS6detail34convert_binary_result_type_wrapperINS9_3SumENS9_22TransformInputIteratorIb7NonZeroIaEPalEElEEEE10hipError_tPvRmT1_T2_T3_mT4_P12ihipStream_tbEUlT_E0_NS1_11comp_targetILNS1_3genE4ELNS1_11target_archE910ELNS1_3gpuE8ELNS1_3repE0EEENS1_30default_config_static_selectorELNS0_4arch9wavefront6targetE1EEEvSM_.has_dyn_sized_stack, 0
	.set _ZN7rocprim17ROCPRIM_400000_NS6detail17trampoline_kernelINS0_14default_configENS1_22reduce_config_selectorIlEEZNS1_11reduce_implILb1ES3_PlS7_lN6hipcub16HIPCUB_304000_NS6detail34convert_binary_result_type_wrapperINS9_3SumENS9_22TransformInputIteratorIb7NonZeroIaEPalEElEEEE10hipError_tPvRmT1_T2_T3_mT4_P12ihipStream_tbEUlT_E0_NS1_11comp_targetILNS1_3genE4ELNS1_11target_archE910ELNS1_3gpuE8ELNS1_3repE0EEENS1_30default_config_static_selectorELNS0_4arch9wavefront6targetE1EEEvSM_.has_recursion, 0
	.set _ZN7rocprim17ROCPRIM_400000_NS6detail17trampoline_kernelINS0_14default_configENS1_22reduce_config_selectorIlEEZNS1_11reduce_implILb1ES3_PlS7_lN6hipcub16HIPCUB_304000_NS6detail34convert_binary_result_type_wrapperINS9_3SumENS9_22TransformInputIteratorIb7NonZeroIaEPalEElEEEE10hipError_tPvRmT1_T2_T3_mT4_P12ihipStream_tbEUlT_E0_NS1_11comp_targetILNS1_3genE4ELNS1_11target_archE910ELNS1_3gpuE8ELNS1_3repE0EEENS1_30default_config_static_selectorELNS0_4arch9wavefront6targetE1EEEvSM_.has_indirect_call, 0
	.section	.AMDGPU.csdata,"",@progbits
; Kernel info:
; codeLenInByte = 0
; TotalNumSgprs: 6
; NumVgprs: 0
; NumAgprs: 0
; TotalNumVgprs: 0
; ScratchSize: 0
; MemoryBound: 0
; FloatMode: 240
; IeeeMode: 1
; LDSByteSize: 0 bytes/workgroup (compile time only)
; SGPRBlocks: 0
; VGPRBlocks: 0
; NumSGPRsForWavesPerEU: 6
; NumVGPRsForWavesPerEU: 1
; AccumOffset: 4
; Occupancy: 8
; WaveLimiterHint : 0
; COMPUTE_PGM_RSRC2:SCRATCH_EN: 0
; COMPUTE_PGM_RSRC2:USER_SGPR: 2
; COMPUTE_PGM_RSRC2:TRAP_HANDLER: 0
; COMPUTE_PGM_RSRC2:TGID_X_EN: 1
; COMPUTE_PGM_RSRC2:TGID_Y_EN: 0
; COMPUTE_PGM_RSRC2:TGID_Z_EN: 0
; COMPUTE_PGM_RSRC2:TIDIG_COMP_CNT: 0
; COMPUTE_PGM_RSRC3_GFX90A:ACCUM_OFFSET: 0
; COMPUTE_PGM_RSRC3_GFX90A:TG_SPLIT: 0
	.section	.text._ZN7rocprim17ROCPRIM_400000_NS6detail17trampoline_kernelINS0_14default_configENS1_22reduce_config_selectorIlEEZNS1_11reduce_implILb1ES3_PlS7_lN6hipcub16HIPCUB_304000_NS6detail34convert_binary_result_type_wrapperINS9_3SumENS9_22TransformInputIteratorIb7NonZeroIaEPalEElEEEE10hipError_tPvRmT1_T2_T3_mT4_P12ihipStream_tbEUlT_E0_NS1_11comp_targetILNS1_3genE3ELNS1_11target_archE908ELNS1_3gpuE7ELNS1_3repE0EEENS1_30default_config_static_selectorELNS0_4arch9wavefront6targetE1EEEvSM_,"axG",@progbits,_ZN7rocprim17ROCPRIM_400000_NS6detail17trampoline_kernelINS0_14default_configENS1_22reduce_config_selectorIlEEZNS1_11reduce_implILb1ES3_PlS7_lN6hipcub16HIPCUB_304000_NS6detail34convert_binary_result_type_wrapperINS9_3SumENS9_22TransformInputIteratorIb7NonZeroIaEPalEElEEEE10hipError_tPvRmT1_T2_T3_mT4_P12ihipStream_tbEUlT_E0_NS1_11comp_targetILNS1_3genE3ELNS1_11target_archE908ELNS1_3gpuE7ELNS1_3repE0EEENS1_30default_config_static_selectorELNS0_4arch9wavefront6targetE1EEEvSM_,comdat
	.protected	_ZN7rocprim17ROCPRIM_400000_NS6detail17trampoline_kernelINS0_14default_configENS1_22reduce_config_selectorIlEEZNS1_11reduce_implILb1ES3_PlS7_lN6hipcub16HIPCUB_304000_NS6detail34convert_binary_result_type_wrapperINS9_3SumENS9_22TransformInputIteratorIb7NonZeroIaEPalEElEEEE10hipError_tPvRmT1_T2_T3_mT4_P12ihipStream_tbEUlT_E0_NS1_11comp_targetILNS1_3genE3ELNS1_11target_archE908ELNS1_3gpuE7ELNS1_3repE0EEENS1_30default_config_static_selectorELNS0_4arch9wavefront6targetE1EEEvSM_ ; -- Begin function _ZN7rocprim17ROCPRIM_400000_NS6detail17trampoline_kernelINS0_14default_configENS1_22reduce_config_selectorIlEEZNS1_11reduce_implILb1ES3_PlS7_lN6hipcub16HIPCUB_304000_NS6detail34convert_binary_result_type_wrapperINS9_3SumENS9_22TransformInputIteratorIb7NonZeroIaEPalEElEEEE10hipError_tPvRmT1_T2_T3_mT4_P12ihipStream_tbEUlT_E0_NS1_11comp_targetILNS1_3genE3ELNS1_11target_archE908ELNS1_3gpuE7ELNS1_3repE0EEENS1_30default_config_static_selectorELNS0_4arch9wavefront6targetE1EEEvSM_
	.globl	_ZN7rocprim17ROCPRIM_400000_NS6detail17trampoline_kernelINS0_14default_configENS1_22reduce_config_selectorIlEEZNS1_11reduce_implILb1ES3_PlS7_lN6hipcub16HIPCUB_304000_NS6detail34convert_binary_result_type_wrapperINS9_3SumENS9_22TransformInputIteratorIb7NonZeroIaEPalEElEEEE10hipError_tPvRmT1_T2_T3_mT4_P12ihipStream_tbEUlT_E0_NS1_11comp_targetILNS1_3genE3ELNS1_11target_archE908ELNS1_3gpuE7ELNS1_3repE0EEENS1_30default_config_static_selectorELNS0_4arch9wavefront6targetE1EEEvSM_
	.p2align	8
	.type	_ZN7rocprim17ROCPRIM_400000_NS6detail17trampoline_kernelINS0_14default_configENS1_22reduce_config_selectorIlEEZNS1_11reduce_implILb1ES3_PlS7_lN6hipcub16HIPCUB_304000_NS6detail34convert_binary_result_type_wrapperINS9_3SumENS9_22TransformInputIteratorIb7NonZeroIaEPalEElEEEE10hipError_tPvRmT1_T2_T3_mT4_P12ihipStream_tbEUlT_E0_NS1_11comp_targetILNS1_3genE3ELNS1_11target_archE908ELNS1_3gpuE7ELNS1_3repE0EEENS1_30default_config_static_selectorELNS0_4arch9wavefront6targetE1EEEvSM_,@function
_ZN7rocprim17ROCPRIM_400000_NS6detail17trampoline_kernelINS0_14default_configENS1_22reduce_config_selectorIlEEZNS1_11reduce_implILb1ES3_PlS7_lN6hipcub16HIPCUB_304000_NS6detail34convert_binary_result_type_wrapperINS9_3SumENS9_22TransformInputIteratorIb7NonZeroIaEPalEElEEEE10hipError_tPvRmT1_T2_T3_mT4_P12ihipStream_tbEUlT_E0_NS1_11comp_targetILNS1_3genE3ELNS1_11target_archE908ELNS1_3gpuE7ELNS1_3repE0EEENS1_30default_config_static_selectorELNS0_4arch9wavefront6targetE1EEEvSM_: ; @_ZN7rocprim17ROCPRIM_400000_NS6detail17trampoline_kernelINS0_14default_configENS1_22reduce_config_selectorIlEEZNS1_11reduce_implILb1ES3_PlS7_lN6hipcub16HIPCUB_304000_NS6detail34convert_binary_result_type_wrapperINS9_3SumENS9_22TransformInputIteratorIb7NonZeroIaEPalEElEEEE10hipError_tPvRmT1_T2_T3_mT4_P12ihipStream_tbEUlT_E0_NS1_11comp_targetILNS1_3genE3ELNS1_11target_archE908ELNS1_3gpuE7ELNS1_3repE0EEENS1_30default_config_static_selectorELNS0_4arch9wavefront6targetE1EEEvSM_
; %bb.0:
	.section	.rodata,"a",@progbits
	.p2align	6, 0x0
	.amdhsa_kernel _ZN7rocprim17ROCPRIM_400000_NS6detail17trampoline_kernelINS0_14default_configENS1_22reduce_config_selectorIlEEZNS1_11reduce_implILb1ES3_PlS7_lN6hipcub16HIPCUB_304000_NS6detail34convert_binary_result_type_wrapperINS9_3SumENS9_22TransformInputIteratorIb7NonZeroIaEPalEElEEEE10hipError_tPvRmT1_T2_T3_mT4_P12ihipStream_tbEUlT_E0_NS1_11comp_targetILNS1_3genE3ELNS1_11target_archE908ELNS1_3gpuE7ELNS1_3repE0EEENS1_30default_config_static_selectorELNS0_4arch9wavefront6targetE1EEEvSM_
		.amdhsa_group_segment_fixed_size 0
		.amdhsa_private_segment_fixed_size 0
		.amdhsa_kernarg_size 64
		.amdhsa_user_sgpr_count 2
		.amdhsa_user_sgpr_dispatch_ptr 0
		.amdhsa_user_sgpr_queue_ptr 0
		.amdhsa_user_sgpr_kernarg_segment_ptr 1
		.amdhsa_user_sgpr_dispatch_id 0
		.amdhsa_user_sgpr_kernarg_preload_length 0
		.amdhsa_user_sgpr_kernarg_preload_offset 0
		.amdhsa_user_sgpr_private_segment_size 0
		.amdhsa_uses_dynamic_stack 0
		.amdhsa_enable_private_segment 0
		.amdhsa_system_sgpr_workgroup_id_x 1
		.amdhsa_system_sgpr_workgroup_id_y 0
		.amdhsa_system_sgpr_workgroup_id_z 0
		.amdhsa_system_sgpr_workgroup_info 0
		.amdhsa_system_vgpr_workitem_id 0
		.amdhsa_next_free_vgpr 1
		.amdhsa_next_free_sgpr 0
		.amdhsa_accum_offset 4
		.amdhsa_reserve_vcc 0
		.amdhsa_float_round_mode_32 0
		.amdhsa_float_round_mode_16_64 0
		.amdhsa_float_denorm_mode_32 3
		.amdhsa_float_denorm_mode_16_64 3
		.amdhsa_dx10_clamp 1
		.amdhsa_ieee_mode 1
		.amdhsa_fp16_overflow 0
		.amdhsa_tg_split 0
		.amdhsa_exception_fp_ieee_invalid_op 0
		.amdhsa_exception_fp_denorm_src 0
		.amdhsa_exception_fp_ieee_div_zero 0
		.amdhsa_exception_fp_ieee_overflow 0
		.amdhsa_exception_fp_ieee_underflow 0
		.amdhsa_exception_fp_ieee_inexact 0
		.amdhsa_exception_int_div_zero 0
	.end_amdhsa_kernel
	.section	.text._ZN7rocprim17ROCPRIM_400000_NS6detail17trampoline_kernelINS0_14default_configENS1_22reduce_config_selectorIlEEZNS1_11reduce_implILb1ES3_PlS7_lN6hipcub16HIPCUB_304000_NS6detail34convert_binary_result_type_wrapperINS9_3SumENS9_22TransformInputIteratorIb7NonZeroIaEPalEElEEEE10hipError_tPvRmT1_T2_T3_mT4_P12ihipStream_tbEUlT_E0_NS1_11comp_targetILNS1_3genE3ELNS1_11target_archE908ELNS1_3gpuE7ELNS1_3repE0EEENS1_30default_config_static_selectorELNS0_4arch9wavefront6targetE1EEEvSM_,"axG",@progbits,_ZN7rocprim17ROCPRIM_400000_NS6detail17trampoline_kernelINS0_14default_configENS1_22reduce_config_selectorIlEEZNS1_11reduce_implILb1ES3_PlS7_lN6hipcub16HIPCUB_304000_NS6detail34convert_binary_result_type_wrapperINS9_3SumENS9_22TransformInputIteratorIb7NonZeroIaEPalEElEEEE10hipError_tPvRmT1_T2_T3_mT4_P12ihipStream_tbEUlT_E0_NS1_11comp_targetILNS1_3genE3ELNS1_11target_archE908ELNS1_3gpuE7ELNS1_3repE0EEENS1_30default_config_static_selectorELNS0_4arch9wavefront6targetE1EEEvSM_,comdat
.Lfunc_end3:
	.size	_ZN7rocprim17ROCPRIM_400000_NS6detail17trampoline_kernelINS0_14default_configENS1_22reduce_config_selectorIlEEZNS1_11reduce_implILb1ES3_PlS7_lN6hipcub16HIPCUB_304000_NS6detail34convert_binary_result_type_wrapperINS9_3SumENS9_22TransformInputIteratorIb7NonZeroIaEPalEElEEEE10hipError_tPvRmT1_T2_T3_mT4_P12ihipStream_tbEUlT_E0_NS1_11comp_targetILNS1_3genE3ELNS1_11target_archE908ELNS1_3gpuE7ELNS1_3repE0EEENS1_30default_config_static_selectorELNS0_4arch9wavefront6targetE1EEEvSM_, .Lfunc_end3-_ZN7rocprim17ROCPRIM_400000_NS6detail17trampoline_kernelINS0_14default_configENS1_22reduce_config_selectorIlEEZNS1_11reduce_implILb1ES3_PlS7_lN6hipcub16HIPCUB_304000_NS6detail34convert_binary_result_type_wrapperINS9_3SumENS9_22TransformInputIteratorIb7NonZeroIaEPalEElEEEE10hipError_tPvRmT1_T2_T3_mT4_P12ihipStream_tbEUlT_E0_NS1_11comp_targetILNS1_3genE3ELNS1_11target_archE908ELNS1_3gpuE7ELNS1_3repE0EEENS1_30default_config_static_selectorELNS0_4arch9wavefront6targetE1EEEvSM_
                                        ; -- End function
	.set _ZN7rocprim17ROCPRIM_400000_NS6detail17trampoline_kernelINS0_14default_configENS1_22reduce_config_selectorIlEEZNS1_11reduce_implILb1ES3_PlS7_lN6hipcub16HIPCUB_304000_NS6detail34convert_binary_result_type_wrapperINS9_3SumENS9_22TransformInputIteratorIb7NonZeroIaEPalEElEEEE10hipError_tPvRmT1_T2_T3_mT4_P12ihipStream_tbEUlT_E0_NS1_11comp_targetILNS1_3genE3ELNS1_11target_archE908ELNS1_3gpuE7ELNS1_3repE0EEENS1_30default_config_static_selectorELNS0_4arch9wavefront6targetE1EEEvSM_.num_vgpr, 0
	.set _ZN7rocprim17ROCPRIM_400000_NS6detail17trampoline_kernelINS0_14default_configENS1_22reduce_config_selectorIlEEZNS1_11reduce_implILb1ES3_PlS7_lN6hipcub16HIPCUB_304000_NS6detail34convert_binary_result_type_wrapperINS9_3SumENS9_22TransformInputIteratorIb7NonZeroIaEPalEElEEEE10hipError_tPvRmT1_T2_T3_mT4_P12ihipStream_tbEUlT_E0_NS1_11comp_targetILNS1_3genE3ELNS1_11target_archE908ELNS1_3gpuE7ELNS1_3repE0EEENS1_30default_config_static_selectorELNS0_4arch9wavefront6targetE1EEEvSM_.num_agpr, 0
	.set _ZN7rocprim17ROCPRIM_400000_NS6detail17trampoline_kernelINS0_14default_configENS1_22reduce_config_selectorIlEEZNS1_11reduce_implILb1ES3_PlS7_lN6hipcub16HIPCUB_304000_NS6detail34convert_binary_result_type_wrapperINS9_3SumENS9_22TransformInputIteratorIb7NonZeroIaEPalEElEEEE10hipError_tPvRmT1_T2_T3_mT4_P12ihipStream_tbEUlT_E0_NS1_11comp_targetILNS1_3genE3ELNS1_11target_archE908ELNS1_3gpuE7ELNS1_3repE0EEENS1_30default_config_static_selectorELNS0_4arch9wavefront6targetE1EEEvSM_.numbered_sgpr, 0
	.set _ZN7rocprim17ROCPRIM_400000_NS6detail17trampoline_kernelINS0_14default_configENS1_22reduce_config_selectorIlEEZNS1_11reduce_implILb1ES3_PlS7_lN6hipcub16HIPCUB_304000_NS6detail34convert_binary_result_type_wrapperINS9_3SumENS9_22TransformInputIteratorIb7NonZeroIaEPalEElEEEE10hipError_tPvRmT1_T2_T3_mT4_P12ihipStream_tbEUlT_E0_NS1_11comp_targetILNS1_3genE3ELNS1_11target_archE908ELNS1_3gpuE7ELNS1_3repE0EEENS1_30default_config_static_selectorELNS0_4arch9wavefront6targetE1EEEvSM_.num_named_barrier, 0
	.set _ZN7rocprim17ROCPRIM_400000_NS6detail17trampoline_kernelINS0_14default_configENS1_22reduce_config_selectorIlEEZNS1_11reduce_implILb1ES3_PlS7_lN6hipcub16HIPCUB_304000_NS6detail34convert_binary_result_type_wrapperINS9_3SumENS9_22TransformInputIteratorIb7NonZeroIaEPalEElEEEE10hipError_tPvRmT1_T2_T3_mT4_P12ihipStream_tbEUlT_E0_NS1_11comp_targetILNS1_3genE3ELNS1_11target_archE908ELNS1_3gpuE7ELNS1_3repE0EEENS1_30default_config_static_selectorELNS0_4arch9wavefront6targetE1EEEvSM_.private_seg_size, 0
	.set _ZN7rocprim17ROCPRIM_400000_NS6detail17trampoline_kernelINS0_14default_configENS1_22reduce_config_selectorIlEEZNS1_11reduce_implILb1ES3_PlS7_lN6hipcub16HIPCUB_304000_NS6detail34convert_binary_result_type_wrapperINS9_3SumENS9_22TransformInputIteratorIb7NonZeroIaEPalEElEEEE10hipError_tPvRmT1_T2_T3_mT4_P12ihipStream_tbEUlT_E0_NS1_11comp_targetILNS1_3genE3ELNS1_11target_archE908ELNS1_3gpuE7ELNS1_3repE0EEENS1_30default_config_static_selectorELNS0_4arch9wavefront6targetE1EEEvSM_.uses_vcc, 0
	.set _ZN7rocprim17ROCPRIM_400000_NS6detail17trampoline_kernelINS0_14default_configENS1_22reduce_config_selectorIlEEZNS1_11reduce_implILb1ES3_PlS7_lN6hipcub16HIPCUB_304000_NS6detail34convert_binary_result_type_wrapperINS9_3SumENS9_22TransformInputIteratorIb7NonZeroIaEPalEElEEEE10hipError_tPvRmT1_T2_T3_mT4_P12ihipStream_tbEUlT_E0_NS1_11comp_targetILNS1_3genE3ELNS1_11target_archE908ELNS1_3gpuE7ELNS1_3repE0EEENS1_30default_config_static_selectorELNS0_4arch9wavefront6targetE1EEEvSM_.uses_flat_scratch, 0
	.set _ZN7rocprim17ROCPRIM_400000_NS6detail17trampoline_kernelINS0_14default_configENS1_22reduce_config_selectorIlEEZNS1_11reduce_implILb1ES3_PlS7_lN6hipcub16HIPCUB_304000_NS6detail34convert_binary_result_type_wrapperINS9_3SumENS9_22TransformInputIteratorIb7NonZeroIaEPalEElEEEE10hipError_tPvRmT1_T2_T3_mT4_P12ihipStream_tbEUlT_E0_NS1_11comp_targetILNS1_3genE3ELNS1_11target_archE908ELNS1_3gpuE7ELNS1_3repE0EEENS1_30default_config_static_selectorELNS0_4arch9wavefront6targetE1EEEvSM_.has_dyn_sized_stack, 0
	.set _ZN7rocprim17ROCPRIM_400000_NS6detail17trampoline_kernelINS0_14default_configENS1_22reduce_config_selectorIlEEZNS1_11reduce_implILb1ES3_PlS7_lN6hipcub16HIPCUB_304000_NS6detail34convert_binary_result_type_wrapperINS9_3SumENS9_22TransformInputIteratorIb7NonZeroIaEPalEElEEEE10hipError_tPvRmT1_T2_T3_mT4_P12ihipStream_tbEUlT_E0_NS1_11comp_targetILNS1_3genE3ELNS1_11target_archE908ELNS1_3gpuE7ELNS1_3repE0EEENS1_30default_config_static_selectorELNS0_4arch9wavefront6targetE1EEEvSM_.has_recursion, 0
	.set _ZN7rocprim17ROCPRIM_400000_NS6detail17trampoline_kernelINS0_14default_configENS1_22reduce_config_selectorIlEEZNS1_11reduce_implILb1ES3_PlS7_lN6hipcub16HIPCUB_304000_NS6detail34convert_binary_result_type_wrapperINS9_3SumENS9_22TransformInputIteratorIb7NonZeroIaEPalEElEEEE10hipError_tPvRmT1_T2_T3_mT4_P12ihipStream_tbEUlT_E0_NS1_11comp_targetILNS1_3genE3ELNS1_11target_archE908ELNS1_3gpuE7ELNS1_3repE0EEENS1_30default_config_static_selectorELNS0_4arch9wavefront6targetE1EEEvSM_.has_indirect_call, 0
	.section	.AMDGPU.csdata,"",@progbits
; Kernel info:
; codeLenInByte = 0
; TotalNumSgprs: 6
; NumVgprs: 0
; NumAgprs: 0
; TotalNumVgprs: 0
; ScratchSize: 0
; MemoryBound: 0
; FloatMode: 240
; IeeeMode: 1
; LDSByteSize: 0 bytes/workgroup (compile time only)
; SGPRBlocks: 0
; VGPRBlocks: 0
; NumSGPRsForWavesPerEU: 6
; NumVGPRsForWavesPerEU: 1
; AccumOffset: 4
; Occupancy: 8
; WaveLimiterHint : 0
; COMPUTE_PGM_RSRC2:SCRATCH_EN: 0
; COMPUTE_PGM_RSRC2:USER_SGPR: 2
; COMPUTE_PGM_RSRC2:TRAP_HANDLER: 0
; COMPUTE_PGM_RSRC2:TGID_X_EN: 1
; COMPUTE_PGM_RSRC2:TGID_Y_EN: 0
; COMPUTE_PGM_RSRC2:TGID_Z_EN: 0
; COMPUTE_PGM_RSRC2:TIDIG_COMP_CNT: 0
; COMPUTE_PGM_RSRC3_GFX90A:ACCUM_OFFSET: 0
; COMPUTE_PGM_RSRC3_GFX90A:TG_SPLIT: 0
	.section	.text._ZN7rocprim17ROCPRIM_400000_NS6detail17trampoline_kernelINS0_14default_configENS1_22reduce_config_selectorIlEEZNS1_11reduce_implILb1ES3_PlS7_lN6hipcub16HIPCUB_304000_NS6detail34convert_binary_result_type_wrapperINS9_3SumENS9_22TransformInputIteratorIb7NonZeroIaEPalEElEEEE10hipError_tPvRmT1_T2_T3_mT4_P12ihipStream_tbEUlT_E0_NS1_11comp_targetILNS1_3genE2ELNS1_11target_archE906ELNS1_3gpuE6ELNS1_3repE0EEENS1_30default_config_static_selectorELNS0_4arch9wavefront6targetE1EEEvSM_,"axG",@progbits,_ZN7rocprim17ROCPRIM_400000_NS6detail17trampoline_kernelINS0_14default_configENS1_22reduce_config_selectorIlEEZNS1_11reduce_implILb1ES3_PlS7_lN6hipcub16HIPCUB_304000_NS6detail34convert_binary_result_type_wrapperINS9_3SumENS9_22TransformInputIteratorIb7NonZeroIaEPalEElEEEE10hipError_tPvRmT1_T2_T3_mT4_P12ihipStream_tbEUlT_E0_NS1_11comp_targetILNS1_3genE2ELNS1_11target_archE906ELNS1_3gpuE6ELNS1_3repE0EEENS1_30default_config_static_selectorELNS0_4arch9wavefront6targetE1EEEvSM_,comdat
	.protected	_ZN7rocprim17ROCPRIM_400000_NS6detail17trampoline_kernelINS0_14default_configENS1_22reduce_config_selectorIlEEZNS1_11reduce_implILb1ES3_PlS7_lN6hipcub16HIPCUB_304000_NS6detail34convert_binary_result_type_wrapperINS9_3SumENS9_22TransformInputIteratorIb7NonZeroIaEPalEElEEEE10hipError_tPvRmT1_T2_T3_mT4_P12ihipStream_tbEUlT_E0_NS1_11comp_targetILNS1_3genE2ELNS1_11target_archE906ELNS1_3gpuE6ELNS1_3repE0EEENS1_30default_config_static_selectorELNS0_4arch9wavefront6targetE1EEEvSM_ ; -- Begin function _ZN7rocprim17ROCPRIM_400000_NS6detail17trampoline_kernelINS0_14default_configENS1_22reduce_config_selectorIlEEZNS1_11reduce_implILb1ES3_PlS7_lN6hipcub16HIPCUB_304000_NS6detail34convert_binary_result_type_wrapperINS9_3SumENS9_22TransformInputIteratorIb7NonZeroIaEPalEElEEEE10hipError_tPvRmT1_T2_T3_mT4_P12ihipStream_tbEUlT_E0_NS1_11comp_targetILNS1_3genE2ELNS1_11target_archE906ELNS1_3gpuE6ELNS1_3repE0EEENS1_30default_config_static_selectorELNS0_4arch9wavefront6targetE1EEEvSM_
	.globl	_ZN7rocprim17ROCPRIM_400000_NS6detail17trampoline_kernelINS0_14default_configENS1_22reduce_config_selectorIlEEZNS1_11reduce_implILb1ES3_PlS7_lN6hipcub16HIPCUB_304000_NS6detail34convert_binary_result_type_wrapperINS9_3SumENS9_22TransformInputIteratorIb7NonZeroIaEPalEElEEEE10hipError_tPvRmT1_T2_T3_mT4_P12ihipStream_tbEUlT_E0_NS1_11comp_targetILNS1_3genE2ELNS1_11target_archE906ELNS1_3gpuE6ELNS1_3repE0EEENS1_30default_config_static_selectorELNS0_4arch9wavefront6targetE1EEEvSM_
	.p2align	8
	.type	_ZN7rocprim17ROCPRIM_400000_NS6detail17trampoline_kernelINS0_14default_configENS1_22reduce_config_selectorIlEEZNS1_11reduce_implILb1ES3_PlS7_lN6hipcub16HIPCUB_304000_NS6detail34convert_binary_result_type_wrapperINS9_3SumENS9_22TransformInputIteratorIb7NonZeroIaEPalEElEEEE10hipError_tPvRmT1_T2_T3_mT4_P12ihipStream_tbEUlT_E0_NS1_11comp_targetILNS1_3genE2ELNS1_11target_archE906ELNS1_3gpuE6ELNS1_3repE0EEENS1_30default_config_static_selectorELNS0_4arch9wavefront6targetE1EEEvSM_,@function
_ZN7rocprim17ROCPRIM_400000_NS6detail17trampoline_kernelINS0_14default_configENS1_22reduce_config_selectorIlEEZNS1_11reduce_implILb1ES3_PlS7_lN6hipcub16HIPCUB_304000_NS6detail34convert_binary_result_type_wrapperINS9_3SumENS9_22TransformInputIteratorIb7NonZeroIaEPalEElEEEE10hipError_tPvRmT1_T2_T3_mT4_P12ihipStream_tbEUlT_E0_NS1_11comp_targetILNS1_3genE2ELNS1_11target_archE906ELNS1_3gpuE6ELNS1_3repE0EEENS1_30default_config_static_selectorELNS0_4arch9wavefront6targetE1EEEvSM_: ; @_ZN7rocprim17ROCPRIM_400000_NS6detail17trampoline_kernelINS0_14default_configENS1_22reduce_config_selectorIlEEZNS1_11reduce_implILb1ES3_PlS7_lN6hipcub16HIPCUB_304000_NS6detail34convert_binary_result_type_wrapperINS9_3SumENS9_22TransformInputIteratorIb7NonZeroIaEPalEElEEEE10hipError_tPvRmT1_T2_T3_mT4_P12ihipStream_tbEUlT_E0_NS1_11comp_targetILNS1_3genE2ELNS1_11target_archE906ELNS1_3gpuE6ELNS1_3repE0EEENS1_30default_config_static_selectorELNS0_4arch9wavefront6targetE1EEEvSM_
; %bb.0:
	.section	.rodata,"a",@progbits
	.p2align	6, 0x0
	.amdhsa_kernel _ZN7rocprim17ROCPRIM_400000_NS6detail17trampoline_kernelINS0_14default_configENS1_22reduce_config_selectorIlEEZNS1_11reduce_implILb1ES3_PlS7_lN6hipcub16HIPCUB_304000_NS6detail34convert_binary_result_type_wrapperINS9_3SumENS9_22TransformInputIteratorIb7NonZeroIaEPalEElEEEE10hipError_tPvRmT1_T2_T3_mT4_P12ihipStream_tbEUlT_E0_NS1_11comp_targetILNS1_3genE2ELNS1_11target_archE906ELNS1_3gpuE6ELNS1_3repE0EEENS1_30default_config_static_selectorELNS0_4arch9wavefront6targetE1EEEvSM_
		.amdhsa_group_segment_fixed_size 0
		.amdhsa_private_segment_fixed_size 0
		.amdhsa_kernarg_size 64
		.amdhsa_user_sgpr_count 2
		.amdhsa_user_sgpr_dispatch_ptr 0
		.amdhsa_user_sgpr_queue_ptr 0
		.amdhsa_user_sgpr_kernarg_segment_ptr 1
		.amdhsa_user_sgpr_dispatch_id 0
		.amdhsa_user_sgpr_kernarg_preload_length 0
		.amdhsa_user_sgpr_kernarg_preload_offset 0
		.amdhsa_user_sgpr_private_segment_size 0
		.amdhsa_uses_dynamic_stack 0
		.amdhsa_enable_private_segment 0
		.amdhsa_system_sgpr_workgroup_id_x 1
		.amdhsa_system_sgpr_workgroup_id_y 0
		.amdhsa_system_sgpr_workgroup_id_z 0
		.amdhsa_system_sgpr_workgroup_info 0
		.amdhsa_system_vgpr_workitem_id 0
		.amdhsa_next_free_vgpr 1
		.amdhsa_next_free_sgpr 0
		.amdhsa_accum_offset 4
		.amdhsa_reserve_vcc 0
		.amdhsa_float_round_mode_32 0
		.amdhsa_float_round_mode_16_64 0
		.amdhsa_float_denorm_mode_32 3
		.amdhsa_float_denorm_mode_16_64 3
		.amdhsa_dx10_clamp 1
		.amdhsa_ieee_mode 1
		.amdhsa_fp16_overflow 0
		.amdhsa_tg_split 0
		.amdhsa_exception_fp_ieee_invalid_op 0
		.amdhsa_exception_fp_denorm_src 0
		.amdhsa_exception_fp_ieee_div_zero 0
		.amdhsa_exception_fp_ieee_overflow 0
		.amdhsa_exception_fp_ieee_underflow 0
		.amdhsa_exception_fp_ieee_inexact 0
		.amdhsa_exception_int_div_zero 0
	.end_amdhsa_kernel
	.section	.text._ZN7rocprim17ROCPRIM_400000_NS6detail17trampoline_kernelINS0_14default_configENS1_22reduce_config_selectorIlEEZNS1_11reduce_implILb1ES3_PlS7_lN6hipcub16HIPCUB_304000_NS6detail34convert_binary_result_type_wrapperINS9_3SumENS9_22TransformInputIteratorIb7NonZeroIaEPalEElEEEE10hipError_tPvRmT1_T2_T3_mT4_P12ihipStream_tbEUlT_E0_NS1_11comp_targetILNS1_3genE2ELNS1_11target_archE906ELNS1_3gpuE6ELNS1_3repE0EEENS1_30default_config_static_selectorELNS0_4arch9wavefront6targetE1EEEvSM_,"axG",@progbits,_ZN7rocprim17ROCPRIM_400000_NS6detail17trampoline_kernelINS0_14default_configENS1_22reduce_config_selectorIlEEZNS1_11reduce_implILb1ES3_PlS7_lN6hipcub16HIPCUB_304000_NS6detail34convert_binary_result_type_wrapperINS9_3SumENS9_22TransformInputIteratorIb7NonZeroIaEPalEElEEEE10hipError_tPvRmT1_T2_T3_mT4_P12ihipStream_tbEUlT_E0_NS1_11comp_targetILNS1_3genE2ELNS1_11target_archE906ELNS1_3gpuE6ELNS1_3repE0EEENS1_30default_config_static_selectorELNS0_4arch9wavefront6targetE1EEEvSM_,comdat
.Lfunc_end4:
	.size	_ZN7rocprim17ROCPRIM_400000_NS6detail17trampoline_kernelINS0_14default_configENS1_22reduce_config_selectorIlEEZNS1_11reduce_implILb1ES3_PlS7_lN6hipcub16HIPCUB_304000_NS6detail34convert_binary_result_type_wrapperINS9_3SumENS9_22TransformInputIteratorIb7NonZeroIaEPalEElEEEE10hipError_tPvRmT1_T2_T3_mT4_P12ihipStream_tbEUlT_E0_NS1_11comp_targetILNS1_3genE2ELNS1_11target_archE906ELNS1_3gpuE6ELNS1_3repE0EEENS1_30default_config_static_selectorELNS0_4arch9wavefront6targetE1EEEvSM_, .Lfunc_end4-_ZN7rocprim17ROCPRIM_400000_NS6detail17trampoline_kernelINS0_14default_configENS1_22reduce_config_selectorIlEEZNS1_11reduce_implILb1ES3_PlS7_lN6hipcub16HIPCUB_304000_NS6detail34convert_binary_result_type_wrapperINS9_3SumENS9_22TransformInputIteratorIb7NonZeroIaEPalEElEEEE10hipError_tPvRmT1_T2_T3_mT4_P12ihipStream_tbEUlT_E0_NS1_11comp_targetILNS1_3genE2ELNS1_11target_archE906ELNS1_3gpuE6ELNS1_3repE0EEENS1_30default_config_static_selectorELNS0_4arch9wavefront6targetE1EEEvSM_
                                        ; -- End function
	.set _ZN7rocprim17ROCPRIM_400000_NS6detail17trampoline_kernelINS0_14default_configENS1_22reduce_config_selectorIlEEZNS1_11reduce_implILb1ES3_PlS7_lN6hipcub16HIPCUB_304000_NS6detail34convert_binary_result_type_wrapperINS9_3SumENS9_22TransformInputIteratorIb7NonZeroIaEPalEElEEEE10hipError_tPvRmT1_T2_T3_mT4_P12ihipStream_tbEUlT_E0_NS1_11comp_targetILNS1_3genE2ELNS1_11target_archE906ELNS1_3gpuE6ELNS1_3repE0EEENS1_30default_config_static_selectorELNS0_4arch9wavefront6targetE1EEEvSM_.num_vgpr, 0
	.set _ZN7rocprim17ROCPRIM_400000_NS6detail17trampoline_kernelINS0_14default_configENS1_22reduce_config_selectorIlEEZNS1_11reduce_implILb1ES3_PlS7_lN6hipcub16HIPCUB_304000_NS6detail34convert_binary_result_type_wrapperINS9_3SumENS9_22TransformInputIteratorIb7NonZeroIaEPalEElEEEE10hipError_tPvRmT1_T2_T3_mT4_P12ihipStream_tbEUlT_E0_NS1_11comp_targetILNS1_3genE2ELNS1_11target_archE906ELNS1_3gpuE6ELNS1_3repE0EEENS1_30default_config_static_selectorELNS0_4arch9wavefront6targetE1EEEvSM_.num_agpr, 0
	.set _ZN7rocprim17ROCPRIM_400000_NS6detail17trampoline_kernelINS0_14default_configENS1_22reduce_config_selectorIlEEZNS1_11reduce_implILb1ES3_PlS7_lN6hipcub16HIPCUB_304000_NS6detail34convert_binary_result_type_wrapperINS9_3SumENS9_22TransformInputIteratorIb7NonZeroIaEPalEElEEEE10hipError_tPvRmT1_T2_T3_mT4_P12ihipStream_tbEUlT_E0_NS1_11comp_targetILNS1_3genE2ELNS1_11target_archE906ELNS1_3gpuE6ELNS1_3repE0EEENS1_30default_config_static_selectorELNS0_4arch9wavefront6targetE1EEEvSM_.numbered_sgpr, 0
	.set _ZN7rocprim17ROCPRIM_400000_NS6detail17trampoline_kernelINS0_14default_configENS1_22reduce_config_selectorIlEEZNS1_11reduce_implILb1ES3_PlS7_lN6hipcub16HIPCUB_304000_NS6detail34convert_binary_result_type_wrapperINS9_3SumENS9_22TransformInputIteratorIb7NonZeroIaEPalEElEEEE10hipError_tPvRmT1_T2_T3_mT4_P12ihipStream_tbEUlT_E0_NS1_11comp_targetILNS1_3genE2ELNS1_11target_archE906ELNS1_3gpuE6ELNS1_3repE0EEENS1_30default_config_static_selectorELNS0_4arch9wavefront6targetE1EEEvSM_.num_named_barrier, 0
	.set _ZN7rocprim17ROCPRIM_400000_NS6detail17trampoline_kernelINS0_14default_configENS1_22reduce_config_selectorIlEEZNS1_11reduce_implILb1ES3_PlS7_lN6hipcub16HIPCUB_304000_NS6detail34convert_binary_result_type_wrapperINS9_3SumENS9_22TransformInputIteratorIb7NonZeroIaEPalEElEEEE10hipError_tPvRmT1_T2_T3_mT4_P12ihipStream_tbEUlT_E0_NS1_11comp_targetILNS1_3genE2ELNS1_11target_archE906ELNS1_3gpuE6ELNS1_3repE0EEENS1_30default_config_static_selectorELNS0_4arch9wavefront6targetE1EEEvSM_.private_seg_size, 0
	.set _ZN7rocprim17ROCPRIM_400000_NS6detail17trampoline_kernelINS0_14default_configENS1_22reduce_config_selectorIlEEZNS1_11reduce_implILb1ES3_PlS7_lN6hipcub16HIPCUB_304000_NS6detail34convert_binary_result_type_wrapperINS9_3SumENS9_22TransformInputIteratorIb7NonZeroIaEPalEElEEEE10hipError_tPvRmT1_T2_T3_mT4_P12ihipStream_tbEUlT_E0_NS1_11comp_targetILNS1_3genE2ELNS1_11target_archE906ELNS1_3gpuE6ELNS1_3repE0EEENS1_30default_config_static_selectorELNS0_4arch9wavefront6targetE1EEEvSM_.uses_vcc, 0
	.set _ZN7rocprim17ROCPRIM_400000_NS6detail17trampoline_kernelINS0_14default_configENS1_22reduce_config_selectorIlEEZNS1_11reduce_implILb1ES3_PlS7_lN6hipcub16HIPCUB_304000_NS6detail34convert_binary_result_type_wrapperINS9_3SumENS9_22TransformInputIteratorIb7NonZeroIaEPalEElEEEE10hipError_tPvRmT1_T2_T3_mT4_P12ihipStream_tbEUlT_E0_NS1_11comp_targetILNS1_3genE2ELNS1_11target_archE906ELNS1_3gpuE6ELNS1_3repE0EEENS1_30default_config_static_selectorELNS0_4arch9wavefront6targetE1EEEvSM_.uses_flat_scratch, 0
	.set _ZN7rocprim17ROCPRIM_400000_NS6detail17trampoline_kernelINS0_14default_configENS1_22reduce_config_selectorIlEEZNS1_11reduce_implILb1ES3_PlS7_lN6hipcub16HIPCUB_304000_NS6detail34convert_binary_result_type_wrapperINS9_3SumENS9_22TransformInputIteratorIb7NonZeroIaEPalEElEEEE10hipError_tPvRmT1_T2_T3_mT4_P12ihipStream_tbEUlT_E0_NS1_11comp_targetILNS1_3genE2ELNS1_11target_archE906ELNS1_3gpuE6ELNS1_3repE0EEENS1_30default_config_static_selectorELNS0_4arch9wavefront6targetE1EEEvSM_.has_dyn_sized_stack, 0
	.set _ZN7rocprim17ROCPRIM_400000_NS6detail17trampoline_kernelINS0_14default_configENS1_22reduce_config_selectorIlEEZNS1_11reduce_implILb1ES3_PlS7_lN6hipcub16HIPCUB_304000_NS6detail34convert_binary_result_type_wrapperINS9_3SumENS9_22TransformInputIteratorIb7NonZeroIaEPalEElEEEE10hipError_tPvRmT1_T2_T3_mT4_P12ihipStream_tbEUlT_E0_NS1_11comp_targetILNS1_3genE2ELNS1_11target_archE906ELNS1_3gpuE6ELNS1_3repE0EEENS1_30default_config_static_selectorELNS0_4arch9wavefront6targetE1EEEvSM_.has_recursion, 0
	.set _ZN7rocprim17ROCPRIM_400000_NS6detail17trampoline_kernelINS0_14default_configENS1_22reduce_config_selectorIlEEZNS1_11reduce_implILb1ES3_PlS7_lN6hipcub16HIPCUB_304000_NS6detail34convert_binary_result_type_wrapperINS9_3SumENS9_22TransformInputIteratorIb7NonZeroIaEPalEElEEEE10hipError_tPvRmT1_T2_T3_mT4_P12ihipStream_tbEUlT_E0_NS1_11comp_targetILNS1_3genE2ELNS1_11target_archE906ELNS1_3gpuE6ELNS1_3repE0EEENS1_30default_config_static_selectorELNS0_4arch9wavefront6targetE1EEEvSM_.has_indirect_call, 0
	.section	.AMDGPU.csdata,"",@progbits
; Kernel info:
; codeLenInByte = 0
; TotalNumSgprs: 6
; NumVgprs: 0
; NumAgprs: 0
; TotalNumVgprs: 0
; ScratchSize: 0
; MemoryBound: 0
; FloatMode: 240
; IeeeMode: 1
; LDSByteSize: 0 bytes/workgroup (compile time only)
; SGPRBlocks: 0
; VGPRBlocks: 0
; NumSGPRsForWavesPerEU: 6
; NumVGPRsForWavesPerEU: 1
; AccumOffset: 4
; Occupancy: 8
; WaveLimiterHint : 0
; COMPUTE_PGM_RSRC2:SCRATCH_EN: 0
; COMPUTE_PGM_RSRC2:USER_SGPR: 2
; COMPUTE_PGM_RSRC2:TRAP_HANDLER: 0
; COMPUTE_PGM_RSRC2:TGID_X_EN: 1
; COMPUTE_PGM_RSRC2:TGID_Y_EN: 0
; COMPUTE_PGM_RSRC2:TGID_Z_EN: 0
; COMPUTE_PGM_RSRC2:TIDIG_COMP_CNT: 0
; COMPUTE_PGM_RSRC3_GFX90A:ACCUM_OFFSET: 0
; COMPUTE_PGM_RSRC3_GFX90A:TG_SPLIT: 0
	.section	.text._ZN7rocprim17ROCPRIM_400000_NS6detail17trampoline_kernelINS0_14default_configENS1_22reduce_config_selectorIlEEZNS1_11reduce_implILb1ES3_PlS7_lN6hipcub16HIPCUB_304000_NS6detail34convert_binary_result_type_wrapperINS9_3SumENS9_22TransformInputIteratorIb7NonZeroIaEPalEElEEEE10hipError_tPvRmT1_T2_T3_mT4_P12ihipStream_tbEUlT_E0_NS1_11comp_targetILNS1_3genE10ELNS1_11target_archE1201ELNS1_3gpuE5ELNS1_3repE0EEENS1_30default_config_static_selectorELNS0_4arch9wavefront6targetE1EEEvSM_,"axG",@progbits,_ZN7rocprim17ROCPRIM_400000_NS6detail17trampoline_kernelINS0_14default_configENS1_22reduce_config_selectorIlEEZNS1_11reduce_implILb1ES3_PlS7_lN6hipcub16HIPCUB_304000_NS6detail34convert_binary_result_type_wrapperINS9_3SumENS9_22TransformInputIteratorIb7NonZeroIaEPalEElEEEE10hipError_tPvRmT1_T2_T3_mT4_P12ihipStream_tbEUlT_E0_NS1_11comp_targetILNS1_3genE10ELNS1_11target_archE1201ELNS1_3gpuE5ELNS1_3repE0EEENS1_30default_config_static_selectorELNS0_4arch9wavefront6targetE1EEEvSM_,comdat
	.protected	_ZN7rocprim17ROCPRIM_400000_NS6detail17trampoline_kernelINS0_14default_configENS1_22reduce_config_selectorIlEEZNS1_11reduce_implILb1ES3_PlS7_lN6hipcub16HIPCUB_304000_NS6detail34convert_binary_result_type_wrapperINS9_3SumENS9_22TransformInputIteratorIb7NonZeroIaEPalEElEEEE10hipError_tPvRmT1_T2_T3_mT4_P12ihipStream_tbEUlT_E0_NS1_11comp_targetILNS1_3genE10ELNS1_11target_archE1201ELNS1_3gpuE5ELNS1_3repE0EEENS1_30default_config_static_selectorELNS0_4arch9wavefront6targetE1EEEvSM_ ; -- Begin function _ZN7rocprim17ROCPRIM_400000_NS6detail17trampoline_kernelINS0_14default_configENS1_22reduce_config_selectorIlEEZNS1_11reduce_implILb1ES3_PlS7_lN6hipcub16HIPCUB_304000_NS6detail34convert_binary_result_type_wrapperINS9_3SumENS9_22TransformInputIteratorIb7NonZeroIaEPalEElEEEE10hipError_tPvRmT1_T2_T3_mT4_P12ihipStream_tbEUlT_E0_NS1_11comp_targetILNS1_3genE10ELNS1_11target_archE1201ELNS1_3gpuE5ELNS1_3repE0EEENS1_30default_config_static_selectorELNS0_4arch9wavefront6targetE1EEEvSM_
	.globl	_ZN7rocprim17ROCPRIM_400000_NS6detail17trampoline_kernelINS0_14default_configENS1_22reduce_config_selectorIlEEZNS1_11reduce_implILb1ES3_PlS7_lN6hipcub16HIPCUB_304000_NS6detail34convert_binary_result_type_wrapperINS9_3SumENS9_22TransformInputIteratorIb7NonZeroIaEPalEElEEEE10hipError_tPvRmT1_T2_T3_mT4_P12ihipStream_tbEUlT_E0_NS1_11comp_targetILNS1_3genE10ELNS1_11target_archE1201ELNS1_3gpuE5ELNS1_3repE0EEENS1_30default_config_static_selectorELNS0_4arch9wavefront6targetE1EEEvSM_
	.p2align	8
	.type	_ZN7rocprim17ROCPRIM_400000_NS6detail17trampoline_kernelINS0_14default_configENS1_22reduce_config_selectorIlEEZNS1_11reduce_implILb1ES3_PlS7_lN6hipcub16HIPCUB_304000_NS6detail34convert_binary_result_type_wrapperINS9_3SumENS9_22TransformInputIteratorIb7NonZeroIaEPalEElEEEE10hipError_tPvRmT1_T2_T3_mT4_P12ihipStream_tbEUlT_E0_NS1_11comp_targetILNS1_3genE10ELNS1_11target_archE1201ELNS1_3gpuE5ELNS1_3repE0EEENS1_30default_config_static_selectorELNS0_4arch9wavefront6targetE1EEEvSM_,@function
_ZN7rocprim17ROCPRIM_400000_NS6detail17trampoline_kernelINS0_14default_configENS1_22reduce_config_selectorIlEEZNS1_11reduce_implILb1ES3_PlS7_lN6hipcub16HIPCUB_304000_NS6detail34convert_binary_result_type_wrapperINS9_3SumENS9_22TransformInputIteratorIb7NonZeroIaEPalEElEEEE10hipError_tPvRmT1_T2_T3_mT4_P12ihipStream_tbEUlT_E0_NS1_11comp_targetILNS1_3genE10ELNS1_11target_archE1201ELNS1_3gpuE5ELNS1_3repE0EEENS1_30default_config_static_selectorELNS0_4arch9wavefront6targetE1EEEvSM_: ; @_ZN7rocprim17ROCPRIM_400000_NS6detail17trampoline_kernelINS0_14default_configENS1_22reduce_config_selectorIlEEZNS1_11reduce_implILb1ES3_PlS7_lN6hipcub16HIPCUB_304000_NS6detail34convert_binary_result_type_wrapperINS9_3SumENS9_22TransformInputIteratorIb7NonZeroIaEPalEElEEEE10hipError_tPvRmT1_T2_T3_mT4_P12ihipStream_tbEUlT_E0_NS1_11comp_targetILNS1_3genE10ELNS1_11target_archE1201ELNS1_3gpuE5ELNS1_3repE0EEENS1_30default_config_static_selectorELNS0_4arch9wavefront6targetE1EEEvSM_
; %bb.0:
	.section	.rodata,"a",@progbits
	.p2align	6, 0x0
	.amdhsa_kernel _ZN7rocprim17ROCPRIM_400000_NS6detail17trampoline_kernelINS0_14default_configENS1_22reduce_config_selectorIlEEZNS1_11reduce_implILb1ES3_PlS7_lN6hipcub16HIPCUB_304000_NS6detail34convert_binary_result_type_wrapperINS9_3SumENS9_22TransformInputIteratorIb7NonZeroIaEPalEElEEEE10hipError_tPvRmT1_T2_T3_mT4_P12ihipStream_tbEUlT_E0_NS1_11comp_targetILNS1_3genE10ELNS1_11target_archE1201ELNS1_3gpuE5ELNS1_3repE0EEENS1_30default_config_static_selectorELNS0_4arch9wavefront6targetE1EEEvSM_
		.amdhsa_group_segment_fixed_size 0
		.amdhsa_private_segment_fixed_size 0
		.amdhsa_kernarg_size 64
		.amdhsa_user_sgpr_count 2
		.amdhsa_user_sgpr_dispatch_ptr 0
		.amdhsa_user_sgpr_queue_ptr 0
		.amdhsa_user_sgpr_kernarg_segment_ptr 1
		.amdhsa_user_sgpr_dispatch_id 0
		.amdhsa_user_sgpr_kernarg_preload_length 0
		.amdhsa_user_sgpr_kernarg_preload_offset 0
		.amdhsa_user_sgpr_private_segment_size 0
		.amdhsa_uses_dynamic_stack 0
		.amdhsa_enable_private_segment 0
		.amdhsa_system_sgpr_workgroup_id_x 1
		.amdhsa_system_sgpr_workgroup_id_y 0
		.amdhsa_system_sgpr_workgroup_id_z 0
		.amdhsa_system_sgpr_workgroup_info 0
		.amdhsa_system_vgpr_workitem_id 0
		.amdhsa_next_free_vgpr 1
		.amdhsa_next_free_sgpr 0
		.amdhsa_accum_offset 4
		.amdhsa_reserve_vcc 0
		.amdhsa_float_round_mode_32 0
		.amdhsa_float_round_mode_16_64 0
		.amdhsa_float_denorm_mode_32 3
		.amdhsa_float_denorm_mode_16_64 3
		.amdhsa_dx10_clamp 1
		.amdhsa_ieee_mode 1
		.amdhsa_fp16_overflow 0
		.amdhsa_tg_split 0
		.amdhsa_exception_fp_ieee_invalid_op 0
		.amdhsa_exception_fp_denorm_src 0
		.amdhsa_exception_fp_ieee_div_zero 0
		.amdhsa_exception_fp_ieee_overflow 0
		.amdhsa_exception_fp_ieee_underflow 0
		.amdhsa_exception_fp_ieee_inexact 0
		.amdhsa_exception_int_div_zero 0
	.end_amdhsa_kernel
	.section	.text._ZN7rocprim17ROCPRIM_400000_NS6detail17trampoline_kernelINS0_14default_configENS1_22reduce_config_selectorIlEEZNS1_11reduce_implILb1ES3_PlS7_lN6hipcub16HIPCUB_304000_NS6detail34convert_binary_result_type_wrapperINS9_3SumENS9_22TransformInputIteratorIb7NonZeroIaEPalEElEEEE10hipError_tPvRmT1_T2_T3_mT4_P12ihipStream_tbEUlT_E0_NS1_11comp_targetILNS1_3genE10ELNS1_11target_archE1201ELNS1_3gpuE5ELNS1_3repE0EEENS1_30default_config_static_selectorELNS0_4arch9wavefront6targetE1EEEvSM_,"axG",@progbits,_ZN7rocprim17ROCPRIM_400000_NS6detail17trampoline_kernelINS0_14default_configENS1_22reduce_config_selectorIlEEZNS1_11reduce_implILb1ES3_PlS7_lN6hipcub16HIPCUB_304000_NS6detail34convert_binary_result_type_wrapperINS9_3SumENS9_22TransformInputIteratorIb7NonZeroIaEPalEElEEEE10hipError_tPvRmT1_T2_T3_mT4_P12ihipStream_tbEUlT_E0_NS1_11comp_targetILNS1_3genE10ELNS1_11target_archE1201ELNS1_3gpuE5ELNS1_3repE0EEENS1_30default_config_static_selectorELNS0_4arch9wavefront6targetE1EEEvSM_,comdat
.Lfunc_end5:
	.size	_ZN7rocprim17ROCPRIM_400000_NS6detail17trampoline_kernelINS0_14default_configENS1_22reduce_config_selectorIlEEZNS1_11reduce_implILb1ES3_PlS7_lN6hipcub16HIPCUB_304000_NS6detail34convert_binary_result_type_wrapperINS9_3SumENS9_22TransformInputIteratorIb7NonZeroIaEPalEElEEEE10hipError_tPvRmT1_T2_T3_mT4_P12ihipStream_tbEUlT_E0_NS1_11comp_targetILNS1_3genE10ELNS1_11target_archE1201ELNS1_3gpuE5ELNS1_3repE0EEENS1_30default_config_static_selectorELNS0_4arch9wavefront6targetE1EEEvSM_, .Lfunc_end5-_ZN7rocprim17ROCPRIM_400000_NS6detail17trampoline_kernelINS0_14default_configENS1_22reduce_config_selectorIlEEZNS1_11reduce_implILb1ES3_PlS7_lN6hipcub16HIPCUB_304000_NS6detail34convert_binary_result_type_wrapperINS9_3SumENS9_22TransformInputIteratorIb7NonZeroIaEPalEElEEEE10hipError_tPvRmT1_T2_T3_mT4_P12ihipStream_tbEUlT_E0_NS1_11comp_targetILNS1_3genE10ELNS1_11target_archE1201ELNS1_3gpuE5ELNS1_3repE0EEENS1_30default_config_static_selectorELNS0_4arch9wavefront6targetE1EEEvSM_
                                        ; -- End function
	.set _ZN7rocprim17ROCPRIM_400000_NS6detail17trampoline_kernelINS0_14default_configENS1_22reduce_config_selectorIlEEZNS1_11reduce_implILb1ES3_PlS7_lN6hipcub16HIPCUB_304000_NS6detail34convert_binary_result_type_wrapperINS9_3SumENS9_22TransformInputIteratorIb7NonZeroIaEPalEElEEEE10hipError_tPvRmT1_T2_T3_mT4_P12ihipStream_tbEUlT_E0_NS1_11comp_targetILNS1_3genE10ELNS1_11target_archE1201ELNS1_3gpuE5ELNS1_3repE0EEENS1_30default_config_static_selectorELNS0_4arch9wavefront6targetE1EEEvSM_.num_vgpr, 0
	.set _ZN7rocprim17ROCPRIM_400000_NS6detail17trampoline_kernelINS0_14default_configENS1_22reduce_config_selectorIlEEZNS1_11reduce_implILb1ES3_PlS7_lN6hipcub16HIPCUB_304000_NS6detail34convert_binary_result_type_wrapperINS9_3SumENS9_22TransformInputIteratorIb7NonZeroIaEPalEElEEEE10hipError_tPvRmT1_T2_T3_mT4_P12ihipStream_tbEUlT_E0_NS1_11comp_targetILNS1_3genE10ELNS1_11target_archE1201ELNS1_3gpuE5ELNS1_3repE0EEENS1_30default_config_static_selectorELNS0_4arch9wavefront6targetE1EEEvSM_.num_agpr, 0
	.set _ZN7rocprim17ROCPRIM_400000_NS6detail17trampoline_kernelINS0_14default_configENS1_22reduce_config_selectorIlEEZNS1_11reduce_implILb1ES3_PlS7_lN6hipcub16HIPCUB_304000_NS6detail34convert_binary_result_type_wrapperINS9_3SumENS9_22TransformInputIteratorIb7NonZeroIaEPalEElEEEE10hipError_tPvRmT1_T2_T3_mT4_P12ihipStream_tbEUlT_E0_NS1_11comp_targetILNS1_3genE10ELNS1_11target_archE1201ELNS1_3gpuE5ELNS1_3repE0EEENS1_30default_config_static_selectorELNS0_4arch9wavefront6targetE1EEEvSM_.numbered_sgpr, 0
	.set _ZN7rocprim17ROCPRIM_400000_NS6detail17trampoline_kernelINS0_14default_configENS1_22reduce_config_selectorIlEEZNS1_11reduce_implILb1ES3_PlS7_lN6hipcub16HIPCUB_304000_NS6detail34convert_binary_result_type_wrapperINS9_3SumENS9_22TransformInputIteratorIb7NonZeroIaEPalEElEEEE10hipError_tPvRmT1_T2_T3_mT4_P12ihipStream_tbEUlT_E0_NS1_11comp_targetILNS1_3genE10ELNS1_11target_archE1201ELNS1_3gpuE5ELNS1_3repE0EEENS1_30default_config_static_selectorELNS0_4arch9wavefront6targetE1EEEvSM_.num_named_barrier, 0
	.set _ZN7rocprim17ROCPRIM_400000_NS6detail17trampoline_kernelINS0_14default_configENS1_22reduce_config_selectorIlEEZNS1_11reduce_implILb1ES3_PlS7_lN6hipcub16HIPCUB_304000_NS6detail34convert_binary_result_type_wrapperINS9_3SumENS9_22TransformInputIteratorIb7NonZeroIaEPalEElEEEE10hipError_tPvRmT1_T2_T3_mT4_P12ihipStream_tbEUlT_E0_NS1_11comp_targetILNS1_3genE10ELNS1_11target_archE1201ELNS1_3gpuE5ELNS1_3repE0EEENS1_30default_config_static_selectorELNS0_4arch9wavefront6targetE1EEEvSM_.private_seg_size, 0
	.set _ZN7rocprim17ROCPRIM_400000_NS6detail17trampoline_kernelINS0_14default_configENS1_22reduce_config_selectorIlEEZNS1_11reduce_implILb1ES3_PlS7_lN6hipcub16HIPCUB_304000_NS6detail34convert_binary_result_type_wrapperINS9_3SumENS9_22TransformInputIteratorIb7NonZeroIaEPalEElEEEE10hipError_tPvRmT1_T2_T3_mT4_P12ihipStream_tbEUlT_E0_NS1_11comp_targetILNS1_3genE10ELNS1_11target_archE1201ELNS1_3gpuE5ELNS1_3repE0EEENS1_30default_config_static_selectorELNS0_4arch9wavefront6targetE1EEEvSM_.uses_vcc, 0
	.set _ZN7rocprim17ROCPRIM_400000_NS6detail17trampoline_kernelINS0_14default_configENS1_22reduce_config_selectorIlEEZNS1_11reduce_implILb1ES3_PlS7_lN6hipcub16HIPCUB_304000_NS6detail34convert_binary_result_type_wrapperINS9_3SumENS9_22TransformInputIteratorIb7NonZeroIaEPalEElEEEE10hipError_tPvRmT1_T2_T3_mT4_P12ihipStream_tbEUlT_E0_NS1_11comp_targetILNS1_3genE10ELNS1_11target_archE1201ELNS1_3gpuE5ELNS1_3repE0EEENS1_30default_config_static_selectorELNS0_4arch9wavefront6targetE1EEEvSM_.uses_flat_scratch, 0
	.set _ZN7rocprim17ROCPRIM_400000_NS6detail17trampoline_kernelINS0_14default_configENS1_22reduce_config_selectorIlEEZNS1_11reduce_implILb1ES3_PlS7_lN6hipcub16HIPCUB_304000_NS6detail34convert_binary_result_type_wrapperINS9_3SumENS9_22TransformInputIteratorIb7NonZeroIaEPalEElEEEE10hipError_tPvRmT1_T2_T3_mT4_P12ihipStream_tbEUlT_E0_NS1_11comp_targetILNS1_3genE10ELNS1_11target_archE1201ELNS1_3gpuE5ELNS1_3repE0EEENS1_30default_config_static_selectorELNS0_4arch9wavefront6targetE1EEEvSM_.has_dyn_sized_stack, 0
	.set _ZN7rocprim17ROCPRIM_400000_NS6detail17trampoline_kernelINS0_14default_configENS1_22reduce_config_selectorIlEEZNS1_11reduce_implILb1ES3_PlS7_lN6hipcub16HIPCUB_304000_NS6detail34convert_binary_result_type_wrapperINS9_3SumENS9_22TransformInputIteratorIb7NonZeroIaEPalEElEEEE10hipError_tPvRmT1_T2_T3_mT4_P12ihipStream_tbEUlT_E0_NS1_11comp_targetILNS1_3genE10ELNS1_11target_archE1201ELNS1_3gpuE5ELNS1_3repE0EEENS1_30default_config_static_selectorELNS0_4arch9wavefront6targetE1EEEvSM_.has_recursion, 0
	.set _ZN7rocprim17ROCPRIM_400000_NS6detail17trampoline_kernelINS0_14default_configENS1_22reduce_config_selectorIlEEZNS1_11reduce_implILb1ES3_PlS7_lN6hipcub16HIPCUB_304000_NS6detail34convert_binary_result_type_wrapperINS9_3SumENS9_22TransformInputIteratorIb7NonZeroIaEPalEElEEEE10hipError_tPvRmT1_T2_T3_mT4_P12ihipStream_tbEUlT_E0_NS1_11comp_targetILNS1_3genE10ELNS1_11target_archE1201ELNS1_3gpuE5ELNS1_3repE0EEENS1_30default_config_static_selectorELNS0_4arch9wavefront6targetE1EEEvSM_.has_indirect_call, 0
	.section	.AMDGPU.csdata,"",@progbits
; Kernel info:
; codeLenInByte = 0
; TotalNumSgprs: 6
; NumVgprs: 0
; NumAgprs: 0
; TotalNumVgprs: 0
; ScratchSize: 0
; MemoryBound: 0
; FloatMode: 240
; IeeeMode: 1
; LDSByteSize: 0 bytes/workgroup (compile time only)
; SGPRBlocks: 0
; VGPRBlocks: 0
; NumSGPRsForWavesPerEU: 6
; NumVGPRsForWavesPerEU: 1
; AccumOffset: 4
; Occupancy: 8
; WaveLimiterHint : 0
; COMPUTE_PGM_RSRC2:SCRATCH_EN: 0
; COMPUTE_PGM_RSRC2:USER_SGPR: 2
; COMPUTE_PGM_RSRC2:TRAP_HANDLER: 0
; COMPUTE_PGM_RSRC2:TGID_X_EN: 1
; COMPUTE_PGM_RSRC2:TGID_Y_EN: 0
; COMPUTE_PGM_RSRC2:TGID_Z_EN: 0
; COMPUTE_PGM_RSRC2:TIDIG_COMP_CNT: 0
; COMPUTE_PGM_RSRC3_GFX90A:ACCUM_OFFSET: 0
; COMPUTE_PGM_RSRC3_GFX90A:TG_SPLIT: 0
	.section	.text._ZN7rocprim17ROCPRIM_400000_NS6detail17trampoline_kernelINS0_14default_configENS1_22reduce_config_selectorIlEEZNS1_11reduce_implILb1ES3_PlS7_lN6hipcub16HIPCUB_304000_NS6detail34convert_binary_result_type_wrapperINS9_3SumENS9_22TransformInputIteratorIb7NonZeroIaEPalEElEEEE10hipError_tPvRmT1_T2_T3_mT4_P12ihipStream_tbEUlT_E0_NS1_11comp_targetILNS1_3genE10ELNS1_11target_archE1200ELNS1_3gpuE4ELNS1_3repE0EEENS1_30default_config_static_selectorELNS0_4arch9wavefront6targetE1EEEvSM_,"axG",@progbits,_ZN7rocprim17ROCPRIM_400000_NS6detail17trampoline_kernelINS0_14default_configENS1_22reduce_config_selectorIlEEZNS1_11reduce_implILb1ES3_PlS7_lN6hipcub16HIPCUB_304000_NS6detail34convert_binary_result_type_wrapperINS9_3SumENS9_22TransformInputIteratorIb7NonZeroIaEPalEElEEEE10hipError_tPvRmT1_T2_T3_mT4_P12ihipStream_tbEUlT_E0_NS1_11comp_targetILNS1_3genE10ELNS1_11target_archE1200ELNS1_3gpuE4ELNS1_3repE0EEENS1_30default_config_static_selectorELNS0_4arch9wavefront6targetE1EEEvSM_,comdat
	.protected	_ZN7rocprim17ROCPRIM_400000_NS6detail17trampoline_kernelINS0_14default_configENS1_22reduce_config_selectorIlEEZNS1_11reduce_implILb1ES3_PlS7_lN6hipcub16HIPCUB_304000_NS6detail34convert_binary_result_type_wrapperINS9_3SumENS9_22TransformInputIteratorIb7NonZeroIaEPalEElEEEE10hipError_tPvRmT1_T2_T3_mT4_P12ihipStream_tbEUlT_E0_NS1_11comp_targetILNS1_3genE10ELNS1_11target_archE1200ELNS1_3gpuE4ELNS1_3repE0EEENS1_30default_config_static_selectorELNS0_4arch9wavefront6targetE1EEEvSM_ ; -- Begin function _ZN7rocprim17ROCPRIM_400000_NS6detail17trampoline_kernelINS0_14default_configENS1_22reduce_config_selectorIlEEZNS1_11reduce_implILb1ES3_PlS7_lN6hipcub16HIPCUB_304000_NS6detail34convert_binary_result_type_wrapperINS9_3SumENS9_22TransformInputIteratorIb7NonZeroIaEPalEElEEEE10hipError_tPvRmT1_T2_T3_mT4_P12ihipStream_tbEUlT_E0_NS1_11comp_targetILNS1_3genE10ELNS1_11target_archE1200ELNS1_3gpuE4ELNS1_3repE0EEENS1_30default_config_static_selectorELNS0_4arch9wavefront6targetE1EEEvSM_
	.globl	_ZN7rocprim17ROCPRIM_400000_NS6detail17trampoline_kernelINS0_14default_configENS1_22reduce_config_selectorIlEEZNS1_11reduce_implILb1ES3_PlS7_lN6hipcub16HIPCUB_304000_NS6detail34convert_binary_result_type_wrapperINS9_3SumENS9_22TransformInputIteratorIb7NonZeroIaEPalEElEEEE10hipError_tPvRmT1_T2_T3_mT4_P12ihipStream_tbEUlT_E0_NS1_11comp_targetILNS1_3genE10ELNS1_11target_archE1200ELNS1_3gpuE4ELNS1_3repE0EEENS1_30default_config_static_selectorELNS0_4arch9wavefront6targetE1EEEvSM_
	.p2align	8
	.type	_ZN7rocprim17ROCPRIM_400000_NS6detail17trampoline_kernelINS0_14default_configENS1_22reduce_config_selectorIlEEZNS1_11reduce_implILb1ES3_PlS7_lN6hipcub16HIPCUB_304000_NS6detail34convert_binary_result_type_wrapperINS9_3SumENS9_22TransformInputIteratorIb7NonZeroIaEPalEElEEEE10hipError_tPvRmT1_T2_T3_mT4_P12ihipStream_tbEUlT_E0_NS1_11comp_targetILNS1_3genE10ELNS1_11target_archE1200ELNS1_3gpuE4ELNS1_3repE0EEENS1_30default_config_static_selectorELNS0_4arch9wavefront6targetE1EEEvSM_,@function
_ZN7rocprim17ROCPRIM_400000_NS6detail17trampoline_kernelINS0_14default_configENS1_22reduce_config_selectorIlEEZNS1_11reduce_implILb1ES3_PlS7_lN6hipcub16HIPCUB_304000_NS6detail34convert_binary_result_type_wrapperINS9_3SumENS9_22TransformInputIteratorIb7NonZeroIaEPalEElEEEE10hipError_tPvRmT1_T2_T3_mT4_P12ihipStream_tbEUlT_E0_NS1_11comp_targetILNS1_3genE10ELNS1_11target_archE1200ELNS1_3gpuE4ELNS1_3repE0EEENS1_30default_config_static_selectorELNS0_4arch9wavefront6targetE1EEEvSM_: ; @_ZN7rocprim17ROCPRIM_400000_NS6detail17trampoline_kernelINS0_14default_configENS1_22reduce_config_selectorIlEEZNS1_11reduce_implILb1ES3_PlS7_lN6hipcub16HIPCUB_304000_NS6detail34convert_binary_result_type_wrapperINS9_3SumENS9_22TransformInputIteratorIb7NonZeroIaEPalEElEEEE10hipError_tPvRmT1_T2_T3_mT4_P12ihipStream_tbEUlT_E0_NS1_11comp_targetILNS1_3genE10ELNS1_11target_archE1200ELNS1_3gpuE4ELNS1_3repE0EEENS1_30default_config_static_selectorELNS0_4arch9wavefront6targetE1EEEvSM_
; %bb.0:
	.section	.rodata,"a",@progbits
	.p2align	6, 0x0
	.amdhsa_kernel _ZN7rocprim17ROCPRIM_400000_NS6detail17trampoline_kernelINS0_14default_configENS1_22reduce_config_selectorIlEEZNS1_11reduce_implILb1ES3_PlS7_lN6hipcub16HIPCUB_304000_NS6detail34convert_binary_result_type_wrapperINS9_3SumENS9_22TransformInputIteratorIb7NonZeroIaEPalEElEEEE10hipError_tPvRmT1_T2_T3_mT4_P12ihipStream_tbEUlT_E0_NS1_11comp_targetILNS1_3genE10ELNS1_11target_archE1200ELNS1_3gpuE4ELNS1_3repE0EEENS1_30default_config_static_selectorELNS0_4arch9wavefront6targetE1EEEvSM_
		.amdhsa_group_segment_fixed_size 0
		.amdhsa_private_segment_fixed_size 0
		.amdhsa_kernarg_size 64
		.amdhsa_user_sgpr_count 2
		.amdhsa_user_sgpr_dispatch_ptr 0
		.amdhsa_user_sgpr_queue_ptr 0
		.amdhsa_user_sgpr_kernarg_segment_ptr 1
		.amdhsa_user_sgpr_dispatch_id 0
		.amdhsa_user_sgpr_kernarg_preload_length 0
		.amdhsa_user_sgpr_kernarg_preload_offset 0
		.amdhsa_user_sgpr_private_segment_size 0
		.amdhsa_uses_dynamic_stack 0
		.amdhsa_enable_private_segment 0
		.amdhsa_system_sgpr_workgroup_id_x 1
		.amdhsa_system_sgpr_workgroup_id_y 0
		.amdhsa_system_sgpr_workgroup_id_z 0
		.amdhsa_system_sgpr_workgroup_info 0
		.amdhsa_system_vgpr_workitem_id 0
		.amdhsa_next_free_vgpr 1
		.amdhsa_next_free_sgpr 0
		.amdhsa_accum_offset 4
		.amdhsa_reserve_vcc 0
		.amdhsa_float_round_mode_32 0
		.amdhsa_float_round_mode_16_64 0
		.amdhsa_float_denorm_mode_32 3
		.amdhsa_float_denorm_mode_16_64 3
		.amdhsa_dx10_clamp 1
		.amdhsa_ieee_mode 1
		.amdhsa_fp16_overflow 0
		.amdhsa_tg_split 0
		.amdhsa_exception_fp_ieee_invalid_op 0
		.amdhsa_exception_fp_denorm_src 0
		.amdhsa_exception_fp_ieee_div_zero 0
		.amdhsa_exception_fp_ieee_overflow 0
		.amdhsa_exception_fp_ieee_underflow 0
		.amdhsa_exception_fp_ieee_inexact 0
		.amdhsa_exception_int_div_zero 0
	.end_amdhsa_kernel
	.section	.text._ZN7rocprim17ROCPRIM_400000_NS6detail17trampoline_kernelINS0_14default_configENS1_22reduce_config_selectorIlEEZNS1_11reduce_implILb1ES3_PlS7_lN6hipcub16HIPCUB_304000_NS6detail34convert_binary_result_type_wrapperINS9_3SumENS9_22TransformInputIteratorIb7NonZeroIaEPalEElEEEE10hipError_tPvRmT1_T2_T3_mT4_P12ihipStream_tbEUlT_E0_NS1_11comp_targetILNS1_3genE10ELNS1_11target_archE1200ELNS1_3gpuE4ELNS1_3repE0EEENS1_30default_config_static_selectorELNS0_4arch9wavefront6targetE1EEEvSM_,"axG",@progbits,_ZN7rocprim17ROCPRIM_400000_NS6detail17trampoline_kernelINS0_14default_configENS1_22reduce_config_selectorIlEEZNS1_11reduce_implILb1ES3_PlS7_lN6hipcub16HIPCUB_304000_NS6detail34convert_binary_result_type_wrapperINS9_3SumENS9_22TransformInputIteratorIb7NonZeroIaEPalEElEEEE10hipError_tPvRmT1_T2_T3_mT4_P12ihipStream_tbEUlT_E0_NS1_11comp_targetILNS1_3genE10ELNS1_11target_archE1200ELNS1_3gpuE4ELNS1_3repE0EEENS1_30default_config_static_selectorELNS0_4arch9wavefront6targetE1EEEvSM_,comdat
.Lfunc_end6:
	.size	_ZN7rocprim17ROCPRIM_400000_NS6detail17trampoline_kernelINS0_14default_configENS1_22reduce_config_selectorIlEEZNS1_11reduce_implILb1ES3_PlS7_lN6hipcub16HIPCUB_304000_NS6detail34convert_binary_result_type_wrapperINS9_3SumENS9_22TransformInputIteratorIb7NonZeroIaEPalEElEEEE10hipError_tPvRmT1_T2_T3_mT4_P12ihipStream_tbEUlT_E0_NS1_11comp_targetILNS1_3genE10ELNS1_11target_archE1200ELNS1_3gpuE4ELNS1_3repE0EEENS1_30default_config_static_selectorELNS0_4arch9wavefront6targetE1EEEvSM_, .Lfunc_end6-_ZN7rocprim17ROCPRIM_400000_NS6detail17trampoline_kernelINS0_14default_configENS1_22reduce_config_selectorIlEEZNS1_11reduce_implILb1ES3_PlS7_lN6hipcub16HIPCUB_304000_NS6detail34convert_binary_result_type_wrapperINS9_3SumENS9_22TransformInputIteratorIb7NonZeroIaEPalEElEEEE10hipError_tPvRmT1_T2_T3_mT4_P12ihipStream_tbEUlT_E0_NS1_11comp_targetILNS1_3genE10ELNS1_11target_archE1200ELNS1_3gpuE4ELNS1_3repE0EEENS1_30default_config_static_selectorELNS0_4arch9wavefront6targetE1EEEvSM_
                                        ; -- End function
	.set _ZN7rocprim17ROCPRIM_400000_NS6detail17trampoline_kernelINS0_14default_configENS1_22reduce_config_selectorIlEEZNS1_11reduce_implILb1ES3_PlS7_lN6hipcub16HIPCUB_304000_NS6detail34convert_binary_result_type_wrapperINS9_3SumENS9_22TransformInputIteratorIb7NonZeroIaEPalEElEEEE10hipError_tPvRmT1_T2_T3_mT4_P12ihipStream_tbEUlT_E0_NS1_11comp_targetILNS1_3genE10ELNS1_11target_archE1200ELNS1_3gpuE4ELNS1_3repE0EEENS1_30default_config_static_selectorELNS0_4arch9wavefront6targetE1EEEvSM_.num_vgpr, 0
	.set _ZN7rocprim17ROCPRIM_400000_NS6detail17trampoline_kernelINS0_14default_configENS1_22reduce_config_selectorIlEEZNS1_11reduce_implILb1ES3_PlS7_lN6hipcub16HIPCUB_304000_NS6detail34convert_binary_result_type_wrapperINS9_3SumENS9_22TransformInputIteratorIb7NonZeroIaEPalEElEEEE10hipError_tPvRmT1_T2_T3_mT4_P12ihipStream_tbEUlT_E0_NS1_11comp_targetILNS1_3genE10ELNS1_11target_archE1200ELNS1_3gpuE4ELNS1_3repE0EEENS1_30default_config_static_selectorELNS0_4arch9wavefront6targetE1EEEvSM_.num_agpr, 0
	.set _ZN7rocprim17ROCPRIM_400000_NS6detail17trampoline_kernelINS0_14default_configENS1_22reduce_config_selectorIlEEZNS1_11reduce_implILb1ES3_PlS7_lN6hipcub16HIPCUB_304000_NS6detail34convert_binary_result_type_wrapperINS9_3SumENS9_22TransformInputIteratorIb7NonZeroIaEPalEElEEEE10hipError_tPvRmT1_T2_T3_mT4_P12ihipStream_tbEUlT_E0_NS1_11comp_targetILNS1_3genE10ELNS1_11target_archE1200ELNS1_3gpuE4ELNS1_3repE0EEENS1_30default_config_static_selectorELNS0_4arch9wavefront6targetE1EEEvSM_.numbered_sgpr, 0
	.set _ZN7rocprim17ROCPRIM_400000_NS6detail17trampoline_kernelINS0_14default_configENS1_22reduce_config_selectorIlEEZNS1_11reduce_implILb1ES3_PlS7_lN6hipcub16HIPCUB_304000_NS6detail34convert_binary_result_type_wrapperINS9_3SumENS9_22TransformInputIteratorIb7NonZeroIaEPalEElEEEE10hipError_tPvRmT1_T2_T3_mT4_P12ihipStream_tbEUlT_E0_NS1_11comp_targetILNS1_3genE10ELNS1_11target_archE1200ELNS1_3gpuE4ELNS1_3repE0EEENS1_30default_config_static_selectorELNS0_4arch9wavefront6targetE1EEEvSM_.num_named_barrier, 0
	.set _ZN7rocprim17ROCPRIM_400000_NS6detail17trampoline_kernelINS0_14default_configENS1_22reduce_config_selectorIlEEZNS1_11reduce_implILb1ES3_PlS7_lN6hipcub16HIPCUB_304000_NS6detail34convert_binary_result_type_wrapperINS9_3SumENS9_22TransformInputIteratorIb7NonZeroIaEPalEElEEEE10hipError_tPvRmT1_T2_T3_mT4_P12ihipStream_tbEUlT_E0_NS1_11comp_targetILNS1_3genE10ELNS1_11target_archE1200ELNS1_3gpuE4ELNS1_3repE0EEENS1_30default_config_static_selectorELNS0_4arch9wavefront6targetE1EEEvSM_.private_seg_size, 0
	.set _ZN7rocprim17ROCPRIM_400000_NS6detail17trampoline_kernelINS0_14default_configENS1_22reduce_config_selectorIlEEZNS1_11reduce_implILb1ES3_PlS7_lN6hipcub16HIPCUB_304000_NS6detail34convert_binary_result_type_wrapperINS9_3SumENS9_22TransformInputIteratorIb7NonZeroIaEPalEElEEEE10hipError_tPvRmT1_T2_T3_mT4_P12ihipStream_tbEUlT_E0_NS1_11comp_targetILNS1_3genE10ELNS1_11target_archE1200ELNS1_3gpuE4ELNS1_3repE0EEENS1_30default_config_static_selectorELNS0_4arch9wavefront6targetE1EEEvSM_.uses_vcc, 0
	.set _ZN7rocprim17ROCPRIM_400000_NS6detail17trampoline_kernelINS0_14default_configENS1_22reduce_config_selectorIlEEZNS1_11reduce_implILb1ES3_PlS7_lN6hipcub16HIPCUB_304000_NS6detail34convert_binary_result_type_wrapperINS9_3SumENS9_22TransformInputIteratorIb7NonZeroIaEPalEElEEEE10hipError_tPvRmT1_T2_T3_mT4_P12ihipStream_tbEUlT_E0_NS1_11comp_targetILNS1_3genE10ELNS1_11target_archE1200ELNS1_3gpuE4ELNS1_3repE0EEENS1_30default_config_static_selectorELNS0_4arch9wavefront6targetE1EEEvSM_.uses_flat_scratch, 0
	.set _ZN7rocprim17ROCPRIM_400000_NS6detail17trampoline_kernelINS0_14default_configENS1_22reduce_config_selectorIlEEZNS1_11reduce_implILb1ES3_PlS7_lN6hipcub16HIPCUB_304000_NS6detail34convert_binary_result_type_wrapperINS9_3SumENS9_22TransformInputIteratorIb7NonZeroIaEPalEElEEEE10hipError_tPvRmT1_T2_T3_mT4_P12ihipStream_tbEUlT_E0_NS1_11comp_targetILNS1_3genE10ELNS1_11target_archE1200ELNS1_3gpuE4ELNS1_3repE0EEENS1_30default_config_static_selectorELNS0_4arch9wavefront6targetE1EEEvSM_.has_dyn_sized_stack, 0
	.set _ZN7rocprim17ROCPRIM_400000_NS6detail17trampoline_kernelINS0_14default_configENS1_22reduce_config_selectorIlEEZNS1_11reduce_implILb1ES3_PlS7_lN6hipcub16HIPCUB_304000_NS6detail34convert_binary_result_type_wrapperINS9_3SumENS9_22TransformInputIteratorIb7NonZeroIaEPalEElEEEE10hipError_tPvRmT1_T2_T3_mT4_P12ihipStream_tbEUlT_E0_NS1_11comp_targetILNS1_3genE10ELNS1_11target_archE1200ELNS1_3gpuE4ELNS1_3repE0EEENS1_30default_config_static_selectorELNS0_4arch9wavefront6targetE1EEEvSM_.has_recursion, 0
	.set _ZN7rocprim17ROCPRIM_400000_NS6detail17trampoline_kernelINS0_14default_configENS1_22reduce_config_selectorIlEEZNS1_11reduce_implILb1ES3_PlS7_lN6hipcub16HIPCUB_304000_NS6detail34convert_binary_result_type_wrapperINS9_3SumENS9_22TransformInputIteratorIb7NonZeroIaEPalEElEEEE10hipError_tPvRmT1_T2_T3_mT4_P12ihipStream_tbEUlT_E0_NS1_11comp_targetILNS1_3genE10ELNS1_11target_archE1200ELNS1_3gpuE4ELNS1_3repE0EEENS1_30default_config_static_selectorELNS0_4arch9wavefront6targetE1EEEvSM_.has_indirect_call, 0
	.section	.AMDGPU.csdata,"",@progbits
; Kernel info:
; codeLenInByte = 0
; TotalNumSgprs: 6
; NumVgprs: 0
; NumAgprs: 0
; TotalNumVgprs: 0
; ScratchSize: 0
; MemoryBound: 0
; FloatMode: 240
; IeeeMode: 1
; LDSByteSize: 0 bytes/workgroup (compile time only)
; SGPRBlocks: 0
; VGPRBlocks: 0
; NumSGPRsForWavesPerEU: 6
; NumVGPRsForWavesPerEU: 1
; AccumOffset: 4
; Occupancy: 8
; WaveLimiterHint : 0
; COMPUTE_PGM_RSRC2:SCRATCH_EN: 0
; COMPUTE_PGM_RSRC2:USER_SGPR: 2
; COMPUTE_PGM_RSRC2:TRAP_HANDLER: 0
; COMPUTE_PGM_RSRC2:TGID_X_EN: 1
; COMPUTE_PGM_RSRC2:TGID_Y_EN: 0
; COMPUTE_PGM_RSRC2:TGID_Z_EN: 0
; COMPUTE_PGM_RSRC2:TIDIG_COMP_CNT: 0
; COMPUTE_PGM_RSRC3_GFX90A:ACCUM_OFFSET: 0
; COMPUTE_PGM_RSRC3_GFX90A:TG_SPLIT: 0
	.section	.text._ZN7rocprim17ROCPRIM_400000_NS6detail17trampoline_kernelINS0_14default_configENS1_22reduce_config_selectorIlEEZNS1_11reduce_implILb1ES3_PlS7_lN6hipcub16HIPCUB_304000_NS6detail34convert_binary_result_type_wrapperINS9_3SumENS9_22TransformInputIteratorIb7NonZeroIaEPalEElEEEE10hipError_tPvRmT1_T2_T3_mT4_P12ihipStream_tbEUlT_E0_NS1_11comp_targetILNS1_3genE9ELNS1_11target_archE1100ELNS1_3gpuE3ELNS1_3repE0EEENS1_30default_config_static_selectorELNS0_4arch9wavefront6targetE1EEEvSM_,"axG",@progbits,_ZN7rocprim17ROCPRIM_400000_NS6detail17trampoline_kernelINS0_14default_configENS1_22reduce_config_selectorIlEEZNS1_11reduce_implILb1ES3_PlS7_lN6hipcub16HIPCUB_304000_NS6detail34convert_binary_result_type_wrapperINS9_3SumENS9_22TransformInputIteratorIb7NonZeroIaEPalEElEEEE10hipError_tPvRmT1_T2_T3_mT4_P12ihipStream_tbEUlT_E0_NS1_11comp_targetILNS1_3genE9ELNS1_11target_archE1100ELNS1_3gpuE3ELNS1_3repE0EEENS1_30default_config_static_selectorELNS0_4arch9wavefront6targetE1EEEvSM_,comdat
	.protected	_ZN7rocprim17ROCPRIM_400000_NS6detail17trampoline_kernelINS0_14default_configENS1_22reduce_config_selectorIlEEZNS1_11reduce_implILb1ES3_PlS7_lN6hipcub16HIPCUB_304000_NS6detail34convert_binary_result_type_wrapperINS9_3SumENS9_22TransformInputIteratorIb7NonZeroIaEPalEElEEEE10hipError_tPvRmT1_T2_T3_mT4_P12ihipStream_tbEUlT_E0_NS1_11comp_targetILNS1_3genE9ELNS1_11target_archE1100ELNS1_3gpuE3ELNS1_3repE0EEENS1_30default_config_static_selectorELNS0_4arch9wavefront6targetE1EEEvSM_ ; -- Begin function _ZN7rocprim17ROCPRIM_400000_NS6detail17trampoline_kernelINS0_14default_configENS1_22reduce_config_selectorIlEEZNS1_11reduce_implILb1ES3_PlS7_lN6hipcub16HIPCUB_304000_NS6detail34convert_binary_result_type_wrapperINS9_3SumENS9_22TransformInputIteratorIb7NonZeroIaEPalEElEEEE10hipError_tPvRmT1_T2_T3_mT4_P12ihipStream_tbEUlT_E0_NS1_11comp_targetILNS1_3genE9ELNS1_11target_archE1100ELNS1_3gpuE3ELNS1_3repE0EEENS1_30default_config_static_selectorELNS0_4arch9wavefront6targetE1EEEvSM_
	.globl	_ZN7rocprim17ROCPRIM_400000_NS6detail17trampoline_kernelINS0_14default_configENS1_22reduce_config_selectorIlEEZNS1_11reduce_implILb1ES3_PlS7_lN6hipcub16HIPCUB_304000_NS6detail34convert_binary_result_type_wrapperINS9_3SumENS9_22TransformInputIteratorIb7NonZeroIaEPalEElEEEE10hipError_tPvRmT1_T2_T3_mT4_P12ihipStream_tbEUlT_E0_NS1_11comp_targetILNS1_3genE9ELNS1_11target_archE1100ELNS1_3gpuE3ELNS1_3repE0EEENS1_30default_config_static_selectorELNS0_4arch9wavefront6targetE1EEEvSM_
	.p2align	8
	.type	_ZN7rocprim17ROCPRIM_400000_NS6detail17trampoline_kernelINS0_14default_configENS1_22reduce_config_selectorIlEEZNS1_11reduce_implILb1ES3_PlS7_lN6hipcub16HIPCUB_304000_NS6detail34convert_binary_result_type_wrapperINS9_3SumENS9_22TransformInputIteratorIb7NonZeroIaEPalEElEEEE10hipError_tPvRmT1_T2_T3_mT4_P12ihipStream_tbEUlT_E0_NS1_11comp_targetILNS1_3genE9ELNS1_11target_archE1100ELNS1_3gpuE3ELNS1_3repE0EEENS1_30default_config_static_selectorELNS0_4arch9wavefront6targetE1EEEvSM_,@function
_ZN7rocprim17ROCPRIM_400000_NS6detail17trampoline_kernelINS0_14default_configENS1_22reduce_config_selectorIlEEZNS1_11reduce_implILb1ES3_PlS7_lN6hipcub16HIPCUB_304000_NS6detail34convert_binary_result_type_wrapperINS9_3SumENS9_22TransformInputIteratorIb7NonZeroIaEPalEElEEEE10hipError_tPvRmT1_T2_T3_mT4_P12ihipStream_tbEUlT_E0_NS1_11comp_targetILNS1_3genE9ELNS1_11target_archE1100ELNS1_3gpuE3ELNS1_3repE0EEENS1_30default_config_static_selectorELNS0_4arch9wavefront6targetE1EEEvSM_: ; @_ZN7rocprim17ROCPRIM_400000_NS6detail17trampoline_kernelINS0_14default_configENS1_22reduce_config_selectorIlEEZNS1_11reduce_implILb1ES3_PlS7_lN6hipcub16HIPCUB_304000_NS6detail34convert_binary_result_type_wrapperINS9_3SumENS9_22TransformInputIteratorIb7NonZeroIaEPalEElEEEE10hipError_tPvRmT1_T2_T3_mT4_P12ihipStream_tbEUlT_E0_NS1_11comp_targetILNS1_3genE9ELNS1_11target_archE1100ELNS1_3gpuE3ELNS1_3repE0EEENS1_30default_config_static_selectorELNS0_4arch9wavefront6targetE1EEEvSM_
; %bb.0:
	.section	.rodata,"a",@progbits
	.p2align	6, 0x0
	.amdhsa_kernel _ZN7rocprim17ROCPRIM_400000_NS6detail17trampoline_kernelINS0_14default_configENS1_22reduce_config_selectorIlEEZNS1_11reduce_implILb1ES3_PlS7_lN6hipcub16HIPCUB_304000_NS6detail34convert_binary_result_type_wrapperINS9_3SumENS9_22TransformInputIteratorIb7NonZeroIaEPalEElEEEE10hipError_tPvRmT1_T2_T3_mT4_P12ihipStream_tbEUlT_E0_NS1_11comp_targetILNS1_3genE9ELNS1_11target_archE1100ELNS1_3gpuE3ELNS1_3repE0EEENS1_30default_config_static_selectorELNS0_4arch9wavefront6targetE1EEEvSM_
		.amdhsa_group_segment_fixed_size 0
		.amdhsa_private_segment_fixed_size 0
		.amdhsa_kernarg_size 64
		.amdhsa_user_sgpr_count 2
		.amdhsa_user_sgpr_dispatch_ptr 0
		.amdhsa_user_sgpr_queue_ptr 0
		.amdhsa_user_sgpr_kernarg_segment_ptr 1
		.amdhsa_user_sgpr_dispatch_id 0
		.amdhsa_user_sgpr_kernarg_preload_length 0
		.amdhsa_user_sgpr_kernarg_preload_offset 0
		.amdhsa_user_sgpr_private_segment_size 0
		.amdhsa_uses_dynamic_stack 0
		.amdhsa_enable_private_segment 0
		.amdhsa_system_sgpr_workgroup_id_x 1
		.amdhsa_system_sgpr_workgroup_id_y 0
		.amdhsa_system_sgpr_workgroup_id_z 0
		.amdhsa_system_sgpr_workgroup_info 0
		.amdhsa_system_vgpr_workitem_id 0
		.amdhsa_next_free_vgpr 1
		.amdhsa_next_free_sgpr 0
		.amdhsa_accum_offset 4
		.amdhsa_reserve_vcc 0
		.amdhsa_float_round_mode_32 0
		.amdhsa_float_round_mode_16_64 0
		.amdhsa_float_denorm_mode_32 3
		.amdhsa_float_denorm_mode_16_64 3
		.amdhsa_dx10_clamp 1
		.amdhsa_ieee_mode 1
		.amdhsa_fp16_overflow 0
		.amdhsa_tg_split 0
		.amdhsa_exception_fp_ieee_invalid_op 0
		.amdhsa_exception_fp_denorm_src 0
		.amdhsa_exception_fp_ieee_div_zero 0
		.amdhsa_exception_fp_ieee_overflow 0
		.amdhsa_exception_fp_ieee_underflow 0
		.amdhsa_exception_fp_ieee_inexact 0
		.amdhsa_exception_int_div_zero 0
	.end_amdhsa_kernel
	.section	.text._ZN7rocprim17ROCPRIM_400000_NS6detail17trampoline_kernelINS0_14default_configENS1_22reduce_config_selectorIlEEZNS1_11reduce_implILb1ES3_PlS7_lN6hipcub16HIPCUB_304000_NS6detail34convert_binary_result_type_wrapperINS9_3SumENS9_22TransformInputIteratorIb7NonZeroIaEPalEElEEEE10hipError_tPvRmT1_T2_T3_mT4_P12ihipStream_tbEUlT_E0_NS1_11comp_targetILNS1_3genE9ELNS1_11target_archE1100ELNS1_3gpuE3ELNS1_3repE0EEENS1_30default_config_static_selectorELNS0_4arch9wavefront6targetE1EEEvSM_,"axG",@progbits,_ZN7rocprim17ROCPRIM_400000_NS6detail17trampoline_kernelINS0_14default_configENS1_22reduce_config_selectorIlEEZNS1_11reduce_implILb1ES3_PlS7_lN6hipcub16HIPCUB_304000_NS6detail34convert_binary_result_type_wrapperINS9_3SumENS9_22TransformInputIteratorIb7NonZeroIaEPalEElEEEE10hipError_tPvRmT1_T2_T3_mT4_P12ihipStream_tbEUlT_E0_NS1_11comp_targetILNS1_3genE9ELNS1_11target_archE1100ELNS1_3gpuE3ELNS1_3repE0EEENS1_30default_config_static_selectorELNS0_4arch9wavefront6targetE1EEEvSM_,comdat
.Lfunc_end7:
	.size	_ZN7rocprim17ROCPRIM_400000_NS6detail17trampoline_kernelINS0_14default_configENS1_22reduce_config_selectorIlEEZNS1_11reduce_implILb1ES3_PlS7_lN6hipcub16HIPCUB_304000_NS6detail34convert_binary_result_type_wrapperINS9_3SumENS9_22TransformInputIteratorIb7NonZeroIaEPalEElEEEE10hipError_tPvRmT1_T2_T3_mT4_P12ihipStream_tbEUlT_E0_NS1_11comp_targetILNS1_3genE9ELNS1_11target_archE1100ELNS1_3gpuE3ELNS1_3repE0EEENS1_30default_config_static_selectorELNS0_4arch9wavefront6targetE1EEEvSM_, .Lfunc_end7-_ZN7rocprim17ROCPRIM_400000_NS6detail17trampoline_kernelINS0_14default_configENS1_22reduce_config_selectorIlEEZNS1_11reduce_implILb1ES3_PlS7_lN6hipcub16HIPCUB_304000_NS6detail34convert_binary_result_type_wrapperINS9_3SumENS9_22TransformInputIteratorIb7NonZeroIaEPalEElEEEE10hipError_tPvRmT1_T2_T3_mT4_P12ihipStream_tbEUlT_E0_NS1_11comp_targetILNS1_3genE9ELNS1_11target_archE1100ELNS1_3gpuE3ELNS1_3repE0EEENS1_30default_config_static_selectorELNS0_4arch9wavefront6targetE1EEEvSM_
                                        ; -- End function
	.set _ZN7rocprim17ROCPRIM_400000_NS6detail17trampoline_kernelINS0_14default_configENS1_22reduce_config_selectorIlEEZNS1_11reduce_implILb1ES3_PlS7_lN6hipcub16HIPCUB_304000_NS6detail34convert_binary_result_type_wrapperINS9_3SumENS9_22TransformInputIteratorIb7NonZeroIaEPalEElEEEE10hipError_tPvRmT1_T2_T3_mT4_P12ihipStream_tbEUlT_E0_NS1_11comp_targetILNS1_3genE9ELNS1_11target_archE1100ELNS1_3gpuE3ELNS1_3repE0EEENS1_30default_config_static_selectorELNS0_4arch9wavefront6targetE1EEEvSM_.num_vgpr, 0
	.set _ZN7rocprim17ROCPRIM_400000_NS6detail17trampoline_kernelINS0_14default_configENS1_22reduce_config_selectorIlEEZNS1_11reduce_implILb1ES3_PlS7_lN6hipcub16HIPCUB_304000_NS6detail34convert_binary_result_type_wrapperINS9_3SumENS9_22TransformInputIteratorIb7NonZeroIaEPalEElEEEE10hipError_tPvRmT1_T2_T3_mT4_P12ihipStream_tbEUlT_E0_NS1_11comp_targetILNS1_3genE9ELNS1_11target_archE1100ELNS1_3gpuE3ELNS1_3repE0EEENS1_30default_config_static_selectorELNS0_4arch9wavefront6targetE1EEEvSM_.num_agpr, 0
	.set _ZN7rocprim17ROCPRIM_400000_NS6detail17trampoline_kernelINS0_14default_configENS1_22reduce_config_selectorIlEEZNS1_11reduce_implILb1ES3_PlS7_lN6hipcub16HIPCUB_304000_NS6detail34convert_binary_result_type_wrapperINS9_3SumENS9_22TransformInputIteratorIb7NonZeroIaEPalEElEEEE10hipError_tPvRmT1_T2_T3_mT4_P12ihipStream_tbEUlT_E0_NS1_11comp_targetILNS1_3genE9ELNS1_11target_archE1100ELNS1_3gpuE3ELNS1_3repE0EEENS1_30default_config_static_selectorELNS0_4arch9wavefront6targetE1EEEvSM_.numbered_sgpr, 0
	.set _ZN7rocprim17ROCPRIM_400000_NS6detail17trampoline_kernelINS0_14default_configENS1_22reduce_config_selectorIlEEZNS1_11reduce_implILb1ES3_PlS7_lN6hipcub16HIPCUB_304000_NS6detail34convert_binary_result_type_wrapperINS9_3SumENS9_22TransformInputIteratorIb7NonZeroIaEPalEElEEEE10hipError_tPvRmT1_T2_T3_mT4_P12ihipStream_tbEUlT_E0_NS1_11comp_targetILNS1_3genE9ELNS1_11target_archE1100ELNS1_3gpuE3ELNS1_3repE0EEENS1_30default_config_static_selectorELNS0_4arch9wavefront6targetE1EEEvSM_.num_named_barrier, 0
	.set _ZN7rocprim17ROCPRIM_400000_NS6detail17trampoline_kernelINS0_14default_configENS1_22reduce_config_selectorIlEEZNS1_11reduce_implILb1ES3_PlS7_lN6hipcub16HIPCUB_304000_NS6detail34convert_binary_result_type_wrapperINS9_3SumENS9_22TransformInputIteratorIb7NonZeroIaEPalEElEEEE10hipError_tPvRmT1_T2_T3_mT4_P12ihipStream_tbEUlT_E0_NS1_11comp_targetILNS1_3genE9ELNS1_11target_archE1100ELNS1_3gpuE3ELNS1_3repE0EEENS1_30default_config_static_selectorELNS0_4arch9wavefront6targetE1EEEvSM_.private_seg_size, 0
	.set _ZN7rocprim17ROCPRIM_400000_NS6detail17trampoline_kernelINS0_14default_configENS1_22reduce_config_selectorIlEEZNS1_11reduce_implILb1ES3_PlS7_lN6hipcub16HIPCUB_304000_NS6detail34convert_binary_result_type_wrapperINS9_3SumENS9_22TransformInputIteratorIb7NonZeroIaEPalEElEEEE10hipError_tPvRmT1_T2_T3_mT4_P12ihipStream_tbEUlT_E0_NS1_11comp_targetILNS1_3genE9ELNS1_11target_archE1100ELNS1_3gpuE3ELNS1_3repE0EEENS1_30default_config_static_selectorELNS0_4arch9wavefront6targetE1EEEvSM_.uses_vcc, 0
	.set _ZN7rocprim17ROCPRIM_400000_NS6detail17trampoline_kernelINS0_14default_configENS1_22reduce_config_selectorIlEEZNS1_11reduce_implILb1ES3_PlS7_lN6hipcub16HIPCUB_304000_NS6detail34convert_binary_result_type_wrapperINS9_3SumENS9_22TransformInputIteratorIb7NonZeroIaEPalEElEEEE10hipError_tPvRmT1_T2_T3_mT4_P12ihipStream_tbEUlT_E0_NS1_11comp_targetILNS1_3genE9ELNS1_11target_archE1100ELNS1_3gpuE3ELNS1_3repE0EEENS1_30default_config_static_selectorELNS0_4arch9wavefront6targetE1EEEvSM_.uses_flat_scratch, 0
	.set _ZN7rocprim17ROCPRIM_400000_NS6detail17trampoline_kernelINS0_14default_configENS1_22reduce_config_selectorIlEEZNS1_11reduce_implILb1ES3_PlS7_lN6hipcub16HIPCUB_304000_NS6detail34convert_binary_result_type_wrapperINS9_3SumENS9_22TransformInputIteratorIb7NonZeroIaEPalEElEEEE10hipError_tPvRmT1_T2_T3_mT4_P12ihipStream_tbEUlT_E0_NS1_11comp_targetILNS1_3genE9ELNS1_11target_archE1100ELNS1_3gpuE3ELNS1_3repE0EEENS1_30default_config_static_selectorELNS0_4arch9wavefront6targetE1EEEvSM_.has_dyn_sized_stack, 0
	.set _ZN7rocprim17ROCPRIM_400000_NS6detail17trampoline_kernelINS0_14default_configENS1_22reduce_config_selectorIlEEZNS1_11reduce_implILb1ES3_PlS7_lN6hipcub16HIPCUB_304000_NS6detail34convert_binary_result_type_wrapperINS9_3SumENS9_22TransformInputIteratorIb7NonZeroIaEPalEElEEEE10hipError_tPvRmT1_T2_T3_mT4_P12ihipStream_tbEUlT_E0_NS1_11comp_targetILNS1_3genE9ELNS1_11target_archE1100ELNS1_3gpuE3ELNS1_3repE0EEENS1_30default_config_static_selectorELNS0_4arch9wavefront6targetE1EEEvSM_.has_recursion, 0
	.set _ZN7rocprim17ROCPRIM_400000_NS6detail17trampoline_kernelINS0_14default_configENS1_22reduce_config_selectorIlEEZNS1_11reduce_implILb1ES3_PlS7_lN6hipcub16HIPCUB_304000_NS6detail34convert_binary_result_type_wrapperINS9_3SumENS9_22TransformInputIteratorIb7NonZeroIaEPalEElEEEE10hipError_tPvRmT1_T2_T3_mT4_P12ihipStream_tbEUlT_E0_NS1_11comp_targetILNS1_3genE9ELNS1_11target_archE1100ELNS1_3gpuE3ELNS1_3repE0EEENS1_30default_config_static_selectorELNS0_4arch9wavefront6targetE1EEEvSM_.has_indirect_call, 0
	.section	.AMDGPU.csdata,"",@progbits
; Kernel info:
; codeLenInByte = 0
; TotalNumSgprs: 6
; NumVgprs: 0
; NumAgprs: 0
; TotalNumVgprs: 0
; ScratchSize: 0
; MemoryBound: 0
; FloatMode: 240
; IeeeMode: 1
; LDSByteSize: 0 bytes/workgroup (compile time only)
; SGPRBlocks: 0
; VGPRBlocks: 0
; NumSGPRsForWavesPerEU: 6
; NumVGPRsForWavesPerEU: 1
; AccumOffset: 4
; Occupancy: 8
; WaveLimiterHint : 0
; COMPUTE_PGM_RSRC2:SCRATCH_EN: 0
; COMPUTE_PGM_RSRC2:USER_SGPR: 2
; COMPUTE_PGM_RSRC2:TRAP_HANDLER: 0
; COMPUTE_PGM_RSRC2:TGID_X_EN: 1
; COMPUTE_PGM_RSRC2:TGID_Y_EN: 0
; COMPUTE_PGM_RSRC2:TGID_Z_EN: 0
; COMPUTE_PGM_RSRC2:TIDIG_COMP_CNT: 0
; COMPUTE_PGM_RSRC3_GFX90A:ACCUM_OFFSET: 0
; COMPUTE_PGM_RSRC3_GFX90A:TG_SPLIT: 0
	.section	.text._ZN7rocprim17ROCPRIM_400000_NS6detail17trampoline_kernelINS0_14default_configENS1_22reduce_config_selectorIlEEZNS1_11reduce_implILb1ES3_PlS7_lN6hipcub16HIPCUB_304000_NS6detail34convert_binary_result_type_wrapperINS9_3SumENS9_22TransformInputIteratorIb7NonZeroIaEPalEElEEEE10hipError_tPvRmT1_T2_T3_mT4_P12ihipStream_tbEUlT_E0_NS1_11comp_targetILNS1_3genE8ELNS1_11target_archE1030ELNS1_3gpuE2ELNS1_3repE0EEENS1_30default_config_static_selectorELNS0_4arch9wavefront6targetE1EEEvSM_,"axG",@progbits,_ZN7rocprim17ROCPRIM_400000_NS6detail17trampoline_kernelINS0_14default_configENS1_22reduce_config_selectorIlEEZNS1_11reduce_implILb1ES3_PlS7_lN6hipcub16HIPCUB_304000_NS6detail34convert_binary_result_type_wrapperINS9_3SumENS9_22TransformInputIteratorIb7NonZeroIaEPalEElEEEE10hipError_tPvRmT1_T2_T3_mT4_P12ihipStream_tbEUlT_E0_NS1_11comp_targetILNS1_3genE8ELNS1_11target_archE1030ELNS1_3gpuE2ELNS1_3repE0EEENS1_30default_config_static_selectorELNS0_4arch9wavefront6targetE1EEEvSM_,comdat
	.protected	_ZN7rocprim17ROCPRIM_400000_NS6detail17trampoline_kernelINS0_14default_configENS1_22reduce_config_selectorIlEEZNS1_11reduce_implILb1ES3_PlS7_lN6hipcub16HIPCUB_304000_NS6detail34convert_binary_result_type_wrapperINS9_3SumENS9_22TransformInputIteratorIb7NonZeroIaEPalEElEEEE10hipError_tPvRmT1_T2_T3_mT4_P12ihipStream_tbEUlT_E0_NS1_11comp_targetILNS1_3genE8ELNS1_11target_archE1030ELNS1_3gpuE2ELNS1_3repE0EEENS1_30default_config_static_selectorELNS0_4arch9wavefront6targetE1EEEvSM_ ; -- Begin function _ZN7rocprim17ROCPRIM_400000_NS6detail17trampoline_kernelINS0_14default_configENS1_22reduce_config_selectorIlEEZNS1_11reduce_implILb1ES3_PlS7_lN6hipcub16HIPCUB_304000_NS6detail34convert_binary_result_type_wrapperINS9_3SumENS9_22TransformInputIteratorIb7NonZeroIaEPalEElEEEE10hipError_tPvRmT1_T2_T3_mT4_P12ihipStream_tbEUlT_E0_NS1_11comp_targetILNS1_3genE8ELNS1_11target_archE1030ELNS1_3gpuE2ELNS1_3repE0EEENS1_30default_config_static_selectorELNS0_4arch9wavefront6targetE1EEEvSM_
	.globl	_ZN7rocprim17ROCPRIM_400000_NS6detail17trampoline_kernelINS0_14default_configENS1_22reduce_config_selectorIlEEZNS1_11reduce_implILb1ES3_PlS7_lN6hipcub16HIPCUB_304000_NS6detail34convert_binary_result_type_wrapperINS9_3SumENS9_22TransformInputIteratorIb7NonZeroIaEPalEElEEEE10hipError_tPvRmT1_T2_T3_mT4_P12ihipStream_tbEUlT_E0_NS1_11comp_targetILNS1_3genE8ELNS1_11target_archE1030ELNS1_3gpuE2ELNS1_3repE0EEENS1_30default_config_static_selectorELNS0_4arch9wavefront6targetE1EEEvSM_
	.p2align	8
	.type	_ZN7rocprim17ROCPRIM_400000_NS6detail17trampoline_kernelINS0_14default_configENS1_22reduce_config_selectorIlEEZNS1_11reduce_implILb1ES3_PlS7_lN6hipcub16HIPCUB_304000_NS6detail34convert_binary_result_type_wrapperINS9_3SumENS9_22TransformInputIteratorIb7NonZeroIaEPalEElEEEE10hipError_tPvRmT1_T2_T3_mT4_P12ihipStream_tbEUlT_E0_NS1_11comp_targetILNS1_3genE8ELNS1_11target_archE1030ELNS1_3gpuE2ELNS1_3repE0EEENS1_30default_config_static_selectorELNS0_4arch9wavefront6targetE1EEEvSM_,@function
_ZN7rocprim17ROCPRIM_400000_NS6detail17trampoline_kernelINS0_14default_configENS1_22reduce_config_selectorIlEEZNS1_11reduce_implILb1ES3_PlS7_lN6hipcub16HIPCUB_304000_NS6detail34convert_binary_result_type_wrapperINS9_3SumENS9_22TransformInputIteratorIb7NonZeroIaEPalEElEEEE10hipError_tPvRmT1_T2_T3_mT4_P12ihipStream_tbEUlT_E0_NS1_11comp_targetILNS1_3genE8ELNS1_11target_archE1030ELNS1_3gpuE2ELNS1_3repE0EEENS1_30default_config_static_selectorELNS0_4arch9wavefront6targetE1EEEvSM_: ; @_ZN7rocprim17ROCPRIM_400000_NS6detail17trampoline_kernelINS0_14default_configENS1_22reduce_config_selectorIlEEZNS1_11reduce_implILb1ES3_PlS7_lN6hipcub16HIPCUB_304000_NS6detail34convert_binary_result_type_wrapperINS9_3SumENS9_22TransformInputIteratorIb7NonZeroIaEPalEElEEEE10hipError_tPvRmT1_T2_T3_mT4_P12ihipStream_tbEUlT_E0_NS1_11comp_targetILNS1_3genE8ELNS1_11target_archE1030ELNS1_3gpuE2ELNS1_3repE0EEENS1_30default_config_static_selectorELNS0_4arch9wavefront6targetE1EEEvSM_
; %bb.0:
	.section	.rodata,"a",@progbits
	.p2align	6, 0x0
	.amdhsa_kernel _ZN7rocprim17ROCPRIM_400000_NS6detail17trampoline_kernelINS0_14default_configENS1_22reduce_config_selectorIlEEZNS1_11reduce_implILb1ES3_PlS7_lN6hipcub16HIPCUB_304000_NS6detail34convert_binary_result_type_wrapperINS9_3SumENS9_22TransformInputIteratorIb7NonZeroIaEPalEElEEEE10hipError_tPvRmT1_T2_T3_mT4_P12ihipStream_tbEUlT_E0_NS1_11comp_targetILNS1_3genE8ELNS1_11target_archE1030ELNS1_3gpuE2ELNS1_3repE0EEENS1_30default_config_static_selectorELNS0_4arch9wavefront6targetE1EEEvSM_
		.amdhsa_group_segment_fixed_size 0
		.amdhsa_private_segment_fixed_size 0
		.amdhsa_kernarg_size 64
		.amdhsa_user_sgpr_count 2
		.amdhsa_user_sgpr_dispatch_ptr 0
		.amdhsa_user_sgpr_queue_ptr 0
		.amdhsa_user_sgpr_kernarg_segment_ptr 1
		.amdhsa_user_sgpr_dispatch_id 0
		.amdhsa_user_sgpr_kernarg_preload_length 0
		.amdhsa_user_sgpr_kernarg_preload_offset 0
		.amdhsa_user_sgpr_private_segment_size 0
		.amdhsa_uses_dynamic_stack 0
		.amdhsa_enable_private_segment 0
		.amdhsa_system_sgpr_workgroup_id_x 1
		.amdhsa_system_sgpr_workgroup_id_y 0
		.amdhsa_system_sgpr_workgroup_id_z 0
		.amdhsa_system_sgpr_workgroup_info 0
		.amdhsa_system_vgpr_workitem_id 0
		.amdhsa_next_free_vgpr 1
		.amdhsa_next_free_sgpr 0
		.amdhsa_accum_offset 4
		.amdhsa_reserve_vcc 0
		.amdhsa_float_round_mode_32 0
		.amdhsa_float_round_mode_16_64 0
		.amdhsa_float_denorm_mode_32 3
		.amdhsa_float_denorm_mode_16_64 3
		.amdhsa_dx10_clamp 1
		.amdhsa_ieee_mode 1
		.amdhsa_fp16_overflow 0
		.amdhsa_tg_split 0
		.amdhsa_exception_fp_ieee_invalid_op 0
		.amdhsa_exception_fp_denorm_src 0
		.amdhsa_exception_fp_ieee_div_zero 0
		.amdhsa_exception_fp_ieee_overflow 0
		.amdhsa_exception_fp_ieee_underflow 0
		.amdhsa_exception_fp_ieee_inexact 0
		.amdhsa_exception_int_div_zero 0
	.end_amdhsa_kernel
	.section	.text._ZN7rocprim17ROCPRIM_400000_NS6detail17trampoline_kernelINS0_14default_configENS1_22reduce_config_selectorIlEEZNS1_11reduce_implILb1ES3_PlS7_lN6hipcub16HIPCUB_304000_NS6detail34convert_binary_result_type_wrapperINS9_3SumENS9_22TransformInputIteratorIb7NonZeroIaEPalEElEEEE10hipError_tPvRmT1_T2_T3_mT4_P12ihipStream_tbEUlT_E0_NS1_11comp_targetILNS1_3genE8ELNS1_11target_archE1030ELNS1_3gpuE2ELNS1_3repE0EEENS1_30default_config_static_selectorELNS0_4arch9wavefront6targetE1EEEvSM_,"axG",@progbits,_ZN7rocprim17ROCPRIM_400000_NS6detail17trampoline_kernelINS0_14default_configENS1_22reduce_config_selectorIlEEZNS1_11reduce_implILb1ES3_PlS7_lN6hipcub16HIPCUB_304000_NS6detail34convert_binary_result_type_wrapperINS9_3SumENS9_22TransformInputIteratorIb7NonZeroIaEPalEElEEEE10hipError_tPvRmT1_T2_T3_mT4_P12ihipStream_tbEUlT_E0_NS1_11comp_targetILNS1_3genE8ELNS1_11target_archE1030ELNS1_3gpuE2ELNS1_3repE0EEENS1_30default_config_static_selectorELNS0_4arch9wavefront6targetE1EEEvSM_,comdat
.Lfunc_end8:
	.size	_ZN7rocprim17ROCPRIM_400000_NS6detail17trampoline_kernelINS0_14default_configENS1_22reduce_config_selectorIlEEZNS1_11reduce_implILb1ES3_PlS7_lN6hipcub16HIPCUB_304000_NS6detail34convert_binary_result_type_wrapperINS9_3SumENS9_22TransformInputIteratorIb7NonZeroIaEPalEElEEEE10hipError_tPvRmT1_T2_T3_mT4_P12ihipStream_tbEUlT_E0_NS1_11comp_targetILNS1_3genE8ELNS1_11target_archE1030ELNS1_3gpuE2ELNS1_3repE0EEENS1_30default_config_static_selectorELNS0_4arch9wavefront6targetE1EEEvSM_, .Lfunc_end8-_ZN7rocprim17ROCPRIM_400000_NS6detail17trampoline_kernelINS0_14default_configENS1_22reduce_config_selectorIlEEZNS1_11reduce_implILb1ES3_PlS7_lN6hipcub16HIPCUB_304000_NS6detail34convert_binary_result_type_wrapperINS9_3SumENS9_22TransformInputIteratorIb7NonZeroIaEPalEElEEEE10hipError_tPvRmT1_T2_T3_mT4_P12ihipStream_tbEUlT_E0_NS1_11comp_targetILNS1_3genE8ELNS1_11target_archE1030ELNS1_3gpuE2ELNS1_3repE0EEENS1_30default_config_static_selectorELNS0_4arch9wavefront6targetE1EEEvSM_
                                        ; -- End function
	.set _ZN7rocprim17ROCPRIM_400000_NS6detail17trampoline_kernelINS0_14default_configENS1_22reduce_config_selectorIlEEZNS1_11reduce_implILb1ES3_PlS7_lN6hipcub16HIPCUB_304000_NS6detail34convert_binary_result_type_wrapperINS9_3SumENS9_22TransformInputIteratorIb7NonZeroIaEPalEElEEEE10hipError_tPvRmT1_T2_T3_mT4_P12ihipStream_tbEUlT_E0_NS1_11comp_targetILNS1_3genE8ELNS1_11target_archE1030ELNS1_3gpuE2ELNS1_3repE0EEENS1_30default_config_static_selectorELNS0_4arch9wavefront6targetE1EEEvSM_.num_vgpr, 0
	.set _ZN7rocprim17ROCPRIM_400000_NS6detail17trampoline_kernelINS0_14default_configENS1_22reduce_config_selectorIlEEZNS1_11reduce_implILb1ES3_PlS7_lN6hipcub16HIPCUB_304000_NS6detail34convert_binary_result_type_wrapperINS9_3SumENS9_22TransformInputIteratorIb7NonZeroIaEPalEElEEEE10hipError_tPvRmT1_T2_T3_mT4_P12ihipStream_tbEUlT_E0_NS1_11comp_targetILNS1_3genE8ELNS1_11target_archE1030ELNS1_3gpuE2ELNS1_3repE0EEENS1_30default_config_static_selectorELNS0_4arch9wavefront6targetE1EEEvSM_.num_agpr, 0
	.set _ZN7rocprim17ROCPRIM_400000_NS6detail17trampoline_kernelINS0_14default_configENS1_22reduce_config_selectorIlEEZNS1_11reduce_implILb1ES3_PlS7_lN6hipcub16HIPCUB_304000_NS6detail34convert_binary_result_type_wrapperINS9_3SumENS9_22TransformInputIteratorIb7NonZeroIaEPalEElEEEE10hipError_tPvRmT1_T2_T3_mT4_P12ihipStream_tbEUlT_E0_NS1_11comp_targetILNS1_3genE8ELNS1_11target_archE1030ELNS1_3gpuE2ELNS1_3repE0EEENS1_30default_config_static_selectorELNS0_4arch9wavefront6targetE1EEEvSM_.numbered_sgpr, 0
	.set _ZN7rocprim17ROCPRIM_400000_NS6detail17trampoline_kernelINS0_14default_configENS1_22reduce_config_selectorIlEEZNS1_11reduce_implILb1ES3_PlS7_lN6hipcub16HIPCUB_304000_NS6detail34convert_binary_result_type_wrapperINS9_3SumENS9_22TransformInputIteratorIb7NonZeroIaEPalEElEEEE10hipError_tPvRmT1_T2_T3_mT4_P12ihipStream_tbEUlT_E0_NS1_11comp_targetILNS1_3genE8ELNS1_11target_archE1030ELNS1_3gpuE2ELNS1_3repE0EEENS1_30default_config_static_selectorELNS0_4arch9wavefront6targetE1EEEvSM_.num_named_barrier, 0
	.set _ZN7rocprim17ROCPRIM_400000_NS6detail17trampoline_kernelINS0_14default_configENS1_22reduce_config_selectorIlEEZNS1_11reduce_implILb1ES3_PlS7_lN6hipcub16HIPCUB_304000_NS6detail34convert_binary_result_type_wrapperINS9_3SumENS9_22TransformInputIteratorIb7NonZeroIaEPalEElEEEE10hipError_tPvRmT1_T2_T3_mT4_P12ihipStream_tbEUlT_E0_NS1_11comp_targetILNS1_3genE8ELNS1_11target_archE1030ELNS1_3gpuE2ELNS1_3repE0EEENS1_30default_config_static_selectorELNS0_4arch9wavefront6targetE1EEEvSM_.private_seg_size, 0
	.set _ZN7rocprim17ROCPRIM_400000_NS6detail17trampoline_kernelINS0_14default_configENS1_22reduce_config_selectorIlEEZNS1_11reduce_implILb1ES3_PlS7_lN6hipcub16HIPCUB_304000_NS6detail34convert_binary_result_type_wrapperINS9_3SumENS9_22TransformInputIteratorIb7NonZeroIaEPalEElEEEE10hipError_tPvRmT1_T2_T3_mT4_P12ihipStream_tbEUlT_E0_NS1_11comp_targetILNS1_3genE8ELNS1_11target_archE1030ELNS1_3gpuE2ELNS1_3repE0EEENS1_30default_config_static_selectorELNS0_4arch9wavefront6targetE1EEEvSM_.uses_vcc, 0
	.set _ZN7rocprim17ROCPRIM_400000_NS6detail17trampoline_kernelINS0_14default_configENS1_22reduce_config_selectorIlEEZNS1_11reduce_implILb1ES3_PlS7_lN6hipcub16HIPCUB_304000_NS6detail34convert_binary_result_type_wrapperINS9_3SumENS9_22TransformInputIteratorIb7NonZeroIaEPalEElEEEE10hipError_tPvRmT1_T2_T3_mT4_P12ihipStream_tbEUlT_E0_NS1_11comp_targetILNS1_3genE8ELNS1_11target_archE1030ELNS1_3gpuE2ELNS1_3repE0EEENS1_30default_config_static_selectorELNS0_4arch9wavefront6targetE1EEEvSM_.uses_flat_scratch, 0
	.set _ZN7rocprim17ROCPRIM_400000_NS6detail17trampoline_kernelINS0_14default_configENS1_22reduce_config_selectorIlEEZNS1_11reduce_implILb1ES3_PlS7_lN6hipcub16HIPCUB_304000_NS6detail34convert_binary_result_type_wrapperINS9_3SumENS9_22TransformInputIteratorIb7NonZeroIaEPalEElEEEE10hipError_tPvRmT1_T2_T3_mT4_P12ihipStream_tbEUlT_E0_NS1_11comp_targetILNS1_3genE8ELNS1_11target_archE1030ELNS1_3gpuE2ELNS1_3repE0EEENS1_30default_config_static_selectorELNS0_4arch9wavefront6targetE1EEEvSM_.has_dyn_sized_stack, 0
	.set _ZN7rocprim17ROCPRIM_400000_NS6detail17trampoline_kernelINS0_14default_configENS1_22reduce_config_selectorIlEEZNS1_11reduce_implILb1ES3_PlS7_lN6hipcub16HIPCUB_304000_NS6detail34convert_binary_result_type_wrapperINS9_3SumENS9_22TransformInputIteratorIb7NonZeroIaEPalEElEEEE10hipError_tPvRmT1_T2_T3_mT4_P12ihipStream_tbEUlT_E0_NS1_11comp_targetILNS1_3genE8ELNS1_11target_archE1030ELNS1_3gpuE2ELNS1_3repE0EEENS1_30default_config_static_selectorELNS0_4arch9wavefront6targetE1EEEvSM_.has_recursion, 0
	.set _ZN7rocprim17ROCPRIM_400000_NS6detail17trampoline_kernelINS0_14default_configENS1_22reduce_config_selectorIlEEZNS1_11reduce_implILb1ES3_PlS7_lN6hipcub16HIPCUB_304000_NS6detail34convert_binary_result_type_wrapperINS9_3SumENS9_22TransformInputIteratorIb7NonZeroIaEPalEElEEEE10hipError_tPvRmT1_T2_T3_mT4_P12ihipStream_tbEUlT_E0_NS1_11comp_targetILNS1_3genE8ELNS1_11target_archE1030ELNS1_3gpuE2ELNS1_3repE0EEENS1_30default_config_static_selectorELNS0_4arch9wavefront6targetE1EEEvSM_.has_indirect_call, 0
	.section	.AMDGPU.csdata,"",@progbits
; Kernel info:
; codeLenInByte = 0
; TotalNumSgprs: 6
; NumVgprs: 0
; NumAgprs: 0
; TotalNumVgprs: 0
; ScratchSize: 0
; MemoryBound: 0
; FloatMode: 240
; IeeeMode: 1
; LDSByteSize: 0 bytes/workgroup (compile time only)
; SGPRBlocks: 0
; VGPRBlocks: 0
; NumSGPRsForWavesPerEU: 6
; NumVGPRsForWavesPerEU: 1
; AccumOffset: 4
; Occupancy: 8
; WaveLimiterHint : 0
; COMPUTE_PGM_RSRC2:SCRATCH_EN: 0
; COMPUTE_PGM_RSRC2:USER_SGPR: 2
; COMPUTE_PGM_RSRC2:TRAP_HANDLER: 0
; COMPUTE_PGM_RSRC2:TGID_X_EN: 1
; COMPUTE_PGM_RSRC2:TGID_Y_EN: 0
; COMPUTE_PGM_RSRC2:TGID_Z_EN: 0
; COMPUTE_PGM_RSRC2:TIDIG_COMP_CNT: 0
; COMPUTE_PGM_RSRC3_GFX90A:ACCUM_OFFSET: 0
; COMPUTE_PGM_RSRC3_GFX90A:TG_SPLIT: 0
	.section	.text._ZN7rocprim17ROCPRIM_400000_NS6detail17trampoline_kernelINS0_14default_configENS1_22reduce_config_selectorIlEEZNS1_11reduce_implILb1ES3_PlS7_lN6hipcub16HIPCUB_304000_NS6detail34convert_binary_result_type_wrapperINS9_3SumENS9_22TransformInputIteratorIb7NonZeroIaEPalEElEEEE10hipError_tPvRmT1_T2_T3_mT4_P12ihipStream_tbEUlT_E1_NS1_11comp_targetILNS1_3genE0ELNS1_11target_archE4294967295ELNS1_3gpuE0ELNS1_3repE0EEENS1_30default_config_static_selectorELNS0_4arch9wavefront6targetE1EEEvSM_,"axG",@progbits,_ZN7rocprim17ROCPRIM_400000_NS6detail17trampoline_kernelINS0_14default_configENS1_22reduce_config_selectorIlEEZNS1_11reduce_implILb1ES3_PlS7_lN6hipcub16HIPCUB_304000_NS6detail34convert_binary_result_type_wrapperINS9_3SumENS9_22TransformInputIteratorIb7NonZeroIaEPalEElEEEE10hipError_tPvRmT1_T2_T3_mT4_P12ihipStream_tbEUlT_E1_NS1_11comp_targetILNS1_3genE0ELNS1_11target_archE4294967295ELNS1_3gpuE0ELNS1_3repE0EEENS1_30default_config_static_selectorELNS0_4arch9wavefront6targetE1EEEvSM_,comdat
	.protected	_ZN7rocprim17ROCPRIM_400000_NS6detail17trampoline_kernelINS0_14default_configENS1_22reduce_config_selectorIlEEZNS1_11reduce_implILb1ES3_PlS7_lN6hipcub16HIPCUB_304000_NS6detail34convert_binary_result_type_wrapperINS9_3SumENS9_22TransformInputIteratorIb7NonZeroIaEPalEElEEEE10hipError_tPvRmT1_T2_T3_mT4_P12ihipStream_tbEUlT_E1_NS1_11comp_targetILNS1_3genE0ELNS1_11target_archE4294967295ELNS1_3gpuE0ELNS1_3repE0EEENS1_30default_config_static_selectorELNS0_4arch9wavefront6targetE1EEEvSM_ ; -- Begin function _ZN7rocprim17ROCPRIM_400000_NS6detail17trampoline_kernelINS0_14default_configENS1_22reduce_config_selectorIlEEZNS1_11reduce_implILb1ES3_PlS7_lN6hipcub16HIPCUB_304000_NS6detail34convert_binary_result_type_wrapperINS9_3SumENS9_22TransformInputIteratorIb7NonZeroIaEPalEElEEEE10hipError_tPvRmT1_T2_T3_mT4_P12ihipStream_tbEUlT_E1_NS1_11comp_targetILNS1_3genE0ELNS1_11target_archE4294967295ELNS1_3gpuE0ELNS1_3repE0EEENS1_30default_config_static_selectorELNS0_4arch9wavefront6targetE1EEEvSM_
	.globl	_ZN7rocprim17ROCPRIM_400000_NS6detail17trampoline_kernelINS0_14default_configENS1_22reduce_config_selectorIlEEZNS1_11reduce_implILb1ES3_PlS7_lN6hipcub16HIPCUB_304000_NS6detail34convert_binary_result_type_wrapperINS9_3SumENS9_22TransformInputIteratorIb7NonZeroIaEPalEElEEEE10hipError_tPvRmT1_T2_T3_mT4_P12ihipStream_tbEUlT_E1_NS1_11comp_targetILNS1_3genE0ELNS1_11target_archE4294967295ELNS1_3gpuE0ELNS1_3repE0EEENS1_30default_config_static_selectorELNS0_4arch9wavefront6targetE1EEEvSM_
	.p2align	8
	.type	_ZN7rocprim17ROCPRIM_400000_NS6detail17trampoline_kernelINS0_14default_configENS1_22reduce_config_selectorIlEEZNS1_11reduce_implILb1ES3_PlS7_lN6hipcub16HIPCUB_304000_NS6detail34convert_binary_result_type_wrapperINS9_3SumENS9_22TransformInputIteratorIb7NonZeroIaEPalEElEEEE10hipError_tPvRmT1_T2_T3_mT4_P12ihipStream_tbEUlT_E1_NS1_11comp_targetILNS1_3genE0ELNS1_11target_archE4294967295ELNS1_3gpuE0ELNS1_3repE0EEENS1_30default_config_static_selectorELNS0_4arch9wavefront6targetE1EEEvSM_,@function
_ZN7rocprim17ROCPRIM_400000_NS6detail17trampoline_kernelINS0_14default_configENS1_22reduce_config_selectorIlEEZNS1_11reduce_implILb1ES3_PlS7_lN6hipcub16HIPCUB_304000_NS6detail34convert_binary_result_type_wrapperINS9_3SumENS9_22TransformInputIteratorIb7NonZeroIaEPalEElEEEE10hipError_tPvRmT1_T2_T3_mT4_P12ihipStream_tbEUlT_E1_NS1_11comp_targetILNS1_3genE0ELNS1_11target_archE4294967295ELNS1_3gpuE0ELNS1_3repE0EEENS1_30default_config_static_selectorELNS0_4arch9wavefront6targetE1EEEvSM_: ; @_ZN7rocprim17ROCPRIM_400000_NS6detail17trampoline_kernelINS0_14default_configENS1_22reduce_config_selectorIlEEZNS1_11reduce_implILb1ES3_PlS7_lN6hipcub16HIPCUB_304000_NS6detail34convert_binary_result_type_wrapperINS9_3SumENS9_22TransformInputIteratorIb7NonZeroIaEPalEElEEEE10hipError_tPvRmT1_T2_T3_mT4_P12ihipStream_tbEUlT_E1_NS1_11comp_targetILNS1_3genE0ELNS1_11target_archE4294967295ELNS1_3gpuE0ELNS1_3repE0EEENS1_30default_config_static_selectorELNS0_4arch9wavefront6targetE1EEEvSM_
; %bb.0:
	s_load_dword s33, s[0:1], 0x4
	s_load_dwordx8 s[36:43], s[0:1], 0x8
	s_waitcnt lgkmcnt(0)
	s_cmp_lt_i32 s33, 4
	s_cbranch_scc1 .LBB9_10
; %bb.1:
	s_cmp_gt_i32 s33, 7
	s_cbranch_scc0 .LBB9_11
; %bb.2:
	s_cmp_gt_i32 s33, 15
	s_cbranch_scc0 .LBB9_12
; %bb.3:
	s_mov_b64 s[30:31], 0
	s_cmp_eq_u32 s33, 16
	s_mov_b64 s[0:1], 0
                                        ; implicit-def: $vgpr2_vgpr3
                                        ; implicit-def: $vgpr4_vgpr5
	s_cbranch_scc0 .LBB9_13
; %bb.4:
	s_mov_b32 s3, 0
	s_lshl_b32 s0, s2, 12
	s_mov_b32 s1, s3
	s_lshr_b64 s[4:5], s[38:39], 12
	s_lshl_b64 s[6:7], s[0:1], 3
	s_add_u32 s34, s36, s6
	s_addc_u32 s35, s37, s7
	s_cmp_lg_u64 s[4:5], s[2:3]
	s_cbranch_scc0 .LBB9_21
; %bb.5:
	v_lshlrev_b32_e32 v2, 3, v0
	v_mov_b32_e32 v3, 0
	v_lshl_add_u64 v[4:5], s[34:35], 0, v[2:3]
	global_load_dwordx2 v[6:7], v2, s[34:35]
	global_load_dwordx2 v[8:9], v2, s[34:35] offset:2048
	v_add_co_u32_e32 v10, vcc, 0x1000, v4
	v_mov_b32_e32 v38, v3
	s_nop 0
	v_addc_co_u32_e32 v11, vcc, 0, v5, vcc
	v_add_co_u32_e32 v12, vcc, 0x2000, v4
	v_mov_b32_e32 v40, v3
	s_nop 0
	v_addc_co_u32_e32 v13, vcc, 0, v5, vcc
	global_load_dwordx2 v[14:15], v[10:11], off
	global_load_dwordx2 v[16:17], v[10:11], off offset:2048
	global_load_dwordx2 v[18:19], v[12:13], off
	global_load_dwordx2 v[20:21], v[12:13], off offset:2048
	v_add_co_u32_e32 v10, vcc, 0x3000, v4
	v_mov_b32_e32 v42, v3
	s_nop 0
	v_addc_co_u32_e32 v11, vcc, 0, v5, vcc
	v_add_co_u32_e32 v12, vcc, 0x4000, v4
	v_mov_b32_e32 v44, v3
	s_nop 0
	v_addc_co_u32_e32 v13, vcc, 0, v5, vcc
	global_load_dwordx2 v[22:23], v[10:11], off
	global_load_dwordx2 v[24:25], v[10:11], off offset:2048
	global_load_dwordx2 v[26:27], v[12:13], off
	global_load_dwordx2 v[28:29], v[12:13], off offset:2048
	v_add_co_u32_e32 v10, vcc, 0x5000, v4
	v_mbcnt_lo_u32_b32 v1, -1, 0
	s_nop 0
	v_addc_co_u32_e32 v11, vcc, 0, v5, vcc
	v_add_co_u32_e32 v12, vcc, 0x6000, v4
	v_mov_b32_e32 v46, v3
	s_nop 0
	v_addc_co_u32_e32 v13, vcc, 0, v5, vcc
	global_load_dwordx2 v[30:31], v[10:11], off
	global_load_dwordx2 v[32:33], v[10:11], off offset:2048
	global_load_dwordx2 v[34:35], v[12:13], off
	global_load_dwordx2 v[36:37], v[12:13], off offset:2048
	v_add_co_u32_e32 v4, vcc, 0x7000, v4
	v_mbcnt_hi_u32_b32 v1, -1, v1
	s_nop 0
	v_addc_co_u32_e32 v5, vcc, 0, v5, vcc
	global_load_dwordx2 v[10:11], v[4:5], off
	global_load_dwordx2 v[12:13], v[4:5], off offset:2048
	v_lshlrev_b32_e32 v4, 2, v1
	v_or_b32_e32 v5, 0xfc, v4
	v_cmp_eq_u32_e32 vcc, 0, v1
	s_waitcnt vmcnt(14)
	v_lshl_add_u64 v[6:7], v[8:9], 0, v[6:7]
	s_waitcnt vmcnt(13)
	v_lshl_add_u64 v[6:7], v[6:7], 0, v[14:15]
	;; [unrolled: 2-line block ×15, first 2 shown]
	s_nop 1
	v_mov_b32_dpp v2, v6 quad_perm:[1,0,3,2] row_mask:0xf bank_mask:0xf bound_ctrl:1
	v_mov_b32_dpp v39, v7 quad_perm:[1,0,3,2] row_mask:0xf bank_mask:0xf bound_ctrl:1
	v_lshl_add_u64 v[6:7], v[6:7], 0, v[2:3]
	v_lshl_add_u64 v[8:9], v[38:39], 0, v[6:7]
	s_nop 0
	v_mov_b32_dpp v2, v6 quad_perm:[2,3,0,1] row_mask:0xf bank_mask:0xf bound_ctrl:1
	v_mov_b32_dpp v41, v9 quad_perm:[2,3,0,1] row_mask:0xf bank_mask:0xf bound_ctrl:1
	v_lshl_add_u64 v[6:7], v[8:9], 0, v[2:3]
	v_lshl_add_u64 v[8:9], v[6:7], 0, v[40:41]
	s_nop 0
	v_mov_b32_dpp v2, v6 row_ror:4 row_mask:0xf bank_mask:0xf bound_ctrl:1
	v_mov_b32_dpp v43, v9 row_ror:4 row_mask:0xf bank_mask:0xf bound_ctrl:1
	v_lshl_add_u64 v[6:7], v[8:9], 0, v[2:3]
	v_lshl_add_u64 v[8:9], v[6:7], 0, v[42:43]
	s_nop 0
	v_mov_b32_dpp v2, v6 row_ror:8 row_mask:0xf bank_mask:0xf bound_ctrl:1
	v_mov_b32_dpp v45, v9 row_ror:8 row_mask:0xf bank_mask:0xf bound_ctrl:1
	v_lshl_add_u64 v[6:7], v[8:9], 0, v[2:3]
	v_lshl_add_u64 v[8:9], v[6:7], 0, v[44:45]
	s_nop 0
	v_mov_b32_dpp v2, v6 row_bcast:15 row_mask:0xf bank_mask:0xf bound_ctrl:1
	v_mov_b32_dpp v47, v9 row_bcast:15 row_mask:0xf bank_mask:0xf bound_ctrl:1
	v_lshl_add_u64 v[6:7], v[8:9], 0, v[2:3]
	v_lshl_add_u64 v[8:9], v[6:7], 0, v[46:47]
	s_nop 0
	v_mov_b32_dpp v2, v6 row_bcast:31 row_mask:0xf bank_mask:0xf bound_ctrl:1
	v_lshl_add_u64 v[2:3], v[8:9], 0, v[2:3]
	ds_bpermute_b32 v2, v5, v2
	s_nop 0
	v_add_u32_dpp v3, v9, v3 row_bcast:31 row_mask:0xf bank_mask:0xf bound_ctrl:1
	ds_bpermute_b32 v3, v5, v3
	s_and_saveexec_b64 s[4:5], vcc
	s_cbranch_execz .LBB9_7
; %bb.6:
	v_lshrrev_b32_e32 v5, 3, v0
	v_and_b32_e32 v5, 24, v5
	s_waitcnt lgkmcnt(0)
	ds_write_b64 v5, v[2:3]
.LBB9_7:
	s_or_b64 exec, exec, s[4:5]
	v_cmp_gt_u32_e32 vcc, 64, v0
	s_waitcnt lgkmcnt(0)
	s_barrier
	s_and_saveexec_b64 s[4:5], vcc
	s_cbranch_execz .LBB9_9
; %bb.8:
	v_and_b32_e32 v5, 3, v1
	v_lshlrev_b32_e32 v2, 3, v5
	ds_read_b64 v[2:3], v2
	v_cmp_ne_u32_e32 vcc, 3, v5
	v_mov_b32_e32 v8, 0
	v_mov_b32_e32 v7, v8
	v_addc_co_u32_e32 v1, vcc, 0, v1, vcc
	v_lshlrev_b32_e32 v1, 2, v1
	s_waitcnt lgkmcnt(0)
	ds_bpermute_b32 v6, v1, v2
	ds_bpermute_b32 v9, v1, v3
	v_or_b32_e32 v1, 8, v4
	s_waitcnt lgkmcnt(1)
	v_lshl_add_u64 v[2:3], v[2:3], 0, v[6:7]
	s_waitcnt lgkmcnt(0)
	v_lshl_add_u64 v[4:5], v[8:9], 0, v[2:3]
	ds_bpermute_b32 v2, v1, v2
	ds_bpermute_b32 v9, v1, v5
	v_mov_b32_e32 v3, v8
	s_waitcnt lgkmcnt(1)
	v_lshl_add_u64 v[2:3], v[4:5], 0, v[2:3]
	s_waitcnt lgkmcnt(0)
	v_lshl_add_u64 v[2:3], v[2:3], 0, v[8:9]
.LBB9_9:
	s_or_b64 exec, exec, s[4:5]
	s_mov_b64 s[4:5], 0
	s_branch .LBB9_22
.LBB9_10:
	s_mov_b64 s[0:1], 0
                                        ; implicit-def: $vgpr2_vgpr3
                                        ; implicit-def: $vgpr4_vgpr5
	s_cbranch_execnz .LBB9_121
	s_branch .LBB9_166
.LBB9_11:
	s_mov_b64 s[0:1], 0
                                        ; implicit-def: $vgpr2_vgpr3
                                        ; implicit-def: $vgpr4_vgpr5
	s_cbranch_execnz .LBB9_94
	s_branch .LBB9_120
.LBB9_12:
	s_mov_b64 s[30:31], -1
	s_mov_b64 s[0:1], 0
                                        ; implicit-def: $vgpr2_vgpr3
                                        ; implicit-def: $vgpr4_vgpr5
.LBB9_13:
	s_and_b64 vcc, exec, s[30:31]
	s_cbranch_vccz .LBB9_93
.LBB9_14:
	s_cmp_eq_u32 s33, 8
                                        ; implicit-def: $vgpr2_vgpr3
                                        ; implicit-def: $vgpr4_vgpr5
	s_cbranch_scc0 .LBB9_93
; %bb.15:
	s_mov_b32 s3, 0
	s_lshl_b32 s0, s2, 11
	s_mov_b32 s1, s3
	s_lshr_b64 s[4:5], s[38:39], 11
	s_lshl_b64 s[6:7], s[0:1], 3
	s_add_u32 s14, s36, s6
	s_addc_u32 s15, s37, s7
	s_cmp_lg_u64 s[4:5], s[2:3]
	s_cbranch_scc0 .LBB9_65
; %bb.16:
	v_lshlrev_b32_e32 v2, 3, v0
	v_mov_b32_e32 v3, 0
	v_lshl_add_u64 v[4:5], s[14:15], 0, v[2:3]
	s_waitcnt lgkmcnt(0)
	global_load_dwordx2 v[6:7], v2, s[14:15]
	global_load_dwordx2 v[8:9], v2, s[14:15] offset:2048
	v_add_co_u32_e32 v10, vcc, 0x1000, v4
	v_mov_b32_e32 v22, v3
	s_nop 0
	v_addc_co_u32_e32 v11, vcc, 0, v5, vcc
	v_add_co_u32_e32 v12, vcc, 0x2000, v4
	v_mov_b32_e32 v24, v3
	s_nop 0
	v_addc_co_u32_e32 v13, vcc, 0, v5, vcc
	global_load_dwordx2 v[14:15], v[10:11], off
	global_load_dwordx2 v[16:17], v[10:11], off offset:2048
	global_load_dwordx2 v[18:19], v[12:13], off
	global_load_dwordx2 v[20:21], v[12:13], off offset:2048
	v_add_co_u32_e32 v4, vcc, 0x3000, v4
	v_mov_b32_e32 v26, v3
	s_nop 0
	v_addc_co_u32_e32 v5, vcc, 0, v5, vcc
	global_load_dwordx2 v[10:11], v[4:5], off
	global_load_dwordx2 v[12:13], v[4:5], off offset:2048
	v_mov_b32_e32 v28, v3
	v_mbcnt_lo_u32_b32 v1, -1, 0
	v_mov_b32_e32 v30, v3
	v_mbcnt_hi_u32_b32 v1, -1, v1
	v_lshlrev_b32_e32 v4, 2, v1
	v_or_b32_e32 v5, 0xfc, v4
	v_cmp_eq_u32_e32 vcc, 0, v1
	s_waitcnt vmcnt(6)
	v_lshl_add_u64 v[6:7], v[8:9], 0, v[6:7]
	s_waitcnt vmcnt(5)
	v_lshl_add_u64 v[6:7], v[6:7], 0, v[14:15]
	;; [unrolled: 2-line block ×7, first 2 shown]
	s_nop 1
	v_mov_b32_dpp v2, v6 quad_perm:[1,0,3,2] row_mask:0xf bank_mask:0xf bound_ctrl:1
	v_mov_b32_dpp v23, v7 quad_perm:[1,0,3,2] row_mask:0xf bank_mask:0xf bound_ctrl:1
	v_lshl_add_u64 v[6:7], v[6:7], 0, v[2:3]
	v_lshl_add_u64 v[8:9], v[22:23], 0, v[6:7]
	s_nop 0
	v_mov_b32_dpp v2, v6 quad_perm:[2,3,0,1] row_mask:0xf bank_mask:0xf bound_ctrl:1
	v_mov_b32_dpp v25, v9 quad_perm:[2,3,0,1] row_mask:0xf bank_mask:0xf bound_ctrl:1
	v_lshl_add_u64 v[6:7], v[8:9], 0, v[2:3]
	v_lshl_add_u64 v[8:9], v[6:7], 0, v[24:25]
	s_nop 0
	v_mov_b32_dpp v2, v6 row_ror:4 row_mask:0xf bank_mask:0xf bound_ctrl:1
	v_mov_b32_dpp v27, v9 row_ror:4 row_mask:0xf bank_mask:0xf bound_ctrl:1
	v_lshl_add_u64 v[6:7], v[8:9], 0, v[2:3]
	v_lshl_add_u64 v[8:9], v[6:7], 0, v[26:27]
	s_nop 0
	v_mov_b32_dpp v2, v6 row_ror:8 row_mask:0xf bank_mask:0xf bound_ctrl:1
	v_mov_b32_dpp v29, v9 row_ror:8 row_mask:0xf bank_mask:0xf bound_ctrl:1
	v_lshl_add_u64 v[6:7], v[8:9], 0, v[2:3]
	v_lshl_add_u64 v[8:9], v[6:7], 0, v[28:29]
	s_nop 0
	v_mov_b32_dpp v2, v6 row_bcast:15 row_mask:0xf bank_mask:0xf bound_ctrl:1
	v_mov_b32_dpp v31, v9 row_bcast:15 row_mask:0xf bank_mask:0xf bound_ctrl:1
	v_lshl_add_u64 v[6:7], v[8:9], 0, v[2:3]
	v_lshl_add_u64 v[8:9], v[6:7], 0, v[30:31]
	s_nop 0
	v_mov_b32_dpp v2, v6 row_bcast:31 row_mask:0xf bank_mask:0xf bound_ctrl:1
	v_lshl_add_u64 v[2:3], v[8:9], 0, v[2:3]
	ds_bpermute_b32 v2, v5, v2
	s_nop 0
	v_add_u32_dpp v3, v9, v3 row_bcast:31 row_mask:0xf bank_mask:0xf bound_ctrl:1
	ds_bpermute_b32 v3, v5, v3
	s_and_saveexec_b64 s[4:5], vcc
	s_cbranch_execz .LBB9_18
; %bb.17:
	v_lshrrev_b32_e32 v5, 3, v0
	v_and_b32_e32 v5, 24, v5
	s_waitcnt lgkmcnt(0)
	ds_write_b64 v5, v[2:3] offset:128
.LBB9_18:
	s_or_b64 exec, exec, s[4:5]
	v_cmp_gt_u32_e32 vcc, 64, v0
	s_waitcnt lgkmcnt(0)
	s_barrier
	s_and_saveexec_b64 s[4:5], vcc
	s_cbranch_execz .LBB9_20
; %bb.19:
	v_and_b32_e32 v5, 3, v1
	v_lshlrev_b32_e32 v2, 3, v5
	ds_read_b64 v[2:3], v2 offset:128
	v_cmp_ne_u32_e32 vcc, 3, v5
	v_mov_b32_e32 v8, 0
	v_mov_b32_e32 v7, v8
	v_addc_co_u32_e32 v1, vcc, 0, v1, vcc
	v_lshlrev_b32_e32 v1, 2, v1
	s_waitcnt lgkmcnt(0)
	ds_bpermute_b32 v6, v1, v2
	ds_bpermute_b32 v9, v1, v3
	v_or_b32_e32 v1, 8, v4
	s_waitcnt lgkmcnt(1)
	v_lshl_add_u64 v[2:3], v[2:3], 0, v[6:7]
	s_waitcnt lgkmcnt(0)
	v_lshl_add_u64 v[4:5], v[8:9], 0, v[2:3]
	ds_bpermute_b32 v2, v1, v2
	ds_bpermute_b32 v9, v1, v5
	v_mov_b32_e32 v3, v8
	s_waitcnt lgkmcnt(1)
	v_lshl_add_u64 v[2:3], v[4:5], 0, v[2:3]
	s_waitcnt lgkmcnt(0)
	v_lshl_add_u64 v[2:3], v[2:3], 0, v[8:9]
.LBB9_20:
	s_or_b64 exec, exec, s[4:5]
	s_mov_b64 s[4:5], 0
	s_branch .LBB9_66
.LBB9_21:
	s_mov_b64 s[4:5], -1
                                        ; implicit-def: $vgpr2_vgpr3
.LBB9_22:
	s_and_b64 vcc, exec, s[4:5]
	s_cbranch_vccz .LBB9_64
; %bb.23:
	s_sub_i32 s46, s38, s0
	v_mov_b32_e32 v2, 0
	v_cmp_gt_u32_e32 vcc, s46, v0
	v_mov_b32_e32 v3, v2
	v_mov_b32_e32 v4, v2
	;; [unrolled: 1-line block ×31, first 2 shown]
	s_and_saveexec_b64 s[0:1], vcc
	s_cbranch_execz .LBB9_25
; %bb.24:
	v_lshlrev_b32_e32 v1, 3, v0
	global_load_dwordx2 v[4:5], v1, s[34:35]
	v_mov_b32_e32 v6, v2
	v_mov_b32_e32 v7, v2
	;; [unrolled: 1-line block ×30, first 2 shown]
	s_waitcnt vmcnt(0)
	v_mov_b64_e32 v[2:3], v[4:5]
	v_mov_b64_e32 v[4:5], v[6:7]
	;; [unrolled: 1-line block ×16, first 2 shown]
.LBB9_25:
	s_or_b64 exec, exec, s[0:1]
	v_or_b32_e32 v1, 0x100, v0
	v_cmp_gt_u32_e32 vcc, s46, v1
	s_and_saveexec_b64 s[0:1], vcc
	s_cbranch_execz .LBB9_27
; %bb.26:
	v_lshlrev_b32_e32 v1, 3, v0
	global_load_dwordx2 v[4:5], v1, s[34:35] offset:2048
.LBB9_27:
	s_or_b64 exec, exec, s[0:1]
	v_or_b32_e32 v1, 0x200, v0
	v_cmp_gt_u32_e64 s[0:1], s46, v1
	s_and_saveexec_b64 s[4:5], s[0:1]
	s_cbranch_execz .LBB9_29
; %bb.28:
	v_lshlrev_b32_e32 v1, 3, v1
	global_load_dwordx2 v[6:7], v1, s[34:35]
.LBB9_29:
	s_or_b64 exec, exec, s[4:5]
	v_or_b32_e32 v1, 0x300, v0
	v_cmp_gt_u32_e64 s[4:5], s46, v1
	s_and_saveexec_b64 s[6:7], s[4:5]
	s_cbranch_execz .LBB9_31
; %bb.30:
	v_lshlrev_b32_e32 v1, 3, v1
	global_load_dwordx2 v[8:9], v1, s[34:35]
.LBB9_31:
	s_or_b64 exec, exec, s[6:7]
	v_or_b32_e32 v1, 0x400, v0
	v_cmp_gt_u32_e64 s[6:7], s46, v1
	s_and_saveexec_b64 s[8:9], s[6:7]
	s_cbranch_execz .LBB9_33
; %bb.32:
	v_lshlrev_b32_e32 v1, 3, v1
	global_load_dwordx2 v[10:11], v1, s[34:35]
.LBB9_33:
	s_or_b64 exec, exec, s[8:9]
	v_or_b32_e32 v1, 0x500, v0
	v_cmp_gt_u32_e64 s[8:9], s46, v1
	s_and_saveexec_b64 s[10:11], s[8:9]
	s_cbranch_execz .LBB9_35
; %bb.34:
	v_lshlrev_b32_e32 v1, 3, v1
	global_load_dwordx2 v[12:13], v1, s[34:35]
.LBB9_35:
	s_or_b64 exec, exec, s[10:11]
	v_or_b32_e32 v1, 0x600, v0
	v_cmp_gt_u32_e64 s[10:11], s46, v1
	s_and_saveexec_b64 s[12:13], s[10:11]
	s_cbranch_execz .LBB9_37
; %bb.36:
	v_lshlrev_b32_e32 v1, 3, v1
	global_load_dwordx2 v[14:15], v1, s[34:35]
.LBB9_37:
	s_or_b64 exec, exec, s[12:13]
	v_or_b32_e32 v1, 0x700, v0
	v_cmp_gt_u32_e64 s[12:13], s46, v1
	s_and_saveexec_b64 s[14:15], s[12:13]
	s_cbranch_execz .LBB9_39
; %bb.38:
	v_lshlrev_b32_e32 v1, 3, v1
	global_load_dwordx2 v[16:17], v1, s[34:35]
.LBB9_39:
	s_or_b64 exec, exec, s[14:15]
	v_or_b32_e32 v1, 0x800, v0
	v_cmp_gt_u32_e64 s[14:15], s46, v1
	s_and_saveexec_b64 s[16:17], s[14:15]
	s_cbranch_execz .LBB9_41
; %bb.40:
	v_lshlrev_b32_e32 v1, 3, v1
	global_load_dwordx2 v[18:19], v1, s[34:35]
.LBB9_41:
	s_or_b64 exec, exec, s[16:17]
	v_or_b32_e32 v1, 0x900, v0
	v_cmp_gt_u32_e64 s[16:17], s46, v1
	s_and_saveexec_b64 s[18:19], s[16:17]
	s_cbranch_execz .LBB9_43
; %bb.42:
	v_lshlrev_b32_e32 v1, 3, v1
	global_load_dwordx2 v[20:21], v1, s[34:35]
.LBB9_43:
	s_or_b64 exec, exec, s[18:19]
	v_or_b32_e32 v1, 0xa00, v0
	v_cmp_gt_u32_e64 s[18:19], s46, v1
	s_and_saveexec_b64 s[20:21], s[18:19]
	s_cbranch_execz .LBB9_45
; %bb.44:
	v_lshlrev_b32_e32 v1, 3, v1
	global_load_dwordx2 v[22:23], v1, s[34:35]
.LBB9_45:
	s_or_b64 exec, exec, s[20:21]
	v_or_b32_e32 v1, 0xb00, v0
	v_cmp_gt_u32_e64 s[20:21], s46, v1
	s_and_saveexec_b64 s[22:23], s[20:21]
	s_cbranch_execz .LBB9_47
; %bb.46:
	v_lshlrev_b32_e32 v1, 3, v1
	global_load_dwordx2 v[24:25], v1, s[34:35]
.LBB9_47:
	s_or_b64 exec, exec, s[22:23]
	v_or_b32_e32 v1, 0xc00, v0
	v_cmp_gt_u32_e64 s[22:23], s46, v1
	s_and_saveexec_b64 s[24:25], s[22:23]
	s_cbranch_execz .LBB9_49
; %bb.48:
	v_lshlrev_b32_e32 v1, 3, v1
	global_load_dwordx2 v[26:27], v1, s[34:35]
.LBB9_49:
	s_or_b64 exec, exec, s[24:25]
	v_or_b32_e32 v1, 0xd00, v0
	v_cmp_gt_u32_e64 s[24:25], s46, v1
	s_and_saveexec_b64 s[26:27], s[24:25]
	s_cbranch_execz .LBB9_51
; %bb.50:
	v_lshlrev_b32_e32 v1, 3, v1
	global_load_dwordx2 v[28:29], v1, s[34:35]
.LBB9_51:
	s_or_b64 exec, exec, s[26:27]
	v_or_b32_e32 v1, 0xe00, v0
	v_cmp_gt_u32_e64 s[26:27], s46, v1
	s_and_saveexec_b64 s[28:29], s[26:27]
	s_cbranch_execz .LBB9_53
; %bb.52:
	v_lshlrev_b32_e32 v1, 3, v1
	global_load_dwordx2 v[30:31], v1, s[34:35]
.LBB9_53:
	s_or_b64 exec, exec, s[28:29]
	v_or_b32_e32 v1, 0xf00, v0
	v_cmp_gt_u32_e64 s[28:29], s46, v1
	s_and_saveexec_b64 s[44:45], s[28:29]
	s_cbranch_execz .LBB9_55
; %bb.54:
	v_lshlrev_b32_e32 v1, 3, v1
	global_load_dwordx2 v[32:33], v1, s[34:35]
.LBB9_55:
	s_or_b64 exec, exec, s[44:45]
	s_waitcnt vmcnt(0)
	v_cndmask_b32_e32 v5, 0, v5, vcc
	v_cndmask_b32_e32 v4, 0, v4, vcc
	v_lshl_add_u64 v[2:3], v[4:5], 0, v[2:3]
	v_cndmask_b32_e64 v5, 0, v7, s[0:1]
	v_cndmask_b32_e64 v4, 0, v6, s[0:1]
	v_lshl_add_u64 v[2:3], v[2:3], 0, v[4:5]
	v_cndmask_b32_e64 v5, 0, v9, s[4:5]
	v_cndmask_b32_e64 v4, 0, v8, s[4:5]
	;; [unrolled: 3-line block ×12, first 2 shown]
	v_mbcnt_lo_u32_b32 v1, -1, 0
	v_lshl_add_u64 v[2:3], v[2:3], 0, v[4:5]
	v_cndmask_b32_e64 v5, 0, v31, s[26:27]
	v_cndmask_b32_e64 v4, 0, v30, s[26:27]
	v_mbcnt_hi_u32_b32 v1, -1, v1
	v_lshl_add_u64 v[2:3], v[2:3], 0, v[4:5]
	v_cndmask_b32_e64 v5, 0, v33, s[28:29]
	v_cndmask_b32_e64 v4, 0, v32, s[28:29]
	v_and_b32_e32 v9, 63, v1
	v_lshl_add_u64 v[2:3], v[2:3], 0, v[4:5]
	s_min_u32 s6, s46, 0x100
	v_and_b32_e32 v4, 0xc0, v0
	v_cmp_ne_u32_e32 vcc, 63, v9
	v_sub_u32_e64 v8, s6, v4 clamp
	v_mov_b32_e32 v6, 0
	v_addc_co_u32_e32 v4, vcc, 0, v1, vcc
	v_lshlrev_b32_e32 v5, 2, v4
	ds_bpermute_b32 v4, v5, v2
	ds_bpermute_b32 v7, v5, v3
	v_add_u32_e32 v10, 1, v9
	v_mov_b32_e32 v5, v6
	v_cmp_lt_u32_e64 s[0:1], v10, v8
	s_waitcnt lgkmcnt(1)
	v_lshl_add_u64 v[4:5], v[2:3], 0, v[4:5]
	v_cmp_gt_u32_e32 vcc, 62, v9
	s_waitcnt lgkmcnt(0)
	v_lshl_add_u64 v[6:7], v[4:5], 0, v[6:7]
	v_cndmask_b32_e64 v12, v2, v4, s[0:1]
	v_cndmask_b32_e64 v4, 0, 2, vcc
	v_cndmask_b32_e64 v5, v3, v7, s[0:1]
	v_add_lshl_u32 v4, v4, v1, 2
	ds_bpermute_b32 v10, v4, v12
	ds_bpermute_b32 v11, v4, v5
	v_cndmask_b32_e64 v4, v2, v6, s[0:1]
	v_add_u32_e32 v13, 2, v9
	v_cmp_lt_u32_e32 vcc, v13, v8
	v_cmp_gt_u32_e64 s[4:5], 60, v9
	s_waitcnt lgkmcnt(0)
	v_lshl_add_u64 v[6:7], v[10:11], 0, v[4:5]
	v_cndmask_b32_e32 v5, v5, v7, vcc
	v_cndmask_b32_e64 v7, 0, 4, s[4:5]
	v_cndmask_b32_e32 v12, v12, v6, vcc
	v_add_lshl_u32 v7, v7, v1, 2
	ds_bpermute_b32 v10, v7, v12
	ds_bpermute_b32 v11, v7, v5
	v_cndmask_b32_e32 v4, v4, v6, vcc
	v_add_u32_e32 v13, 4, v9
	v_cmp_lt_u32_e32 vcc, v13, v8
	v_cmp_gt_u32_e64 s[4:5], 56, v9
	s_waitcnt lgkmcnt(0)
	v_lshl_add_u64 v[6:7], v[10:11], 0, v[4:5]
	v_cndmask_b32_e32 v5, v5, v7, vcc
	v_cndmask_b32_e64 v7, 0, 8, s[4:5]
	v_cndmask_b32_e32 v12, v12, v6, vcc
	v_add_lshl_u32 v7, v7, v1, 2
	ds_bpermute_b32 v10, v7, v12
	ds_bpermute_b32 v11, v7, v5
	v_cndmask_b32_e32 v4, v4, v6, vcc
	v_add_u32_e32 v13, 8, v9
	v_cmp_lt_u32_e32 vcc, v13, v8
	v_cmp_gt_u32_e64 s[4:5], 48, v9
	s_waitcnt lgkmcnt(0)
	v_lshl_add_u64 v[6:7], v[10:11], 0, v[4:5]
	v_cndmask_b32_e32 v5, v5, v7, vcc
	v_cndmask_b32_e64 v7, 0, 16, s[4:5]
	v_cndmask_b32_e32 v12, v12, v6, vcc
	v_add_lshl_u32 v7, v7, v1, 2
	ds_bpermute_b32 v10, v7, v12
	ds_bpermute_b32 v11, v7, v5
	v_cndmask_b32_e32 v4, v4, v6, vcc
	v_add_u32_e32 v13, 16, v9
	v_cmp_lt_u32_e32 vcc, v13, v8
	s_waitcnt lgkmcnt(0)
	v_lshl_add_u64 v[6:7], v[10:11], 0, v[4:5]
	v_lshlrev_b32_e32 v10, 2, v1
	v_cndmask_b32_e32 v13, v5, v7, vcc
	v_cndmask_b32_e32 v11, v12, v6, vcc
	v_or_b32_e32 v12, 0x80, v10
	ds_bpermute_b32 v11, v12, v11
	ds_bpermute_b32 v12, v12, v13
	s_and_saveexec_b64 s[4:5], s[0:1]
	s_cbranch_execz .LBB9_57
; %bb.56:
	v_add_u32_e32 v9, 32, v9
	v_cndmask_b32_e32 v3, v5, v7, vcc
	v_cndmask_b32_e32 v2, v4, v6, vcc
	v_cmp_lt_u32_e32 vcc, v9, v8
	s_waitcnt lgkmcnt(0)
	s_nop 0
	v_cndmask_b32_e32 v5, 0, v12, vcc
	v_cndmask_b32_e32 v4, 0, v11, vcc
	v_lshl_add_u64 v[2:3], v[2:3], 0, v[4:5]
.LBB9_57:
	s_or_b64 exec, exec, s[4:5]
	v_cmp_eq_u32_e32 vcc, 0, v1
	s_and_saveexec_b64 s[0:1], vcc
; %bb.58:
	v_lshrrev_b32_e32 v4, 3, v0
	v_and_b32_e32 v4, 24, v4
	ds_write_b64 v4, v[2:3] offset:160
; %bb.59:
	s_or_b64 exec, exec, s[0:1]
	v_cmp_gt_u32_e32 vcc, 4, v0
	s_waitcnt lgkmcnt(0)
	s_barrier
	s_and_saveexec_b64 s[0:1], vcc
	s_cbranch_execz .LBB9_63
; %bb.60:
	v_lshlrev_b32_e32 v2, 3, v1
	ds_read_b64 v[2:3], v2 offset:160
	v_and_b32_e32 v6, 3, v1
	v_cmp_ne_u32_e32 vcc, 3, v6
	v_mov_b32_e32 v8, 0
	s_add_i32 s6, s6, 63
	v_addc_co_u32_e32 v1, vcc, 0, v1, vcc
	v_lshlrev_b32_e32 v1, 2, v1
	s_waitcnt lgkmcnt(0)
	ds_bpermute_b32 v4, v1, v2
	ds_bpermute_b32 v9, v1, v3
	v_mov_b32_e32 v5, v8
	s_lshr_b32 s6, s6, 6
	v_add_u32_e32 v1, 1, v6
	s_waitcnt lgkmcnt(1)
	v_lshl_add_u64 v[12:13], v[2:3], 0, v[4:5]
	s_waitcnt lgkmcnt(0)
	v_lshl_add_u64 v[4:5], v[8:9], 0, v[12:13]
	v_cmp_gt_u32_e32 vcc, s6, v1
	v_or_b32_e32 v8, 8, v10
	s_nop 0
	v_cndmask_b32_e32 v7, v3, v5, vcc
	v_cndmask_b32_e32 v1, v2, v12, vcc
	ds_bpermute_b32 v1, v8, v1
	ds_bpermute_b32 v7, v8, v7
	s_and_saveexec_b64 s[4:5], vcc
	s_cbranch_execz .LBB9_62
; %bb.61:
	v_add_u32_e32 v2, 2, v6
	v_cmp_gt_u32_e32 vcc, s6, v2
	s_waitcnt lgkmcnt(0)
	s_nop 0
	v_cndmask_b32_e32 v3, 0, v7, vcc
	v_cndmask_b32_e32 v2, 0, v1, vcc
	v_lshl_add_u64 v[2:3], v[2:3], 0, v[4:5]
.LBB9_62:
	s_or_b64 exec, exec, s[4:5]
.LBB9_63:
	s_or_b64 exec, exec, s[0:1]
.LBB9_64:
	v_cmp_eq_u32_e64 s[0:1], 0, v0
	v_mov_b64_e32 v[4:5], s[2:3]
	s_and_b64 vcc, exec, s[30:31]
	s_cbranch_vccnz .LBB9_14
	s_branch .LBB9_93
.LBB9_65:
	s_mov_b64 s[4:5], -1
                                        ; implicit-def: $vgpr2_vgpr3
.LBB9_66:
	s_and_b64 vcc, exec, s[4:5]
	s_cbranch_vccz .LBB9_92
; %bb.67:
	s_sub_i32 s18, s38, s0
	v_mov_b32_e32 v2, 0
	v_cmp_gt_u32_e32 vcc, s18, v0
	v_mov_b32_e32 v3, v2
	v_mov_b32_e32 v4, v2
	;; [unrolled: 1-line block ×4, first 2 shown]
	s_waitcnt lgkmcnt(0)
	v_mov_b32_e32 v7, v2
	v_mov_b32_e32 v8, v2
	;; [unrolled: 1-line block ×11, first 2 shown]
	s_and_saveexec_b64 s[0:1], vcc
	s_cbranch_execz .LBB9_69
; %bb.68:
	v_lshlrev_b32_e32 v1, 3, v0
	global_load_dwordx2 v[4:5], v1, s[14:15]
	v_mov_b32_e32 v6, v2
	v_mov_b32_e32 v7, v2
	;; [unrolled: 1-line block ×14, first 2 shown]
	s_waitcnt vmcnt(0)
	v_mov_b64_e32 v[2:3], v[4:5]
	v_mov_b64_e32 v[4:5], v[6:7]
	v_mov_b64_e32 v[6:7], v[8:9]
	v_mov_b64_e32 v[8:9], v[10:11]
	v_mov_b64_e32 v[10:11], v[12:13]
	v_mov_b64_e32 v[12:13], v[14:15]
	v_mov_b64_e32 v[14:15], v[16:17]
	v_mov_b64_e32 v[16:17], v[18:19]
.LBB9_69:
	s_or_b64 exec, exec, s[0:1]
	v_or_b32_e32 v1, 0x100, v0
	v_cmp_gt_u32_e32 vcc, s18, v1
	s_and_saveexec_b64 s[0:1], vcc
	s_cbranch_execz .LBB9_71
; %bb.70:
	v_lshlrev_b32_e32 v1, 3, v0
	global_load_dwordx2 v[4:5], v1, s[14:15] offset:2048
.LBB9_71:
	s_or_b64 exec, exec, s[0:1]
	v_or_b32_e32 v1, 0x200, v0
	v_cmp_gt_u32_e64 s[0:1], s18, v1
	s_and_saveexec_b64 s[4:5], s[0:1]
	s_cbranch_execz .LBB9_73
; %bb.72:
	v_lshlrev_b32_e32 v1, 3, v1
	global_load_dwordx2 v[6:7], v1, s[14:15]
.LBB9_73:
	s_or_b64 exec, exec, s[4:5]
	v_or_b32_e32 v1, 0x300, v0
	v_cmp_gt_u32_e64 s[4:5], s18, v1
	s_and_saveexec_b64 s[6:7], s[4:5]
	s_cbranch_execz .LBB9_75
; %bb.74:
	v_lshlrev_b32_e32 v1, 3, v1
	global_load_dwordx2 v[8:9], v1, s[14:15]
.LBB9_75:
	;; [unrolled: 9-line block ×6, first 2 shown]
	s_or_b64 exec, exec, s[16:17]
	s_waitcnt vmcnt(0)
	v_cndmask_b32_e32 v5, 0, v5, vcc
	v_cndmask_b32_e32 v4, 0, v4, vcc
	v_lshl_add_u64 v[2:3], v[4:5], 0, v[2:3]
	v_cndmask_b32_e64 v5, 0, v7, s[0:1]
	v_cndmask_b32_e64 v4, 0, v6, s[0:1]
	v_lshl_add_u64 v[2:3], v[2:3], 0, v[4:5]
	v_cndmask_b32_e64 v5, 0, v9, s[4:5]
	v_cndmask_b32_e64 v4, 0, v8, s[4:5]
	;; [unrolled: 3-line block ×4, first 2 shown]
	v_mbcnt_lo_u32_b32 v1, -1, 0
	v_lshl_add_u64 v[2:3], v[2:3], 0, v[4:5]
	v_cndmask_b32_e64 v5, 0, v15, s[10:11]
	v_cndmask_b32_e64 v4, 0, v14, s[10:11]
	v_mbcnt_hi_u32_b32 v1, -1, v1
	v_lshl_add_u64 v[2:3], v[2:3], 0, v[4:5]
	v_cndmask_b32_e64 v5, 0, v17, s[12:13]
	v_cndmask_b32_e64 v4, 0, v16, s[12:13]
	v_and_b32_e32 v9, 63, v1
	v_lshl_add_u64 v[2:3], v[2:3], 0, v[4:5]
	s_min_u32 s6, s18, 0x100
	v_and_b32_e32 v4, 0xc0, v0
	v_cmp_ne_u32_e32 vcc, 63, v9
	v_sub_u32_e64 v8, s6, v4 clamp
	v_mov_b32_e32 v6, 0
	v_addc_co_u32_e32 v4, vcc, 0, v1, vcc
	v_lshlrev_b32_e32 v5, 2, v4
	ds_bpermute_b32 v4, v5, v2
	ds_bpermute_b32 v7, v5, v3
	v_add_u32_e32 v10, 1, v9
	v_mov_b32_e32 v5, v6
	v_cmp_lt_u32_e64 s[0:1], v10, v8
	s_waitcnt lgkmcnt(1)
	v_lshl_add_u64 v[4:5], v[2:3], 0, v[4:5]
	v_cmp_gt_u32_e32 vcc, 62, v9
	s_waitcnt lgkmcnt(0)
	v_lshl_add_u64 v[6:7], v[4:5], 0, v[6:7]
	v_cndmask_b32_e64 v12, v2, v4, s[0:1]
	v_cndmask_b32_e64 v4, 0, 2, vcc
	v_cndmask_b32_e64 v5, v3, v7, s[0:1]
	v_add_lshl_u32 v4, v4, v1, 2
	ds_bpermute_b32 v10, v4, v12
	ds_bpermute_b32 v11, v4, v5
	v_cndmask_b32_e64 v4, v2, v6, s[0:1]
	v_add_u32_e32 v13, 2, v9
	v_cmp_lt_u32_e32 vcc, v13, v8
	v_cmp_gt_u32_e64 s[4:5], 60, v9
	s_waitcnt lgkmcnt(0)
	v_lshl_add_u64 v[6:7], v[10:11], 0, v[4:5]
	v_cndmask_b32_e32 v5, v5, v7, vcc
	v_cndmask_b32_e64 v7, 0, 4, s[4:5]
	v_cndmask_b32_e32 v12, v12, v6, vcc
	v_add_lshl_u32 v7, v7, v1, 2
	ds_bpermute_b32 v10, v7, v12
	ds_bpermute_b32 v11, v7, v5
	v_cndmask_b32_e32 v4, v4, v6, vcc
	v_add_u32_e32 v13, 4, v9
	v_cmp_lt_u32_e32 vcc, v13, v8
	v_cmp_gt_u32_e64 s[4:5], 56, v9
	s_waitcnt lgkmcnt(0)
	v_lshl_add_u64 v[6:7], v[10:11], 0, v[4:5]
	v_cndmask_b32_e32 v5, v5, v7, vcc
	v_cndmask_b32_e64 v7, 0, 8, s[4:5]
	v_cndmask_b32_e32 v12, v12, v6, vcc
	v_add_lshl_u32 v7, v7, v1, 2
	ds_bpermute_b32 v10, v7, v12
	ds_bpermute_b32 v11, v7, v5
	v_cndmask_b32_e32 v4, v4, v6, vcc
	v_add_u32_e32 v13, 8, v9
	v_cmp_lt_u32_e32 vcc, v13, v8
	v_cmp_gt_u32_e64 s[4:5], 48, v9
	s_waitcnt lgkmcnt(0)
	v_lshl_add_u64 v[6:7], v[10:11], 0, v[4:5]
	v_cndmask_b32_e32 v5, v5, v7, vcc
	v_cndmask_b32_e64 v7, 0, 16, s[4:5]
	v_cndmask_b32_e32 v12, v12, v6, vcc
	v_add_lshl_u32 v7, v7, v1, 2
	ds_bpermute_b32 v10, v7, v12
	ds_bpermute_b32 v11, v7, v5
	v_cndmask_b32_e32 v4, v4, v6, vcc
	v_add_u32_e32 v13, 16, v9
	v_cmp_lt_u32_e32 vcc, v13, v8
	s_waitcnt lgkmcnt(0)
	v_lshl_add_u64 v[6:7], v[10:11], 0, v[4:5]
	v_lshlrev_b32_e32 v10, 2, v1
	v_cndmask_b32_e32 v13, v5, v7, vcc
	v_cndmask_b32_e32 v11, v12, v6, vcc
	v_or_b32_e32 v12, 0x80, v10
	ds_bpermute_b32 v11, v12, v11
	ds_bpermute_b32 v12, v12, v13
	s_and_saveexec_b64 s[4:5], s[0:1]
	s_cbranch_execz .LBB9_85
; %bb.84:
	v_add_u32_e32 v9, 32, v9
	v_cndmask_b32_e32 v3, v5, v7, vcc
	v_cndmask_b32_e32 v2, v4, v6, vcc
	v_cmp_lt_u32_e32 vcc, v9, v8
	s_waitcnt lgkmcnt(0)
	s_nop 0
	v_cndmask_b32_e32 v5, 0, v12, vcc
	v_cndmask_b32_e32 v4, 0, v11, vcc
	v_lshl_add_u64 v[2:3], v[2:3], 0, v[4:5]
.LBB9_85:
	s_or_b64 exec, exec, s[4:5]
	v_cmp_eq_u32_e32 vcc, 0, v1
	s_and_saveexec_b64 s[0:1], vcc
; %bb.86:
	v_lshrrev_b32_e32 v4, 3, v0
	v_and_b32_e32 v4, 24, v4
	ds_write_b64 v4, v[2:3] offset:160
; %bb.87:
	s_or_b64 exec, exec, s[0:1]
	v_cmp_gt_u32_e32 vcc, 4, v0
	s_waitcnt lgkmcnt(0)
	s_barrier
	s_and_saveexec_b64 s[0:1], vcc
	s_cbranch_execz .LBB9_91
; %bb.88:
	v_lshlrev_b32_e32 v2, 3, v1
	ds_read_b64 v[2:3], v2 offset:160
	v_and_b32_e32 v6, 3, v1
	v_cmp_ne_u32_e32 vcc, 3, v6
	v_mov_b32_e32 v8, 0
	s_add_i32 s6, s6, 63
	v_addc_co_u32_e32 v1, vcc, 0, v1, vcc
	v_lshlrev_b32_e32 v1, 2, v1
	s_waitcnt lgkmcnt(0)
	ds_bpermute_b32 v4, v1, v2
	ds_bpermute_b32 v9, v1, v3
	v_mov_b32_e32 v5, v8
	s_lshr_b32 s6, s6, 6
	v_add_u32_e32 v1, 1, v6
	s_waitcnt lgkmcnt(1)
	v_lshl_add_u64 v[12:13], v[2:3], 0, v[4:5]
	s_waitcnt lgkmcnt(0)
	v_lshl_add_u64 v[4:5], v[8:9], 0, v[12:13]
	v_cmp_gt_u32_e32 vcc, s6, v1
	v_or_b32_e32 v8, 8, v10
	s_nop 0
	v_cndmask_b32_e32 v7, v3, v5, vcc
	v_cndmask_b32_e32 v1, v2, v12, vcc
	ds_bpermute_b32 v1, v8, v1
	ds_bpermute_b32 v7, v8, v7
	s_and_saveexec_b64 s[4:5], vcc
	s_cbranch_execz .LBB9_90
; %bb.89:
	v_add_u32_e32 v2, 2, v6
	v_cmp_gt_u32_e32 vcc, s6, v2
	s_waitcnt lgkmcnt(0)
	s_nop 0
	v_cndmask_b32_e32 v3, 0, v7, vcc
	v_cndmask_b32_e32 v2, 0, v1, vcc
	v_lshl_add_u64 v[2:3], v[2:3], 0, v[4:5]
.LBB9_90:
	s_or_b64 exec, exec, s[4:5]
.LBB9_91:
	s_or_b64 exec, exec, s[0:1]
.LBB9_92:
	v_cmp_eq_u32_e64 s[0:1], 0, v0
	v_mov_b64_e32 v[4:5], s[2:3]
.LBB9_93:
	s_branch .LBB9_120
.LBB9_94:
	s_cmp_eq_u32 s33, 4
                                        ; implicit-def: $vgpr2_vgpr3
                                        ; implicit-def: $vgpr4_vgpr5
	s_cbranch_scc0 .LBB9_120
; %bb.95:
	s_mov_b32 s3, 0
	s_lshl_b32 s0, s2, 10
	s_mov_b32 s1, s3
	s_lshr_b64 s[4:5], s[38:39], 10
	s_lshl_b64 s[6:7], s[0:1], 3
	s_add_u32 s6, s36, s6
	s_addc_u32 s7, s37, s7
	s_cmp_lg_u64 s[4:5], s[2:3]
	s_cbranch_scc0 .LBB9_101
; %bb.96:
	v_lshlrev_b32_e32 v2, 3, v0
	v_mov_b32_e32 v3, 0
	v_lshl_add_u64 v[4:5], s[6:7], 0, v[2:3]
	v_add_co_u32_e32 v4, vcc, 0x1000, v4
	v_mov_b32_e32 v14, v3
	s_nop 0
	v_addc_co_u32_e32 v5, vcc, 0, v5, vcc
	s_waitcnt lgkmcnt(0)
	global_load_dwordx2 v[6:7], v2, s[6:7]
	global_load_dwordx2 v[8:9], v2, s[6:7] offset:2048
	global_load_dwordx2 v[10:11], v[4:5], off
	global_load_dwordx2 v[12:13], v[4:5], off offset:2048
	v_mov_b32_e32 v16, v3
	v_mov_b32_e32 v18, v3
	;; [unrolled: 1-line block ×3, first 2 shown]
	v_mbcnt_lo_u32_b32 v1, -1, 0
	v_mov_b32_e32 v22, v3
	v_mbcnt_hi_u32_b32 v1, -1, v1
	v_lshlrev_b32_e32 v4, 2, v1
	v_or_b32_e32 v5, 0xfc, v4
	v_cmp_eq_u32_e32 vcc, 0, v1
	s_waitcnt vmcnt(2)
	v_lshl_add_u64 v[6:7], v[8:9], 0, v[6:7]
	s_waitcnt vmcnt(1)
	v_lshl_add_u64 v[6:7], v[6:7], 0, v[10:11]
	;; [unrolled: 2-line block ×3, first 2 shown]
	s_nop 1
	v_mov_b32_dpp v2, v6 quad_perm:[1,0,3,2] row_mask:0xf bank_mask:0xf bound_ctrl:1
	v_mov_b32_dpp v15, v7 quad_perm:[1,0,3,2] row_mask:0xf bank_mask:0xf bound_ctrl:1
	v_lshl_add_u64 v[6:7], v[6:7], 0, v[2:3]
	v_lshl_add_u64 v[8:9], v[14:15], 0, v[6:7]
	s_nop 0
	v_mov_b32_dpp v2, v6 quad_perm:[2,3,0,1] row_mask:0xf bank_mask:0xf bound_ctrl:1
	v_mov_b32_dpp v17, v9 quad_perm:[2,3,0,1] row_mask:0xf bank_mask:0xf bound_ctrl:1
	v_lshl_add_u64 v[6:7], v[8:9], 0, v[2:3]
	v_lshl_add_u64 v[8:9], v[6:7], 0, v[16:17]
	s_nop 0
	v_mov_b32_dpp v2, v6 row_ror:4 row_mask:0xf bank_mask:0xf bound_ctrl:1
	v_mov_b32_dpp v19, v9 row_ror:4 row_mask:0xf bank_mask:0xf bound_ctrl:1
	v_lshl_add_u64 v[6:7], v[8:9], 0, v[2:3]
	v_lshl_add_u64 v[8:9], v[6:7], 0, v[18:19]
	s_nop 0
	v_mov_b32_dpp v2, v6 row_ror:8 row_mask:0xf bank_mask:0xf bound_ctrl:1
	v_mov_b32_dpp v21, v9 row_ror:8 row_mask:0xf bank_mask:0xf bound_ctrl:1
	v_lshl_add_u64 v[6:7], v[8:9], 0, v[2:3]
	v_lshl_add_u64 v[8:9], v[6:7], 0, v[20:21]
	s_nop 0
	v_mov_b32_dpp v2, v6 row_bcast:15 row_mask:0xf bank_mask:0xf bound_ctrl:1
	v_mov_b32_dpp v23, v9 row_bcast:15 row_mask:0xf bank_mask:0xf bound_ctrl:1
	v_lshl_add_u64 v[6:7], v[8:9], 0, v[2:3]
	v_lshl_add_u64 v[8:9], v[6:7], 0, v[22:23]
	s_nop 0
	v_mov_b32_dpp v2, v6 row_bcast:31 row_mask:0xf bank_mask:0xf bound_ctrl:1
	v_lshl_add_u64 v[2:3], v[8:9], 0, v[2:3]
	ds_bpermute_b32 v2, v5, v2
	s_nop 0
	v_add_u32_dpp v3, v9, v3 row_bcast:31 row_mask:0xf bank_mask:0xf bound_ctrl:1
	ds_bpermute_b32 v3, v5, v3
	s_and_saveexec_b64 s[4:5], vcc
	s_cbranch_execz .LBB9_98
; %bb.97:
	v_lshrrev_b32_e32 v5, 3, v0
	v_and_b32_e32 v5, 24, v5
	s_waitcnt lgkmcnt(0)
	ds_write_b64 v5, v[2:3] offset:96
.LBB9_98:
	s_or_b64 exec, exec, s[4:5]
	v_cmp_gt_u32_e32 vcc, 64, v0
	s_waitcnt lgkmcnt(0)
	s_barrier
	s_and_saveexec_b64 s[4:5], vcc
	s_cbranch_execz .LBB9_100
; %bb.99:
	v_and_b32_e32 v5, 3, v1
	v_lshlrev_b32_e32 v2, 3, v5
	ds_read_b64 v[2:3], v2 offset:96
	v_cmp_ne_u32_e32 vcc, 3, v5
	v_mov_b32_e32 v8, 0
	v_mov_b32_e32 v7, v8
	v_addc_co_u32_e32 v1, vcc, 0, v1, vcc
	v_lshlrev_b32_e32 v1, 2, v1
	s_waitcnt lgkmcnt(0)
	ds_bpermute_b32 v6, v1, v2
	ds_bpermute_b32 v9, v1, v3
	v_or_b32_e32 v1, 8, v4
	s_waitcnt lgkmcnt(1)
	v_lshl_add_u64 v[2:3], v[2:3], 0, v[6:7]
	s_waitcnt lgkmcnt(0)
	v_lshl_add_u64 v[4:5], v[8:9], 0, v[2:3]
	ds_bpermute_b32 v2, v1, v2
	ds_bpermute_b32 v9, v1, v5
	v_mov_b32_e32 v3, v8
	s_waitcnt lgkmcnt(1)
	v_lshl_add_u64 v[2:3], v[4:5], 0, v[2:3]
	s_waitcnt lgkmcnt(0)
	v_lshl_add_u64 v[2:3], v[2:3], 0, v[8:9]
.LBB9_100:
	s_or_b64 exec, exec, s[4:5]
	s_branch .LBB9_119
.LBB9_101:
                                        ; implicit-def: $vgpr2_vgpr3
	s_cbranch_execz .LBB9_119
; %bb.102:
	s_sub_i32 s10, s38, s0
	v_mov_b32_e32 v2, 0
	v_cmp_gt_u32_e32 vcc, s10, v0
	v_mov_b32_e32 v3, v2
	v_mov_b32_e32 v4, v2
	;; [unrolled: 1-line block ×4, first 2 shown]
	s_waitcnt lgkmcnt(0)
	v_mov_b32_e32 v7, v2
	v_mov_b32_e32 v8, v2
	;; [unrolled: 1-line block ×3, first 2 shown]
	s_and_saveexec_b64 s[0:1], vcc
	s_cbranch_execz .LBB9_104
; %bb.103:
	v_lshlrev_b32_e32 v1, 3, v0
	global_load_dwordx2 v[4:5], v1, s[6:7]
	v_mov_b32_e32 v6, v2
	v_mov_b32_e32 v7, v2
	;; [unrolled: 1-line block ×6, first 2 shown]
	s_waitcnt vmcnt(0)
	v_mov_b64_e32 v[2:3], v[4:5]
	v_mov_b64_e32 v[4:5], v[6:7]
	;; [unrolled: 1-line block ×4, first 2 shown]
.LBB9_104:
	s_or_b64 exec, exec, s[0:1]
	v_or_b32_e32 v1, 0x100, v0
	v_cmp_gt_u32_e32 vcc, s10, v1
	s_and_saveexec_b64 s[0:1], vcc
	s_cbranch_execz .LBB9_106
; %bb.105:
	v_lshlrev_b32_e32 v1, 3, v0
	global_load_dwordx2 v[4:5], v1, s[6:7] offset:2048
.LBB9_106:
	s_or_b64 exec, exec, s[0:1]
	v_or_b32_e32 v1, 0x200, v0
	v_cmp_gt_u32_e64 s[0:1], s10, v1
	s_and_saveexec_b64 s[4:5], s[0:1]
	s_cbranch_execz .LBB9_108
; %bb.107:
	v_lshlrev_b32_e32 v1, 3, v1
	global_load_dwordx2 v[6:7], v1, s[6:7]
.LBB9_108:
	s_or_b64 exec, exec, s[4:5]
	v_or_b32_e32 v1, 0x300, v0
	v_cmp_gt_u32_e64 s[4:5], s10, v1
	s_and_saveexec_b64 s[8:9], s[4:5]
	s_cbranch_execz .LBB9_110
; %bb.109:
	v_lshlrev_b32_e32 v1, 3, v1
	global_load_dwordx2 v[8:9], v1, s[6:7]
.LBB9_110:
	s_or_b64 exec, exec, s[8:9]
	s_waitcnt vmcnt(0)
	v_cndmask_b32_e32 v5, 0, v5, vcc
	v_cndmask_b32_e32 v4, 0, v4, vcc
	v_mbcnt_lo_u32_b32 v1, -1, 0
	v_lshl_add_u64 v[2:3], v[4:5], 0, v[2:3]
	v_cndmask_b32_e64 v5, 0, v7, s[0:1]
	v_cndmask_b32_e64 v4, 0, v6, s[0:1]
	v_mbcnt_hi_u32_b32 v1, -1, v1
	v_lshl_add_u64 v[2:3], v[2:3], 0, v[4:5]
	v_cndmask_b32_e64 v5, 0, v9, s[4:5]
	v_cndmask_b32_e64 v4, 0, v8, s[4:5]
	v_and_b32_e32 v9, 63, v1
	v_lshl_add_u64 v[2:3], v[2:3], 0, v[4:5]
	s_min_u32 s6, s10, 0x100
	v_and_b32_e32 v4, 0xc0, v0
	v_cmp_ne_u32_e32 vcc, 63, v9
	v_sub_u32_e64 v8, s6, v4 clamp
	v_mov_b32_e32 v6, 0
	v_addc_co_u32_e32 v4, vcc, 0, v1, vcc
	v_lshlrev_b32_e32 v5, 2, v4
	ds_bpermute_b32 v4, v5, v2
	ds_bpermute_b32 v7, v5, v3
	v_add_u32_e32 v10, 1, v9
	v_mov_b32_e32 v5, v6
	v_cmp_lt_u32_e64 s[0:1], v10, v8
	s_waitcnt lgkmcnt(1)
	v_lshl_add_u64 v[4:5], v[2:3], 0, v[4:5]
	v_cmp_gt_u32_e32 vcc, 62, v9
	s_waitcnt lgkmcnt(0)
	v_lshl_add_u64 v[6:7], v[6:7], 0, v[4:5]
	v_cndmask_b32_e64 v12, v2, v4, s[0:1]
	v_cndmask_b32_e64 v4, 0, 2, vcc
	v_cndmask_b32_e64 v5, v3, v7, s[0:1]
	v_add_lshl_u32 v4, v4, v1, 2
	ds_bpermute_b32 v10, v4, v12
	ds_bpermute_b32 v11, v4, v5
	v_cndmask_b32_e64 v4, v2, v6, s[0:1]
	v_add_u32_e32 v13, 2, v9
	v_cmp_lt_u32_e32 vcc, v13, v8
	v_cmp_gt_u32_e64 s[4:5], 60, v9
	s_waitcnt lgkmcnt(0)
	v_lshl_add_u64 v[6:7], v[10:11], 0, v[4:5]
	v_cndmask_b32_e32 v5, v5, v7, vcc
	v_cndmask_b32_e64 v7, 0, 4, s[4:5]
	v_cndmask_b32_e32 v12, v12, v6, vcc
	v_add_lshl_u32 v7, v7, v1, 2
	ds_bpermute_b32 v10, v7, v12
	ds_bpermute_b32 v11, v7, v5
	v_cndmask_b32_e32 v4, v4, v6, vcc
	v_add_u32_e32 v13, 4, v9
	v_cmp_lt_u32_e32 vcc, v13, v8
	v_cmp_gt_u32_e64 s[4:5], 56, v9
	s_waitcnt lgkmcnt(0)
	v_lshl_add_u64 v[6:7], v[10:11], 0, v[4:5]
	v_cndmask_b32_e32 v5, v5, v7, vcc
	v_cndmask_b32_e64 v7, 0, 8, s[4:5]
	v_cndmask_b32_e32 v12, v12, v6, vcc
	v_add_lshl_u32 v7, v7, v1, 2
	ds_bpermute_b32 v10, v7, v12
	ds_bpermute_b32 v11, v7, v5
	v_cndmask_b32_e32 v4, v4, v6, vcc
	;; [unrolled: 12-line block ×3, first 2 shown]
	v_add_u32_e32 v13, 16, v9
	v_cmp_lt_u32_e32 vcc, v13, v8
	s_waitcnt lgkmcnt(0)
	v_lshl_add_u64 v[6:7], v[10:11], 0, v[4:5]
	v_lshlrev_b32_e32 v10, 2, v1
	v_cndmask_b32_e32 v13, v5, v7, vcc
	v_cndmask_b32_e32 v11, v12, v6, vcc
	v_or_b32_e32 v12, 0x80, v10
	ds_bpermute_b32 v11, v12, v11
	ds_bpermute_b32 v12, v12, v13
	s_and_saveexec_b64 s[4:5], s[0:1]
	s_cbranch_execz .LBB9_112
; %bb.111:
	v_add_u32_e32 v9, 32, v9
	v_cndmask_b32_e32 v3, v5, v7, vcc
	v_cndmask_b32_e32 v2, v4, v6, vcc
	v_cmp_lt_u32_e32 vcc, v9, v8
	s_waitcnt lgkmcnt(0)
	s_nop 0
	v_cndmask_b32_e32 v5, 0, v12, vcc
	v_cndmask_b32_e32 v4, 0, v11, vcc
	v_lshl_add_u64 v[2:3], v[4:5], 0, v[2:3]
.LBB9_112:
	s_or_b64 exec, exec, s[4:5]
	v_cmp_eq_u32_e32 vcc, 0, v1
	s_and_saveexec_b64 s[0:1], vcc
; %bb.113:
	v_lshrrev_b32_e32 v4, 3, v0
	v_and_b32_e32 v4, 24, v4
	ds_write_b64 v4, v[2:3] offset:160
; %bb.114:
	s_or_b64 exec, exec, s[0:1]
	v_cmp_gt_u32_e32 vcc, 4, v0
	s_waitcnt lgkmcnt(0)
	s_barrier
	s_and_saveexec_b64 s[0:1], vcc
	s_cbranch_execz .LBB9_118
; %bb.115:
	v_lshlrev_b32_e32 v2, 3, v1
	ds_read_b64 v[2:3], v2 offset:160
	v_and_b32_e32 v6, 3, v1
	v_cmp_ne_u32_e32 vcc, 3, v6
	v_mov_b32_e32 v8, 0
	s_add_i32 s6, s6, 63
	v_addc_co_u32_e32 v1, vcc, 0, v1, vcc
	v_lshlrev_b32_e32 v1, 2, v1
	s_waitcnt lgkmcnt(0)
	ds_bpermute_b32 v4, v1, v2
	ds_bpermute_b32 v9, v1, v3
	v_mov_b32_e32 v5, v8
	s_lshr_b32 s6, s6, 6
	v_add_u32_e32 v1, 1, v6
	s_waitcnt lgkmcnt(1)
	v_lshl_add_u64 v[12:13], v[2:3], 0, v[4:5]
	s_waitcnt lgkmcnt(0)
	v_lshl_add_u64 v[4:5], v[8:9], 0, v[12:13]
	v_cmp_gt_u32_e32 vcc, s6, v1
	v_or_b32_e32 v8, 8, v10
	s_nop 0
	v_cndmask_b32_e32 v7, v3, v5, vcc
	v_cndmask_b32_e32 v1, v2, v12, vcc
	ds_bpermute_b32 v1, v8, v1
	ds_bpermute_b32 v7, v8, v7
	s_and_saveexec_b64 s[4:5], vcc
	s_cbranch_execz .LBB9_117
; %bb.116:
	v_add_u32_e32 v2, 2, v6
	v_cmp_gt_u32_e32 vcc, s6, v2
	s_waitcnt lgkmcnt(0)
	s_nop 0
	v_cndmask_b32_e32 v3, 0, v7, vcc
	v_cndmask_b32_e32 v2, 0, v1, vcc
	v_lshl_add_u64 v[2:3], v[2:3], 0, v[4:5]
.LBB9_117:
	s_or_b64 exec, exec, s[4:5]
.LBB9_118:
	s_or_b64 exec, exec, s[0:1]
.LBB9_119:
	v_cmp_eq_u32_e64 s[0:1], 0, v0
	v_mov_b64_e32 v[4:5], s[2:3]
.LBB9_120:
	s_branch .LBB9_166
.LBB9_121:
	s_cmp_gt_i32 s33, 1
	s_cbranch_scc0 .LBB9_129
; %bb.122:
	s_cmp_eq_u32 s33, 2
                                        ; implicit-def: $vgpr2_vgpr3
                                        ; implicit-def: $vgpr4_vgpr5
	s_cbranch_scc0 .LBB9_130
; %bb.123:
	s_mov_b32 s3, 0
	s_lshl_b32 s4, s2, 9
	s_mov_b32 s5, s3
	s_lshr_b64 s[6:7], s[38:39], 9
	s_lshl_b64 s[0:1], s[4:5], 3
	s_add_u32 s0, s36, s0
	s_addc_u32 s1, s37, s1
	s_cmp_lg_u64 s[6:7], s[2:3]
	s_cbranch_scc0 .LBB9_131
; %bb.124:
	s_waitcnt lgkmcnt(1)
	v_lshlrev_b32_e32 v1, 3, v0
	global_load_dwordx2 v[2:3], v1, s[0:1]
	s_waitcnt lgkmcnt(0)
	global_load_dwordx2 v[6:7], v1, s[0:1] offset:2048
	v_mov_b32_e32 v8, 0
	v_mov_b32_e32 v11, v8
	;; [unrolled: 1-line block ×6, first 2 shown]
	v_mbcnt_lo_u32_b32 v1, -1, 0
	v_mbcnt_hi_u32_b32 v1, -1, v1
	v_mov_b32_e32 v21, v8
	v_lshlrev_b32_e32 v4, 2, v1
	v_or_b32_e32 v5, 0xfc, v4
	v_cmp_eq_u32_e32 vcc, 0, v1
	s_waitcnt vmcnt(0)
	v_lshl_add_u64 v[2:3], v[6:7], 0, v[2:3]
	s_nop 1
	v_mov_b32_dpp v10, v2 quad_perm:[1,0,3,2] row_mask:0xf bank_mask:0xf bound_ctrl:1
	v_mov_b32_dpp v9, v3 quad_perm:[1,0,3,2] row_mask:0xf bank_mask:0xf bound_ctrl:1
	v_lshl_add_u64 v[2:3], v[2:3], 0, v[10:11]
	v_lshl_add_u64 v[6:7], v[8:9], 0, v[2:3]
	s_nop 0
	v_mov_b32_dpp v12, v2 quad_perm:[2,3,0,1] row_mask:0xf bank_mask:0xf bound_ctrl:1
	v_mov_b32_dpp v9, v7 quad_perm:[2,3,0,1] row_mask:0xf bank_mask:0xf bound_ctrl:1
	v_lshl_add_u64 v[2:3], v[6:7], 0, v[12:13]
	v_lshl_add_u64 v[6:7], v[2:3], 0, v[8:9]
	s_nop 0
	v_mov_b32_dpp v14, v2 row_ror:4 row_mask:0xf bank_mask:0xf bound_ctrl:1
	v_mov_b32_dpp v9, v7 row_ror:4 row_mask:0xf bank_mask:0xf bound_ctrl:1
	v_lshl_add_u64 v[2:3], v[6:7], 0, v[14:15]
	v_lshl_add_u64 v[6:7], v[2:3], 0, v[8:9]
	s_nop 0
	v_mov_b32_dpp v16, v2 row_ror:8 row_mask:0xf bank_mask:0xf bound_ctrl:1
	v_mov_b32_dpp v9, v7 row_ror:8 row_mask:0xf bank_mask:0xf bound_ctrl:1
	v_lshl_add_u64 v[2:3], v[6:7], 0, v[16:17]
	v_lshl_add_u64 v[6:7], v[2:3], 0, v[8:9]
	s_nop 0
	v_mov_b32_dpp v18, v2 row_bcast:15 row_mask:0xf bank_mask:0xf bound_ctrl:1
	v_mov_b32_dpp v9, v7 row_bcast:15 row_mask:0xf bank_mask:0xf bound_ctrl:1
	v_lshl_add_u64 v[2:3], v[6:7], 0, v[18:19]
	v_lshl_add_u64 v[6:7], v[2:3], 0, v[8:9]
	s_nop 0
	v_mov_b32_dpp v20, v2 row_bcast:31 row_mask:0xf bank_mask:0xf bound_ctrl:1
	v_lshl_add_u64 v[2:3], v[6:7], 0, v[20:21]
	ds_bpermute_b32 v2, v5, v2
	s_nop 0
	v_add_u32_dpp v3, v7, v3 row_bcast:31 row_mask:0xf bank_mask:0xf bound_ctrl:1
	ds_bpermute_b32 v3, v5, v3
	s_and_saveexec_b64 s[6:7], vcc
	s_cbranch_execz .LBB9_126
; %bb.125:
	v_lshrrev_b32_e32 v5, 3, v0
	v_and_b32_e32 v5, 24, v5
	s_waitcnt lgkmcnt(0)
	ds_write_b64 v5, v[2:3] offset:64
.LBB9_126:
	s_or_b64 exec, exec, s[6:7]
	v_cmp_gt_u32_e32 vcc, 64, v0
	s_waitcnt lgkmcnt(0)
	s_barrier
	s_and_saveexec_b64 s[6:7], vcc
	s_cbranch_execz .LBB9_128
; %bb.127:
	v_and_b32_e32 v5, 3, v1
	v_lshlrev_b32_e32 v2, 3, v5
	ds_read_b64 v[2:3], v2 offset:64
	v_cmp_ne_u32_e32 vcc, 3, v5
	v_mov_b32_e32 v8, 0
	v_mov_b32_e32 v7, v8
	v_addc_co_u32_e32 v1, vcc, 0, v1, vcc
	v_lshlrev_b32_e32 v1, 2, v1
	s_waitcnt lgkmcnt(0)
	ds_bpermute_b32 v6, v1, v2
	ds_bpermute_b32 v9, v1, v3
	v_or_b32_e32 v1, 8, v4
	s_waitcnt lgkmcnt(1)
	v_lshl_add_u64 v[2:3], v[2:3], 0, v[6:7]
	s_waitcnt lgkmcnt(0)
	v_lshl_add_u64 v[4:5], v[8:9], 0, v[2:3]
	ds_bpermute_b32 v2, v1, v2
	ds_bpermute_b32 v9, v1, v5
	v_mov_b32_e32 v3, v8
	s_waitcnt lgkmcnt(1)
	v_lshl_add_u64 v[2:3], v[4:5], 0, v[2:3]
	s_waitcnt lgkmcnt(0)
	v_lshl_add_u64 v[2:3], v[2:3], 0, v[8:9]
.LBB9_128:
	s_or_b64 exec, exec, s[6:7]
	s_branch .LBB9_145
.LBB9_129:
                                        ; implicit-def: $vgpr2_vgpr3
                                        ; implicit-def: $vgpr4_vgpr5
	s_cbranch_execnz .LBB9_146
	s_branch .LBB9_166
.LBB9_130:
	s_branch .LBB9_166
.LBB9_131:
                                        ; implicit-def: $vgpr2_vgpr3
	s_cbranch_execz .LBB9_145
; %bb.132:
	s_sub_i32 s6, s38, s4
	v_mov_b32_e32 v2, 0
	v_cmp_gt_u32_e32 vcc, s6, v0
	v_mov_b32_e32 v3, v2
	v_mov_b32_e32 v4, v2
	v_mov_b32_e32 v5, v2
	s_and_saveexec_b64 s[4:5], vcc
	s_cbranch_execz .LBB9_134
; %bb.133:
	s_waitcnt lgkmcnt(1)
	v_lshlrev_b32_e32 v1, 3, v0
	global_load_dwordx2 v[4:5], v1, s[0:1]
	v_mov_b32_e32 v6, v2
	s_waitcnt lgkmcnt(0)
	v_mov_b32_e32 v7, v2
	s_waitcnt vmcnt(0)
	v_mov_b64_e32 v[2:3], v[4:5]
	v_mov_b64_e32 v[4:5], v[6:7]
.LBB9_134:
	s_or_b64 exec, exec, s[4:5]
	s_waitcnt lgkmcnt(1)
	v_or_b32_e32 v1, 0x100, v0
	v_cmp_gt_u32_e32 vcc, s6, v1
	s_and_saveexec_b64 s[4:5], vcc
	s_cbranch_execz .LBB9_136
; %bb.135:
	v_lshlrev_b32_e32 v1, 3, v0
	global_load_dwordx2 v[4:5], v1, s[0:1] offset:2048
.LBB9_136:
	s_or_b64 exec, exec, s[4:5]
	v_mbcnt_lo_u32_b32 v1, -1, 0
	v_mbcnt_hi_u32_b32 v1, -1, v1
	s_waitcnt vmcnt(0)
	v_cndmask_b32_e32 v5, 0, v5, vcc
	v_cndmask_b32_e32 v4, 0, v4, vcc
	v_and_b32_e32 v9, 63, v1
	v_lshl_add_u64 v[2:3], v[4:5], 0, v[2:3]
	s_min_u32 s6, s6, 0x100
	v_and_b32_e32 v4, 0xc0, v0
	v_cmp_ne_u32_e32 vcc, 63, v9
	v_sub_u32_e64 v8, s6, v4 clamp
	v_mov_b32_e32 v6, 0
	v_addc_co_u32_e32 v4, vcc, 0, v1, vcc
	v_lshlrev_b32_e32 v5, 2, v4
	ds_bpermute_b32 v4, v5, v2
	s_waitcnt lgkmcnt(1)
	ds_bpermute_b32 v7, v5, v3
	v_add_u32_e32 v10, 1, v9
	v_mov_b32_e32 v5, v6
	v_cmp_lt_u32_e64 s[0:1], v10, v8
	s_waitcnt lgkmcnt(1)
	v_lshl_add_u64 v[4:5], v[2:3], 0, v[4:5]
	v_cmp_gt_u32_e32 vcc, 62, v9
	s_waitcnt lgkmcnt(0)
	v_lshl_add_u64 v[6:7], v[6:7], 0, v[4:5]
	v_cndmask_b32_e64 v12, v2, v4, s[0:1]
	v_cndmask_b32_e64 v4, 0, 2, vcc
	v_cndmask_b32_e64 v5, v3, v7, s[0:1]
	v_add_lshl_u32 v4, v4, v1, 2
	ds_bpermute_b32 v10, v4, v12
	ds_bpermute_b32 v11, v4, v5
	v_cndmask_b32_e64 v4, v2, v6, s[0:1]
	v_add_u32_e32 v13, 2, v9
	v_cmp_lt_u32_e32 vcc, v13, v8
	v_cmp_gt_u32_e64 s[4:5], 60, v9
	s_waitcnt lgkmcnt(0)
	v_lshl_add_u64 v[6:7], v[10:11], 0, v[4:5]
	v_cndmask_b32_e32 v5, v5, v7, vcc
	v_cndmask_b32_e64 v7, 0, 4, s[4:5]
	v_cndmask_b32_e32 v12, v12, v6, vcc
	v_add_lshl_u32 v7, v7, v1, 2
	ds_bpermute_b32 v10, v7, v12
	ds_bpermute_b32 v11, v7, v5
	v_cndmask_b32_e32 v4, v4, v6, vcc
	v_add_u32_e32 v13, 4, v9
	v_cmp_lt_u32_e32 vcc, v13, v8
	v_cmp_gt_u32_e64 s[4:5], 56, v9
	s_waitcnt lgkmcnt(0)
	v_lshl_add_u64 v[6:7], v[10:11], 0, v[4:5]
	v_cndmask_b32_e32 v5, v5, v7, vcc
	v_cndmask_b32_e64 v7, 0, 8, s[4:5]
	v_cndmask_b32_e32 v12, v12, v6, vcc
	v_add_lshl_u32 v7, v7, v1, 2
	ds_bpermute_b32 v10, v7, v12
	ds_bpermute_b32 v11, v7, v5
	v_cndmask_b32_e32 v4, v4, v6, vcc
	;; [unrolled: 12-line block ×3, first 2 shown]
	v_add_u32_e32 v13, 16, v9
	v_cmp_lt_u32_e32 vcc, v13, v8
	s_waitcnt lgkmcnt(0)
	v_lshl_add_u64 v[6:7], v[10:11], 0, v[4:5]
	v_lshlrev_b32_e32 v10, 2, v1
	v_cndmask_b32_e32 v13, v5, v7, vcc
	v_cndmask_b32_e32 v11, v12, v6, vcc
	v_or_b32_e32 v12, 0x80, v10
	ds_bpermute_b32 v11, v12, v11
	ds_bpermute_b32 v12, v12, v13
	s_and_saveexec_b64 s[4:5], s[0:1]
	s_cbranch_execz .LBB9_138
; %bb.137:
	v_add_u32_e32 v9, 32, v9
	v_cndmask_b32_e32 v3, v5, v7, vcc
	v_cndmask_b32_e32 v2, v4, v6, vcc
	v_cmp_lt_u32_e32 vcc, v9, v8
	s_waitcnt lgkmcnt(0)
	s_nop 0
	v_cndmask_b32_e32 v5, 0, v12, vcc
	v_cndmask_b32_e32 v4, 0, v11, vcc
	v_lshl_add_u64 v[2:3], v[4:5], 0, v[2:3]
.LBB9_138:
	s_or_b64 exec, exec, s[4:5]
	v_cmp_eq_u32_e32 vcc, 0, v1
	s_and_saveexec_b64 s[0:1], vcc
; %bb.139:
	v_lshrrev_b32_e32 v4, 3, v0
	v_and_b32_e32 v4, 24, v4
	ds_write_b64 v4, v[2:3] offset:160
; %bb.140:
	s_or_b64 exec, exec, s[0:1]
	v_cmp_gt_u32_e32 vcc, 4, v0
	s_waitcnt lgkmcnt(0)
	s_barrier
	s_and_saveexec_b64 s[0:1], vcc
	s_cbranch_execz .LBB9_144
; %bb.141:
	v_lshlrev_b32_e32 v2, 3, v1
	ds_read_b64 v[2:3], v2 offset:160
	v_and_b32_e32 v6, 3, v1
	v_cmp_ne_u32_e32 vcc, 3, v6
	v_mov_b32_e32 v8, 0
	s_add_i32 s6, s6, 63
	v_addc_co_u32_e32 v1, vcc, 0, v1, vcc
	v_lshlrev_b32_e32 v1, 2, v1
	s_waitcnt lgkmcnt(0)
	ds_bpermute_b32 v4, v1, v2
	ds_bpermute_b32 v9, v1, v3
	v_mov_b32_e32 v5, v8
	s_lshr_b32 s6, s6, 6
	v_add_u32_e32 v1, 1, v6
	s_waitcnt lgkmcnt(1)
	v_lshl_add_u64 v[12:13], v[2:3], 0, v[4:5]
	s_waitcnt lgkmcnt(0)
	v_lshl_add_u64 v[4:5], v[8:9], 0, v[12:13]
	v_cmp_gt_u32_e32 vcc, s6, v1
	v_or_b32_e32 v8, 8, v10
	s_nop 0
	v_cndmask_b32_e32 v7, v3, v5, vcc
	v_cndmask_b32_e32 v1, v2, v12, vcc
	ds_bpermute_b32 v1, v8, v1
	ds_bpermute_b32 v7, v8, v7
	s_and_saveexec_b64 s[4:5], vcc
	s_cbranch_execz .LBB9_143
; %bb.142:
	v_add_u32_e32 v2, 2, v6
	v_cmp_gt_u32_e32 vcc, s6, v2
	s_waitcnt lgkmcnt(0)
	s_nop 0
	v_cndmask_b32_e32 v3, 0, v7, vcc
	v_cndmask_b32_e32 v2, 0, v1, vcc
	v_lshl_add_u64 v[2:3], v[2:3], 0, v[4:5]
.LBB9_143:
	s_or_b64 exec, exec, s[4:5]
.LBB9_144:
	s_or_b64 exec, exec, s[0:1]
.LBB9_145:
	v_cmp_eq_u32_e64 s[0:1], 0, v0
	v_mov_b64_e32 v[4:5], s[2:3]
	s_branch .LBB9_166
.LBB9_146:
	s_cmp_eq_u32 s33, 1
                                        ; implicit-def: $vgpr2_vgpr3
                                        ; implicit-def: $vgpr4_vgpr5
	s_cbranch_scc0 .LBB9_166
; %bb.147:
	s_mov_b32 s1, 0
	s_lshl_b32 s0, s2, 8
	s_mov_b32 s3, s1
	s_lshr_b64 s[4:5], s[38:39], 8
	s_cmp_lg_u64 s[4:5], s[2:3]
	s_waitcnt lgkmcnt(1)
	v_mbcnt_lo_u32_b32 v1, -1, 0
	s_cbranch_scc0 .LBB9_153
; %bb.148:
	s_lshl_b64 s[4:5], s[0:1], 3
	s_add_u32 s4, s36, s4
	s_addc_u32 s5, s37, s5
	v_lshlrev_b32_e32 v2, 3, v0
	global_load_dwordx2 v[2:3], v2, s[4:5]
	v_mov_b32_e32 v6, 0
	v_mov_b32_e32 v9, v6
	;; [unrolled: 1-line block ×6, first 2 shown]
	v_mbcnt_hi_u32_b32 v4, -1, v1
	v_mov_b32_e32 v19, v6
	v_lshlrev_b32_e32 v5, 2, v4
	v_or_b32_e32 v20, 0xfc, v5
	v_cmp_eq_u32_e32 vcc, 0, v4
	s_waitcnt vmcnt(0)
	v_mov_b32_dpp v8, v2 quad_perm:[1,0,3,2] row_mask:0xf bank_mask:0xf bound_ctrl:1
	s_waitcnt lgkmcnt(0)
	v_mov_b32_dpp v7, v3 quad_perm:[1,0,3,2] row_mask:0xf bank_mask:0xf bound_ctrl:1
	v_lshl_add_u64 v[2:3], v[2:3], 0, v[8:9]
	v_lshl_add_u64 v[8:9], v[6:7], 0, v[2:3]
	s_nop 0
	v_mov_b32_dpp v10, v2 quad_perm:[2,3,0,1] row_mask:0xf bank_mask:0xf bound_ctrl:1
	v_mov_b32_dpp v7, v9 quad_perm:[2,3,0,1] row_mask:0xf bank_mask:0xf bound_ctrl:1
	v_lshl_add_u64 v[2:3], v[8:9], 0, v[10:11]
	v_lshl_add_u64 v[8:9], v[2:3], 0, v[6:7]
	s_nop 0
	v_mov_b32_dpp v12, v2 row_ror:4 row_mask:0xf bank_mask:0xf bound_ctrl:1
	v_mov_b32_dpp v7, v9 row_ror:4 row_mask:0xf bank_mask:0xf bound_ctrl:1
	v_lshl_add_u64 v[2:3], v[8:9], 0, v[12:13]
	v_lshl_add_u64 v[8:9], v[2:3], 0, v[6:7]
	s_nop 0
	v_mov_b32_dpp v14, v2 row_ror:8 row_mask:0xf bank_mask:0xf bound_ctrl:1
	v_mov_b32_dpp v7, v9 row_ror:8 row_mask:0xf bank_mask:0xf bound_ctrl:1
	v_lshl_add_u64 v[2:3], v[8:9], 0, v[14:15]
	v_lshl_add_u64 v[8:9], v[2:3], 0, v[6:7]
	s_nop 0
	v_mov_b32_dpp v16, v2 row_bcast:15 row_mask:0xf bank_mask:0xf bound_ctrl:1
	v_mov_b32_dpp v7, v9 row_bcast:15 row_mask:0xf bank_mask:0xf bound_ctrl:1
	v_lshl_add_u64 v[2:3], v[8:9], 0, v[16:17]
	v_lshl_add_u64 v[6:7], v[2:3], 0, v[6:7]
	s_nop 0
	v_mov_b32_dpp v18, v2 row_bcast:31 row_mask:0xf bank_mask:0xf bound_ctrl:1
	v_lshl_add_u64 v[2:3], v[6:7], 0, v[18:19]
	ds_bpermute_b32 v2, v20, v2
	s_nop 0
	v_add_u32_dpp v3, v7, v3 row_bcast:31 row_mask:0xf bank_mask:0xf bound_ctrl:1
	ds_bpermute_b32 v3, v20, v3
	s_and_saveexec_b64 s[4:5], vcc
	s_cbranch_execz .LBB9_150
; %bb.149:
	v_lshrrev_b32_e32 v6, 3, v0
	v_and_b32_e32 v6, 24, v6
	s_waitcnt lgkmcnt(0)
	ds_write_b64 v6, v[2:3] offset:32
.LBB9_150:
	s_or_b64 exec, exec, s[4:5]
	v_cmp_gt_u32_e32 vcc, 64, v0
	s_waitcnt lgkmcnt(0)
	s_barrier
	s_and_saveexec_b64 s[4:5], vcc
	s_cbranch_execz .LBB9_152
; %bb.151:
	v_and_b32_e32 v6, 3, v4
	v_lshlrev_b32_e32 v2, 3, v6
	ds_read_b64 v[2:3], v2 offset:32
	v_cmp_ne_u32_e32 vcc, 3, v6
	v_or_b32_e32 v8, 8, v5
	s_nop 0
	v_addc_co_u32_e32 v4, vcc, 0, v4, vcc
	v_lshlrev_b32_e32 v6, 2, v4
	s_waitcnt lgkmcnt(0)
	ds_bpermute_b32 v4, v6, v2
	ds_bpermute_b32 v7, v6, v3
	v_mov_b32_e32 v6, 0
	v_mov_b32_e32 v5, v6
	s_waitcnt lgkmcnt(1)
	v_lshl_add_u64 v[2:3], v[2:3], 0, v[4:5]
	s_waitcnt lgkmcnt(0)
	v_lshl_add_u64 v[4:5], v[6:7], 0, v[2:3]
	ds_bpermute_b32 v2, v8, v2
	ds_bpermute_b32 v7, v8, v5
	v_mov_b32_e32 v3, v6
	s_waitcnt lgkmcnt(1)
	v_lshl_add_u64 v[2:3], v[4:5], 0, v[2:3]
	s_waitcnt lgkmcnt(0)
	v_lshl_add_u64 v[2:3], v[2:3], 0, v[6:7]
.LBB9_152:
	s_or_b64 exec, exec, s[4:5]
	s_branch .LBB9_165
.LBB9_153:
                                        ; implicit-def: $vgpr2_vgpr3
	s_cbranch_execz .LBB9_165
; %bb.154:
	s_sub_i32 s6, s38, s0
	v_cmp_gt_u32_e32 vcc, s6, v0
                                        ; implicit-def: $vgpr2_vgpr3
	s_and_saveexec_b64 s[4:5], vcc
	s_cbranch_execz .LBB9_156
; %bb.155:
	s_lshl_b64 s[0:1], s[0:1], 3
	s_add_u32 s0, s36, s0
	s_addc_u32 s1, s37, s1
	v_lshlrev_b32_e32 v2, 3, v0
	global_load_dwordx2 v[2:3], v2, s[0:1]
.LBB9_156:
	s_or_b64 exec, exec, s[4:5]
	v_mbcnt_hi_u32_b32 v1, -1, v1
	v_and_b32_e32 v9, 63, v1
	s_min_u32 s6, s6, 0x100
	v_and_b32_e32 v4, 0xc0, v0
	v_cmp_ne_u32_e32 vcc, 63, v9
	v_sub_u32_e64 v8, s6, v4 clamp
	v_mov_b32_e32 v6, 0
	v_addc_co_u32_e32 v4, vcc, 0, v1, vcc
	v_lshlrev_b32_e32 v5, 2, v4
	s_waitcnt vmcnt(0)
	ds_bpermute_b32 v4, v5, v2
	s_waitcnt lgkmcnt(1)
	ds_bpermute_b32 v7, v5, v3
	v_add_u32_e32 v10, 1, v9
	v_mov_b32_e32 v5, v6
	v_cmp_lt_u32_e64 s[0:1], v10, v8
	s_waitcnt lgkmcnt(1)
	v_lshl_add_u64 v[4:5], v[2:3], 0, v[4:5]
	v_cmp_gt_u32_e32 vcc, 62, v9
	s_waitcnt lgkmcnt(0)
	v_lshl_add_u64 v[6:7], v[6:7], 0, v[4:5]
	v_cndmask_b32_e64 v12, v2, v4, s[0:1]
	v_cndmask_b32_e64 v4, 0, 2, vcc
	v_cndmask_b32_e64 v5, v3, v7, s[0:1]
	v_add_lshl_u32 v4, v4, v1, 2
	ds_bpermute_b32 v10, v4, v12
	ds_bpermute_b32 v11, v4, v5
	v_cndmask_b32_e64 v4, v2, v6, s[0:1]
	v_add_u32_e32 v13, 2, v9
	v_cmp_lt_u32_e32 vcc, v13, v8
	v_cmp_gt_u32_e64 s[4:5], 60, v9
	s_waitcnt lgkmcnt(0)
	v_lshl_add_u64 v[6:7], v[10:11], 0, v[4:5]
	v_cndmask_b32_e32 v5, v5, v7, vcc
	v_cndmask_b32_e64 v7, 0, 4, s[4:5]
	v_cndmask_b32_e32 v12, v12, v6, vcc
	v_add_lshl_u32 v7, v7, v1, 2
	ds_bpermute_b32 v10, v7, v12
	ds_bpermute_b32 v11, v7, v5
	v_cndmask_b32_e32 v4, v4, v6, vcc
	v_add_u32_e32 v13, 4, v9
	v_cmp_lt_u32_e32 vcc, v13, v8
	v_cmp_gt_u32_e64 s[4:5], 56, v9
	s_waitcnt lgkmcnt(0)
	v_lshl_add_u64 v[6:7], v[10:11], 0, v[4:5]
	v_cndmask_b32_e32 v5, v5, v7, vcc
	v_cndmask_b32_e64 v7, 0, 8, s[4:5]
	v_cndmask_b32_e32 v12, v12, v6, vcc
	v_add_lshl_u32 v7, v7, v1, 2
	ds_bpermute_b32 v10, v7, v12
	ds_bpermute_b32 v11, v7, v5
	v_cndmask_b32_e32 v4, v4, v6, vcc
	;; [unrolled: 12-line block ×3, first 2 shown]
	v_add_u32_e32 v13, 16, v9
	v_cmp_lt_u32_e32 vcc, v13, v8
	s_waitcnt lgkmcnt(0)
	v_lshl_add_u64 v[6:7], v[10:11], 0, v[4:5]
	v_lshlrev_b32_e32 v10, 2, v1
	v_cndmask_b32_e32 v13, v5, v7, vcc
	v_cndmask_b32_e32 v11, v12, v6, vcc
	v_or_b32_e32 v12, 0x80, v10
	ds_bpermute_b32 v11, v12, v11
	ds_bpermute_b32 v12, v12, v13
	s_and_saveexec_b64 s[4:5], s[0:1]
	s_cbranch_execz .LBB9_158
; %bb.157:
	v_add_u32_e32 v9, 32, v9
	v_cndmask_b32_e32 v3, v5, v7, vcc
	v_cndmask_b32_e32 v2, v4, v6, vcc
	v_cmp_lt_u32_e32 vcc, v9, v8
	s_waitcnt lgkmcnt(0)
	s_nop 0
	v_cndmask_b32_e32 v5, 0, v12, vcc
	v_cndmask_b32_e32 v4, 0, v11, vcc
	v_lshl_add_u64 v[2:3], v[4:5], 0, v[2:3]
.LBB9_158:
	s_or_b64 exec, exec, s[4:5]
	v_cmp_eq_u32_e32 vcc, 0, v1
	s_and_saveexec_b64 s[0:1], vcc
; %bb.159:
	v_lshrrev_b32_e32 v4, 3, v0
	v_and_b32_e32 v4, 24, v4
	ds_write_b64 v4, v[2:3] offset:160
; %bb.160:
	s_or_b64 exec, exec, s[0:1]
	v_cmp_gt_u32_e32 vcc, 4, v0
	s_waitcnt lgkmcnt(0)
	s_barrier
	s_and_saveexec_b64 s[0:1], vcc
	s_cbranch_execz .LBB9_164
; %bb.161:
	v_lshlrev_b32_e32 v2, 3, v1
	ds_read_b64 v[2:3], v2 offset:160
	v_and_b32_e32 v6, 3, v1
	v_cmp_ne_u32_e32 vcc, 3, v6
	v_mov_b32_e32 v8, 0
	s_add_i32 s6, s6, 63
	v_addc_co_u32_e32 v1, vcc, 0, v1, vcc
	v_lshlrev_b32_e32 v1, 2, v1
	s_waitcnt lgkmcnt(0)
	ds_bpermute_b32 v4, v1, v2
	ds_bpermute_b32 v9, v1, v3
	v_mov_b32_e32 v5, v8
	s_lshr_b32 s6, s6, 6
	v_add_u32_e32 v1, 1, v6
	s_waitcnt lgkmcnt(1)
	v_lshl_add_u64 v[12:13], v[2:3], 0, v[4:5]
	s_waitcnt lgkmcnt(0)
	v_lshl_add_u64 v[4:5], v[8:9], 0, v[12:13]
	v_cmp_gt_u32_e32 vcc, s6, v1
	v_or_b32_e32 v8, 8, v10
	s_nop 0
	v_cndmask_b32_e32 v7, v3, v5, vcc
	v_cndmask_b32_e32 v1, v2, v12, vcc
	ds_bpermute_b32 v1, v8, v1
	ds_bpermute_b32 v7, v8, v7
	s_and_saveexec_b64 s[4:5], vcc
	s_cbranch_execz .LBB9_163
; %bb.162:
	v_add_u32_e32 v2, 2, v6
	v_cmp_gt_u32_e32 vcc, s6, v2
	s_waitcnt lgkmcnt(0)
	s_nop 0
	v_cndmask_b32_e32 v3, 0, v7, vcc
	v_cndmask_b32_e32 v2, 0, v1, vcc
	v_lshl_add_u64 v[2:3], v[2:3], 0, v[4:5]
.LBB9_163:
	s_or_b64 exec, exec, s[4:5]
.LBB9_164:
	s_or_b64 exec, exec, s[0:1]
.LBB9_165:
	v_cmp_eq_u32_e64 s[0:1], 0, v0
	v_mov_b64_e32 v[4:5], s[2:3]
.LBB9_166:
	s_and_saveexec_b64 s[2:3], s[0:1]
	s_cbranch_execz .LBB9_168
; %bb.167:
	s_cmp_lg_u64 s[38:39], 0
	s_cselect_b64 vcc, -1, 0
	s_waitcnt lgkmcnt(1)
	v_lshlrev_b64 v[0:1], 3, v[4:5]
	v_cndmask_b32_e32 v3, 0, v3, vcc
	v_cndmask_b32_e32 v2, 0, v2, vcc
	v_lshl_add_u64 v[0:1], s[40:41], 0, v[0:1]
	v_lshl_add_u64 v[2:3], v[2:3], 0, s[42:43]
	global_store_dwordx2 v[0:1], v[2:3], off
.LBB9_168:
	s_endpgm
	.section	.rodata,"a",@progbits
	.p2align	6, 0x0
	.amdhsa_kernel _ZN7rocprim17ROCPRIM_400000_NS6detail17trampoline_kernelINS0_14default_configENS1_22reduce_config_selectorIlEEZNS1_11reduce_implILb1ES3_PlS7_lN6hipcub16HIPCUB_304000_NS6detail34convert_binary_result_type_wrapperINS9_3SumENS9_22TransformInputIteratorIb7NonZeroIaEPalEElEEEE10hipError_tPvRmT1_T2_T3_mT4_P12ihipStream_tbEUlT_E1_NS1_11comp_targetILNS1_3genE0ELNS1_11target_archE4294967295ELNS1_3gpuE0ELNS1_3repE0EEENS1_30default_config_static_selectorELNS0_4arch9wavefront6targetE1EEEvSM_
		.amdhsa_group_segment_fixed_size 192
		.amdhsa_private_segment_fixed_size 0
		.amdhsa_kernarg_size 48
		.amdhsa_user_sgpr_count 2
		.amdhsa_user_sgpr_dispatch_ptr 0
		.amdhsa_user_sgpr_queue_ptr 0
		.amdhsa_user_sgpr_kernarg_segment_ptr 1
		.amdhsa_user_sgpr_dispatch_id 0
		.amdhsa_user_sgpr_kernarg_preload_length 0
		.amdhsa_user_sgpr_kernarg_preload_offset 0
		.amdhsa_user_sgpr_private_segment_size 0
		.amdhsa_uses_dynamic_stack 0
		.amdhsa_enable_private_segment 0
		.amdhsa_system_sgpr_workgroup_id_x 1
		.amdhsa_system_sgpr_workgroup_id_y 0
		.amdhsa_system_sgpr_workgroup_id_z 0
		.amdhsa_system_sgpr_workgroup_info 0
		.amdhsa_system_vgpr_workitem_id 0
		.amdhsa_next_free_vgpr 48
		.amdhsa_next_free_sgpr 47
		.amdhsa_accum_offset 48
		.amdhsa_reserve_vcc 1
		.amdhsa_float_round_mode_32 0
		.amdhsa_float_round_mode_16_64 0
		.amdhsa_float_denorm_mode_32 3
		.amdhsa_float_denorm_mode_16_64 3
		.amdhsa_dx10_clamp 1
		.amdhsa_ieee_mode 1
		.amdhsa_fp16_overflow 0
		.amdhsa_tg_split 0
		.amdhsa_exception_fp_ieee_invalid_op 0
		.amdhsa_exception_fp_denorm_src 0
		.amdhsa_exception_fp_ieee_div_zero 0
		.amdhsa_exception_fp_ieee_overflow 0
		.amdhsa_exception_fp_ieee_underflow 0
		.amdhsa_exception_fp_ieee_inexact 0
		.amdhsa_exception_int_div_zero 0
	.end_amdhsa_kernel
	.section	.text._ZN7rocprim17ROCPRIM_400000_NS6detail17trampoline_kernelINS0_14default_configENS1_22reduce_config_selectorIlEEZNS1_11reduce_implILb1ES3_PlS7_lN6hipcub16HIPCUB_304000_NS6detail34convert_binary_result_type_wrapperINS9_3SumENS9_22TransformInputIteratorIb7NonZeroIaEPalEElEEEE10hipError_tPvRmT1_T2_T3_mT4_P12ihipStream_tbEUlT_E1_NS1_11comp_targetILNS1_3genE0ELNS1_11target_archE4294967295ELNS1_3gpuE0ELNS1_3repE0EEENS1_30default_config_static_selectorELNS0_4arch9wavefront6targetE1EEEvSM_,"axG",@progbits,_ZN7rocprim17ROCPRIM_400000_NS6detail17trampoline_kernelINS0_14default_configENS1_22reduce_config_selectorIlEEZNS1_11reduce_implILb1ES3_PlS7_lN6hipcub16HIPCUB_304000_NS6detail34convert_binary_result_type_wrapperINS9_3SumENS9_22TransformInputIteratorIb7NonZeroIaEPalEElEEEE10hipError_tPvRmT1_T2_T3_mT4_P12ihipStream_tbEUlT_E1_NS1_11comp_targetILNS1_3genE0ELNS1_11target_archE4294967295ELNS1_3gpuE0ELNS1_3repE0EEENS1_30default_config_static_selectorELNS0_4arch9wavefront6targetE1EEEvSM_,comdat
.Lfunc_end9:
	.size	_ZN7rocprim17ROCPRIM_400000_NS6detail17trampoline_kernelINS0_14default_configENS1_22reduce_config_selectorIlEEZNS1_11reduce_implILb1ES3_PlS7_lN6hipcub16HIPCUB_304000_NS6detail34convert_binary_result_type_wrapperINS9_3SumENS9_22TransformInputIteratorIb7NonZeroIaEPalEElEEEE10hipError_tPvRmT1_T2_T3_mT4_P12ihipStream_tbEUlT_E1_NS1_11comp_targetILNS1_3genE0ELNS1_11target_archE4294967295ELNS1_3gpuE0ELNS1_3repE0EEENS1_30default_config_static_selectorELNS0_4arch9wavefront6targetE1EEEvSM_, .Lfunc_end9-_ZN7rocprim17ROCPRIM_400000_NS6detail17trampoline_kernelINS0_14default_configENS1_22reduce_config_selectorIlEEZNS1_11reduce_implILb1ES3_PlS7_lN6hipcub16HIPCUB_304000_NS6detail34convert_binary_result_type_wrapperINS9_3SumENS9_22TransformInputIteratorIb7NonZeroIaEPalEElEEEE10hipError_tPvRmT1_T2_T3_mT4_P12ihipStream_tbEUlT_E1_NS1_11comp_targetILNS1_3genE0ELNS1_11target_archE4294967295ELNS1_3gpuE0ELNS1_3repE0EEENS1_30default_config_static_selectorELNS0_4arch9wavefront6targetE1EEEvSM_
                                        ; -- End function
	.set _ZN7rocprim17ROCPRIM_400000_NS6detail17trampoline_kernelINS0_14default_configENS1_22reduce_config_selectorIlEEZNS1_11reduce_implILb1ES3_PlS7_lN6hipcub16HIPCUB_304000_NS6detail34convert_binary_result_type_wrapperINS9_3SumENS9_22TransformInputIteratorIb7NonZeroIaEPalEElEEEE10hipError_tPvRmT1_T2_T3_mT4_P12ihipStream_tbEUlT_E1_NS1_11comp_targetILNS1_3genE0ELNS1_11target_archE4294967295ELNS1_3gpuE0ELNS1_3repE0EEENS1_30default_config_static_selectorELNS0_4arch9wavefront6targetE1EEEvSM_.num_vgpr, 48
	.set _ZN7rocprim17ROCPRIM_400000_NS6detail17trampoline_kernelINS0_14default_configENS1_22reduce_config_selectorIlEEZNS1_11reduce_implILb1ES3_PlS7_lN6hipcub16HIPCUB_304000_NS6detail34convert_binary_result_type_wrapperINS9_3SumENS9_22TransformInputIteratorIb7NonZeroIaEPalEElEEEE10hipError_tPvRmT1_T2_T3_mT4_P12ihipStream_tbEUlT_E1_NS1_11comp_targetILNS1_3genE0ELNS1_11target_archE4294967295ELNS1_3gpuE0ELNS1_3repE0EEENS1_30default_config_static_selectorELNS0_4arch9wavefront6targetE1EEEvSM_.num_agpr, 0
	.set _ZN7rocprim17ROCPRIM_400000_NS6detail17trampoline_kernelINS0_14default_configENS1_22reduce_config_selectorIlEEZNS1_11reduce_implILb1ES3_PlS7_lN6hipcub16HIPCUB_304000_NS6detail34convert_binary_result_type_wrapperINS9_3SumENS9_22TransformInputIteratorIb7NonZeroIaEPalEElEEEE10hipError_tPvRmT1_T2_T3_mT4_P12ihipStream_tbEUlT_E1_NS1_11comp_targetILNS1_3genE0ELNS1_11target_archE4294967295ELNS1_3gpuE0ELNS1_3repE0EEENS1_30default_config_static_selectorELNS0_4arch9wavefront6targetE1EEEvSM_.numbered_sgpr, 47
	.set _ZN7rocprim17ROCPRIM_400000_NS6detail17trampoline_kernelINS0_14default_configENS1_22reduce_config_selectorIlEEZNS1_11reduce_implILb1ES3_PlS7_lN6hipcub16HIPCUB_304000_NS6detail34convert_binary_result_type_wrapperINS9_3SumENS9_22TransformInputIteratorIb7NonZeroIaEPalEElEEEE10hipError_tPvRmT1_T2_T3_mT4_P12ihipStream_tbEUlT_E1_NS1_11comp_targetILNS1_3genE0ELNS1_11target_archE4294967295ELNS1_3gpuE0ELNS1_3repE0EEENS1_30default_config_static_selectorELNS0_4arch9wavefront6targetE1EEEvSM_.num_named_barrier, 0
	.set _ZN7rocprim17ROCPRIM_400000_NS6detail17trampoline_kernelINS0_14default_configENS1_22reduce_config_selectorIlEEZNS1_11reduce_implILb1ES3_PlS7_lN6hipcub16HIPCUB_304000_NS6detail34convert_binary_result_type_wrapperINS9_3SumENS9_22TransformInputIteratorIb7NonZeroIaEPalEElEEEE10hipError_tPvRmT1_T2_T3_mT4_P12ihipStream_tbEUlT_E1_NS1_11comp_targetILNS1_3genE0ELNS1_11target_archE4294967295ELNS1_3gpuE0ELNS1_3repE0EEENS1_30default_config_static_selectorELNS0_4arch9wavefront6targetE1EEEvSM_.private_seg_size, 0
	.set _ZN7rocprim17ROCPRIM_400000_NS6detail17trampoline_kernelINS0_14default_configENS1_22reduce_config_selectorIlEEZNS1_11reduce_implILb1ES3_PlS7_lN6hipcub16HIPCUB_304000_NS6detail34convert_binary_result_type_wrapperINS9_3SumENS9_22TransformInputIteratorIb7NonZeroIaEPalEElEEEE10hipError_tPvRmT1_T2_T3_mT4_P12ihipStream_tbEUlT_E1_NS1_11comp_targetILNS1_3genE0ELNS1_11target_archE4294967295ELNS1_3gpuE0ELNS1_3repE0EEENS1_30default_config_static_selectorELNS0_4arch9wavefront6targetE1EEEvSM_.uses_vcc, 1
	.set _ZN7rocprim17ROCPRIM_400000_NS6detail17trampoline_kernelINS0_14default_configENS1_22reduce_config_selectorIlEEZNS1_11reduce_implILb1ES3_PlS7_lN6hipcub16HIPCUB_304000_NS6detail34convert_binary_result_type_wrapperINS9_3SumENS9_22TransformInputIteratorIb7NonZeroIaEPalEElEEEE10hipError_tPvRmT1_T2_T3_mT4_P12ihipStream_tbEUlT_E1_NS1_11comp_targetILNS1_3genE0ELNS1_11target_archE4294967295ELNS1_3gpuE0ELNS1_3repE0EEENS1_30default_config_static_selectorELNS0_4arch9wavefront6targetE1EEEvSM_.uses_flat_scratch, 0
	.set _ZN7rocprim17ROCPRIM_400000_NS6detail17trampoline_kernelINS0_14default_configENS1_22reduce_config_selectorIlEEZNS1_11reduce_implILb1ES3_PlS7_lN6hipcub16HIPCUB_304000_NS6detail34convert_binary_result_type_wrapperINS9_3SumENS9_22TransformInputIteratorIb7NonZeroIaEPalEElEEEE10hipError_tPvRmT1_T2_T3_mT4_P12ihipStream_tbEUlT_E1_NS1_11comp_targetILNS1_3genE0ELNS1_11target_archE4294967295ELNS1_3gpuE0ELNS1_3repE0EEENS1_30default_config_static_selectorELNS0_4arch9wavefront6targetE1EEEvSM_.has_dyn_sized_stack, 0
	.set _ZN7rocprim17ROCPRIM_400000_NS6detail17trampoline_kernelINS0_14default_configENS1_22reduce_config_selectorIlEEZNS1_11reduce_implILb1ES3_PlS7_lN6hipcub16HIPCUB_304000_NS6detail34convert_binary_result_type_wrapperINS9_3SumENS9_22TransformInputIteratorIb7NonZeroIaEPalEElEEEE10hipError_tPvRmT1_T2_T3_mT4_P12ihipStream_tbEUlT_E1_NS1_11comp_targetILNS1_3genE0ELNS1_11target_archE4294967295ELNS1_3gpuE0ELNS1_3repE0EEENS1_30default_config_static_selectorELNS0_4arch9wavefront6targetE1EEEvSM_.has_recursion, 0
	.set _ZN7rocprim17ROCPRIM_400000_NS6detail17trampoline_kernelINS0_14default_configENS1_22reduce_config_selectorIlEEZNS1_11reduce_implILb1ES3_PlS7_lN6hipcub16HIPCUB_304000_NS6detail34convert_binary_result_type_wrapperINS9_3SumENS9_22TransformInputIteratorIb7NonZeroIaEPalEElEEEE10hipError_tPvRmT1_T2_T3_mT4_P12ihipStream_tbEUlT_E1_NS1_11comp_targetILNS1_3genE0ELNS1_11target_archE4294967295ELNS1_3gpuE0ELNS1_3repE0EEENS1_30default_config_static_selectorELNS0_4arch9wavefront6targetE1EEEvSM_.has_indirect_call, 0
	.section	.AMDGPU.csdata,"",@progbits
; Kernel info:
; codeLenInByte = 9732
; TotalNumSgprs: 53
; NumVgprs: 48
; NumAgprs: 0
; TotalNumVgprs: 48
; ScratchSize: 0
; MemoryBound: 0
; FloatMode: 240
; IeeeMode: 1
; LDSByteSize: 192 bytes/workgroup (compile time only)
; SGPRBlocks: 6
; VGPRBlocks: 5
; NumSGPRsForWavesPerEU: 53
; NumVGPRsForWavesPerEU: 48
; AccumOffset: 48
; Occupancy: 8
; WaveLimiterHint : 1
; COMPUTE_PGM_RSRC2:SCRATCH_EN: 0
; COMPUTE_PGM_RSRC2:USER_SGPR: 2
; COMPUTE_PGM_RSRC2:TRAP_HANDLER: 0
; COMPUTE_PGM_RSRC2:TGID_X_EN: 1
; COMPUTE_PGM_RSRC2:TGID_Y_EN: 0
; COMPUTE_PGM_RSRC2:TGID_Z_EN: 0
; COMPUTE_PGM_RSRC2:TIDIG_COMP_CNT: 0
; COMPUTE_PGM_RSRC3_GFX90A:ACCUM_OFFSET: 11
; COMPUTE_PGM_RSRC3_GFX90A:TG_SPLIT: 0
	.section	.text._ZN7rocprim17ROCPRIM_400000_NS6detail17trampoline_kernelINS0_14default_configENS1_22reduce_config_selectorIlEEZNS1_11reduce_implILb1ES3_PlS7_lN6hipcub16HIPCUB_304000_NS6detail34convert_binary_result_type_wrapperINS9_3SumENS9_22TransformInputIteratorIb7NonZeroIaEPalEElEEEE10hipError_tPvRmT1_T2_T3_mT4_P12ihipStream_tbEUlT_E1_NS1_11comp_targetILNS1_3genE5ELNS1_11target_archE942ELNS1_3gpuE9ELNS1_3repE0EEENS1_30default_config_static_selectorELNS0_4arch9wavefront6targetE1EEEvSM_,"axG",@progbits,_ZN7rocprim17ROCPRIM_400000_NS6detail17trampoline_kernelINS0_14default_configENS1_22reduce_config_selectorIlEEZNS1_11reduce_implILb1ES3_PlS7_lN6hipcub16HIPCUB_304000_NS6detail34convert_binary_result_type_wrapperINS9_3SumENS9_22TransformInputIteratorIb7NonZeroIaEPalEElEEEE10hipError_tPvRmT1_T2_T3_mT4_P12ihipStream_tbEUlT_E1_NS1_11comp_targetILNS1_3genE5ELNS1_11target_archE942ELNS1_3gpuE9ELNS1_3repE0EEENS1_30default_config_static_selectorELNS0_4arch9wavefront6targetE1EEEvSM_,comdat
	.protected	_ZN7rocprim17ROCPRIM_400000_NS6detail17trampoline_kernelINS0_14default_configENS1_22reduce_config_selectorIlEEZNS1_11reduce_implILb1ES3_PlS7_lN6hipcub16HIPCUB_304000_NS6detail34convert_binary_result_type_wrapperINS9_3SumENS9_22TransformInputIteratorIb7NonZeroIaEPalEElEEEE10hipError_tPvRmT1_T2_T3_mT4_P12ihipStream_tbEUlT_E1_NS1_11comp_targetILNS1_3genE5ELNS1_11target_archE942ELNS1_3gpuE9ELNS1_3repE0EEENS1_30default_config_static_selectorELNS0_4arch9wavefront6targetE1EEEvSM_ ; -- Begin function _ZN7rocprim17ROCPRIM_400000_NS6detail17trampoline_kernelINS0_14default_configENS1_22reduce_config_selectorIlEEZNS1_11reduce_implILb1ES3_PlS7_lN6hipcub16HIPCUB_304000_NS6detail34convert_binary_result_type_wrapperINS9_3SumENS9_22TransformInputIteratorIb7NonZeroIaEPalEElEEEE10hipError_tPvRmT1_T2_T3_mT4_P12ihipStream_tbEUlT_E1_NS1_11comp_targetILNS1_3genE5ELNS1_11target_archE942ELNS1_3gpuE9ELNS1_3repE0EEENS1_30default_config_static_selectorELNS0_4arch9wavefront6targetE1EEEvSM_
	.globl	_ZN7rocprim17ROCPRIM_400000_NS6detail17trampoline_kernelINS0_14default_configENS1_22reduce_config_selectorIlEEZNS1_11reduce_implILb1ES3_PlS7_lN6hipcub16HIPCUB_304000_NS6detail34convert_binary_result_type_wrapperINS9_3SumENS9_22TransformInputIteratorIb7NonZeroIaEPalEElEEEE10hipError_tPvRmT1_T2_T3_mT4_P12ihipStream_tbEUlT_E1_NS1_11comp_targetILNS1_3genE5ELNS1_11target_archE942ELNS1_3gpuE9ELNS1_3repE0EEENS1_30default_config_static_selectorELNS0_4arch9wavefront6targetE1EEEvSM_
	.p2align	8
	.type	_ZN7rocprim17ROCPRIM_400000_NS6detail17trampoline_kernelINS0_14default_configENS1_22reduce_config_selectorIlEEZNS1_11reduce_implILb1ES3_PlS7_lN6hipcub16HIPCUB_304000_NS6detail34convert_binary_result_type_wrapperINS9_3SumENS9_22TransformInputIteratorIb7NonZeroIaEPalEElEEEE10hipError_tPvRmT1_T2_T3_mT4_P12ihipStream_tbEUlT_E1_NS1_11comp_targetILNS1_3genE5ELNS1_11target_archE942ELNS1_3gpuE9ELNS1_3repE0EEENS1_30default_config_static_selectorELNS0_4arch9wavefront6targetE1EEEvSM_,@function
_ZN7rocprim17ROCPRIM_400000_NS6detail17trampoline_kernelINS0_14default_configENS1_22reduce_config_selectorIlEEZNS1_11reduce_implILb1ES3_PlS7_lN6hipcub16HIPCUB_304000_NS6detail34convert_binary_result_type_wrapperINS9_3SumENS9_22TransformInputIteratorIb7NonZeroIaEPalEElEEEE10hipError_tPvRmT1_T2_T3_mT4_P12ihipStream_tbEUlT_E1_NS1_11comp_targetILNS1_3genE5ELNS1_11target_archE942ELNS1_3gpuE9ELNS1_3repE0EEENS1_30default_config_static_selectorELNS0_4arch9wavefront6targetE1EEEvSM_: ; @_ZN7rocprim17ROCPRIM_400000_NS6detail17trampoline_kernelINS0_14default_configENS1_22reduce_config_selectorIlEEZNS1_11reduce_implILb1ES3_PlS7_lN6hipcub16HIPCUB_304000_NS6detail34convert_binary_result_type_wrapperINS9_3SumENS9_22TransformInputIteratorIb7NonZeroIaEPalEElEEEE10hipError_tPvRmT1_T2_T3_mT4_P12ihipStream_tbEUlT_E1_NS1_11comp_targetILNS1_3genE5ELNS1_11target_archE942ELNS1_3gpuE9ELNS1_3repE0EEENS1_30default_config_static_selectorELNS0_4arch9wavefront6targetE1EEEvSM_
; %bb.0:
	.section	.rodata,"a",@progbits
	.p2align	6, 0x0
	.amdhsa_kernel _ZN7rocprim17ROCPRIM_400000_NS6detail17trampoline_kernelINS0_14default_configENS1_22reduce_config_selectorIlEEZNS1_11reduce_implILb1ES3_PlS7_lN6hipcub16HIPCUB_304000_NS6detail34convert_binary_result_type_wrapperINS9_3SumENS9_22TransformInputIteratorIb7NonZeroIaEPalEElEEEE10hipError_tPvRmT1_T2_T3_mT4_P12ihipStream_tbEUlT_E1_NS1_11comp_targetILNS1_3genE5ELNS1_11target_archE942ELNS1_3gpuE9ELNS1_3repE0EEENS1_30default_config_static_selectorELNS0_4arch9wavefront6targetE1EEEvSM_
		.amdhsa_group_segment_fixed_size 0
		.amdhsa_private_segment_fixed_size 0
		.amdhsa_kernarg_size 48
		.amdhsa_user_sgpr_count 2
		.amdhsa_user_sgpr_dispatch_ptr 0
		.amdhsa_user_sgpr_queue_ptr 0
		.amdhsa_user_sgpr_kernarg_segment_ptr 1
		.amdhsa_user_sgpr_dispatch_id 0
		.amdhsa_user_sgpr_kernarg_preload_length 0
		.amdhsa_user_sgpr_kernarg_preload_offset 0
		.amdhsa_user_sgpr_private_segment_size 0
		.amdhsa_uses_dynamic_stack 0
		.amdhsa_enable_private_segment 0
		.amdhsa_system_sgpr_workgroup_id_x 1
		.amdhsa_system_sgpr_workgroup_id_y 0
		.amdhsa_system_sgpr_workgroup_id_z 0
		.amdhsa_system_sgpr_workgroup_info 0
		.amdhsa_system_vgpr_workitem_id 0
		.amdhsa_next_free_vgpr 1
		.amdhsa_next_free_sgpr 0
		.amdhsa_accum_offset 4
		.amdhsa_reserve_vcc 0
		.amdhsa_float_round_mode_32 0
		.amdhsa_float_round_mode_16_64 0
		.amdhsa_float_denorm_mode_32 3
		.amdhsa_float_denorm_mode_16_64 3
		.amdhsa_dx10_clamp 1
		.amdhsa_ieee_mode 1
		.amdhsa_fp16_overflow 0
		.amdhsa_tg_split 0
		.amdhsa_exception_fp_ieee_invalid_op 0
		.amdhsa_exception_fp_denorm_src 0
		.amdhsa_exception_fp_ieee_div_zero 0
		.amdhsa_exception_fp_ieee_overflow 0
		.amdhsa_exception_fp_ieee_underflow 0
		.amdhsa_exception_fp_ieee_inexact 0
		.amdhsa_exception_int_div_zero 0
	.end_amdhsa_kernel
	.section	.text._ZN7rocprim17ROCPRIM_400000_NS6detail17trampoline_kernelINS0_14default_configENS1_22reduce_config_selectorIlEEZNS1_11reduce_implILb1ES3_PlS7_lN6hipcub16HIPCUB_304000_NS6detail34convert_binary_result_type_wrapperINS9_3SumENS9_22TransformInputIteratorIb7NonZeroIaEPalEElEEEE10hipError_tPvRmT1_T2_T3_mT4_P12ihipStream_tbEUlT_E1_NS1_11comp_targetILNS1_3genE5ELNS1_11target_archE942ELNS1_3gpuE9ELNS1_3repE0EEENS1_30default_config_static_selectorELNS0_4arch9wavefront6targetE1EEEvSM_,"axG",@progbits,_ZN7rocprim17ROCPRIM_400000_NS6detail17trampoline_kernelINS0_14default_configENS1_22reduce_config_selectorIlEEZNS1_11reduce_implILb1ES3_PlS7_lN6hipcub16HIPCUB_304000_NS6detail34convert_binary_result_type_wrapperINS9_3SumENS9_22TransformInputIteratorIb7NonZeroIaEPalEElEEEE10hipError_tPvRmT1_T2_T3_mT4_P12ihipStream_tbEUlT_E1_NS1_11comp_targetILNS1_3genE5ELNS1_11target_archE942ELNS1_3gpuE9ELNS1_3repE0EEENS1_30default_config_static_selectorELNS0_4arch9wavefront6targetE1EEEvSM_,comdat
.Lfunc_end10:
	.size	_ZN7rocprim17ROCPRIM_400000_NS6detail17trampoline_kernelINS0_14default_configENS1_22reduce_config_selectorIlEEZNS1_11reduce_implILb1ES3_PlS7_lN6hipcub16HIPCUB_304000_NS6detail34convert_binary_result_type_wrapperINS9_3SumENS9_22TransformInputIteratorIb7NonZeroIaEPalEElEEEE10hipError_tPvRmT1_T2_T3_mT4_P12ihipStream_tbEUlT_E1_NS1_11comp_targetILNS1_3genE5ELNS1_11target_archE942ELNS1_3gpuE9ELNS1_3repE0EEENS1_30default_config_static_selectorELNS0_4arch9wavefront6targetE1EEEvSM_, .Lfunc_end10-_ZN7rocprim17ROCPRIM_400000_NS6detail17trampoline_kernelINS0_14default_configENS1_22reduce_config_selectorIlEEZNS1_11reduce_implILb1ES3_PlS7_lN6hipcub16HIPCUB_304000_NS6detail34convert_binary_result_type_wrapperINS9_3SumENS9_22TransformInputIteratorIb7NonZeroIaEPalEElEEEE10hipError_tPvRmT1_T2_T3_mT4_P12ihipStream_tbEUlT_E1_NS1_11comp_targetILNS1_3genE5ELNS1_11target_archE942ELNS1_3gpuE9ELNS1_3repE0EEENS1_30default_config_static_selectorELNS0_4arch9wavefront6targetE1EEEvSM_
                                        ; -- End function
	.set _ZN7rocprim17ROCPRIM_400000_NS6detail17trampoline_kernelINS0_14default_configENS1_22reduce_config_selectorIlEEZNS1_11reduce_implILb1ES3_PlS7_lN6hipcub16HIPCUB_304000_NS6detail34convert_binary_result_type_wrapperINS9_3SumENS9_22TransformInputIteratorIb7NonZeroIaEPalEElEEEE10hipError_tPvRmT1_T2_T3_mT4_P12ihipStream_tbEUlT_E1_NS1_11comp_targetILNS1_3genE5ELNS1_11target_archE942ELNS1_3gpuE9ELNS1_3repE0EEENS1_30default_config_static_selectorELNS0_4arch9wavefront6targetE1EEEvSM_.num_vgpr, 0
	.set _ZN7rocprim17ROCPRIM_400000_NS6detail17trampoline_kernelINS0_14default_configENS1_22reduce_config_selectorIlEEZNS1_11reduce_implILb1ES3_PlS7_lN6hipcub16HIPCUB_304000_NS6detail34convert_binary_result_type_wrapperINS9_3SumENS9_22TransformInputIteratorIb7NonZeroIaEPalEElEEEE10hipError_tPvRmT1_T2_T3_mT4_P12ihipStream_tbEUlT_E1_NS1_11comp_targetILNS1_3genE5ELNS1_11target_archE942ELNS1_3gpuE9ELNS1_3repE0EEENS1_30default_config_static_selectorELNS0_4arch9wavefront6targetE1EEEvSM_.num_agpr, 0
	.set _ZN7rocprim17ROCPRIM_400000_NS6detail17trampoline_kernelINS0_14default_configENS1_22reduce_config_selectorIlEEZNS1_11reduce_implILb1ES3_PlS7_lN6hipcub16HIPCUB_304000_NS6detail34convert_binary_result_type_wrapperINS9_3SumENS9_22TransformInputIteratorIb7NonZeroIaEPalEElEEEE10hipError_tPvRmT1_T2_T3_mT4_P12ihipStream_tbEUlT_E1_NS1_11comp_targetILNS1_3genE5ELNS1_11target_archE942ELNS1_3gpuE9ELNS1_3repE0EEENS1_30default_config_static_selectorELNS0_4arch9wavefront6targetE1EEEvSM_.numbered_sgpr, 0
	.set _ZN7rocprim17ROCPRIM_400000_NS6detail17trampoline_kernelINS0_14default_configENS1_22reduce_config_selectorIlEEZNS1_11reduce_implILb1ES3_PlS7_lN6hipcub16HIPCUB_304000_NS6detail34convert_binary_result_type_wrapperINS9_3SumENS9_22TransformInputIteratorIb7NonZeroIaEPalEElEEEE10hipError_tPvRmT1_T2_T3_mT4_P12ihipStream_tbEUlT_E1_NS1_11comp_targetILNS1_3genE5ELNS1_11target_archE942ELNS1_3gpuE9ELNS1_3repE0EEENS1_30default_config_static_selectorELNS0_4arch9wavefront6targetE1EEEvSM_.num_named_barrier, 0
	.set _ZN7rocprim17ROCPRIM_400000_NS6detail17trampoline_kernelINS0_14default_configENS1_22reduce_config_selectorIlEEZNS1_11reduce_implILb1ES3_PlS7_lN6hipcub16HIPCUB_304000_NS6detail34convert_binary_result_type_wrapperINS9_3SumENS9_22TransformInputIteratorIb7NonZeroIaEPalEElEEEE10hipError_tPvRmT1_T2_T3_mT4_P12ihipStream_tbEUlT_E1_NS1_11comp_targetILNS1_3genE5ELNS1_11target_archE942ELNS1_3gpuE9ELNS1_3repE0EEENS1_30default_config_static_selectorELNS0_4arch9wavefront6targetE1EEEvSM_.private_seg_size, 0
	.set _ZN7rocprim17ROCPRIM_400000_NS6detail17trampoline_kernelINS0_14default_configENS1_22reduce_config_selectorIlEEZNS1_11reduce_implILb1ES3_PlS7_lN6hipcub16HIPCUB_304000_NS6detail34convert_binary_result_type_wrapperINS9_3SumENS9_22TransformInputIteratorIb7NonZeroIaEPalEElEEEE10hipError_tPvRmT1_T2_T3_mT4_P12ihipStream_tbEUlT_E1_NS1_11comp_targetILNS1_3genE5ELNS1_11target_archE942ELNS1_3gpuE9ELNS1_3repE0EEENS1_30default_config_static_selectorELNS0_4arch9wavefront6targetE1EEEvSM_.uses_vcc, 0
	.set _ZN7rocprim17ROCPRIM_400000_NS6detail17trampoline_kernelINS0_14default_configENS1_22reduce_config_selectorIlEEZNS1_11reduce_implILb1ES3_PlS7_lN6hipcub16HIPCUB_304000_NS6detail34convert_binary_result_type_wrapperINS9_3SumENS9_22TransformInputIteratorIb7NonZeroIaEPalEElEEEE10hipError_tPvRmT1_T2_T3_mT4_P12ihipStream_tbEUlT_E1_NS1_11comp_targetILNS1_3genE5ELNS1_11target_archE942ELNS1_3gpuE9ELNS1_3repE0EEENS1_30default_config_static_selectorELNS0_4arch9wavefront6targetE1EEEvSM_.uses_flat_scratch, 0
	.set _ZN7rocprim17ROCPRIM_400000_NS6detail17trampoline_kernelINS0_14default_configENS1_22reduce_config_selectorIlEEZNS1_11reduce_implILb1ES3_PlS7_lN6hipcub16HIPCUB_304000_NS6detail34convert_binary_result_type_wrapperINS9_3SumENS9_22TransformInputIteratorIb7NonZeroIaEPalEElEEEE10hipError_tPvRmT1_T2_T3_mT4_P12ihipStream_tbEUlT_E1_NS1_11comp_targetILNS1_3genE5ELNS1_11target_archE942ELNS1_3gpuE9ELNS1_3repE0EEENS1_30default_config_static_selectorELNS0_4arch9wavefront6targetE1EEEvSM_.has_dyn_sized_stack, 0
	.set _ZN7rocprim17ROCPRIM_400000_NS6detail17trampoline_kernelINS0_14default_configENS1_22reduce_config_selectorIlEEZNS1_11reduce_implILb1ES3_PlS7_lN6hipcub16HIPCUB_304000_NS6detail34convert_binary_result_type_wrapperINS9_3SumENS9_22TransformInputIteratorIb7NonZeroIaEPalEElEEEE10hipError_tPvRmT1_T2_T3_mT4_P12ihipStream_tbEUlT_E1_NS1_11comp_targetILNS1_3genE5ELNS1_11target_archE942ELNS1_3gpuE9ELNS1_3repE0EEENS1_30default_config_static_selectorELNS0_4arch9wavefront6targetE1EEEvSM_.has_recursion, 0
	.set _ZN7rocprim17ROCPRIM_400000_NS6detail17trampoline_kernelINS0_14default_configENS1_22reduce_config_selectorIlEEZNS1_11reduce_implILb1ES3_PlS7_lN6hipcub16HIPCUB_304000_NS6detail34convert_binary_result_type_wrapperINS9_3SumENS9_22TransformInputIteratorIb7NonZeroIaEPalEElEEEE10hipError_tPvRmT1_T2_T3_mT4_P12ihipStream_tbEUlT_E1_NS1_11comp_targetILNS1_3genE5ELNS1_11target_archE942ELNS1_3gpuE9ELNS1_3repE0EEENS1_30default_config_static_selectorELNS0_4arch9wavefront6targetE1EEEvSM_.has_indirect_call, 0
	.section	.AMDGPU.csdata,"",@progbits
; Kernel info:
; codeLenInByte = 0
; TotalNumSgprs: 6
; NumVgprs: 0
; NumAgprs: 0
; TotalNumVgprs: 0
; ScratchSize: 0
; MemoryBound: 0
; FloatMode: 240
; IeeeMode: 1
; LDSByteSize: 0 bytes/workgroup (compile time only)
; SGPRBlocks: 0
; VGPRBlocks: 0
; NumSGPRsForWavesPerEU: 6
; NumVGPRsForWavesPerEU: 1
; AccumOffset: 4
; Occupancy: 8
; WaveLimiterHint : 0
; COMPUTE_PGM_RSRC2:SCRATCH_EN: 0
; COMPUTE_PGM_RSRC2:USER_SGPR: 2
; COMPUTE_PGM_RSRC2:TRAP_HANDLER: 0
; COMPUTE_PGM_RSRC2:TGID_X_EN: 1
; COMPUTE_PGM_RSRC2:TGID_Y_EN: 0
; COMPUTE_PGM_RSRC2:TGID_Z_EN: 0
; COMPUTE_PGM_RSRC2:TIDIG_COMP_CNT: 0
; COMPUTE_PGM_RSRC3_GFX90A:ACCUM_OFFSET: 0
; COMPUTE_PGM_RSRC3_GFX90A:TG_SPLIT: 0
	.section	.text._ZN7rocprim17ROCPRIM_400000_NS6detail17trampoline_kernelINS0_14default_configENS1_22reduce_config_selectorIlEEZNS1_11reduce_implILb1ES3_PlS7_lN6hipcub16HIPCUB_304000_NS6detail34convert_binary_result_type_wrapperINS9_3SumENS9_22TransformInputIteratorIb7NonZeroIaEPalEElEEEE10hipError_tPvRmT1_T2_T3_mT4_P12ihipStream_tbEUlT_E1_NS1_11comp_targetILNS1_3genE4ELNS1_11target_archE910ELNS1_3gpuE8ELNS1_3repE0EEENS1_30default_config_static_selectorELNS0_4arch9wavefront6targetE1EEEvSM_,"axG",@progbits,_ZN7rocprim17ROCPRIM_400000_NS6detail17trampoline_kernelINS0_14default_configENS1_22reduce_config_selectorIlEEZNS1_11reduce_implILb1ES3_PlS7_lN6hipcub16HIPCUB_304000_NS6detail34convert_binary_result_type_wrapperINS9_3SumENS9_22TransformInputIteratorIb7NonZeroIaEPalEElEEEE10hipError_tPvRmT1_T2_T3_mT4_P12ihipStream_tbEUlT_E1_NS1_11comp_targetILNS1_3genE4ELNS1_11target_archE910ELNS1_3gpuE8ELNS1_3repE0EEENS1_30default_config_static_selectorELNS0_4arch9wavefront6targetE1EEEvSM_,comdat
	.protected	_ZN7rocprim17ROCPRIM_400000_NS6detail17trampoline_kernelINS0_14default_configENS1_22reduce_config_selectorIlEEZNS1_11reduce_implILb1ES3_PlS7_lN6hipcub16HIPCUB_304000_NS6detail34convert_binary_result_type_wrapperINS9_3SumENS9_22TransformInputIteratorIb7NonZeroIaEPalEElEEEE10hipError_tPvRmT1_T2_T3_mT4_P12ihipStream_tbEUlT_E1_NS1_11comp_targetILNS1_3genE4ELNS1_11target_archE910ELNS1_3gpuE8ELNS1_3repE0EEENS1_30default_config_static_selectorELNS0_4arch9wavefront6targetE1EEEvSM_ ; -- Begin function _ZN7rocprim17ROCPRIM_400000_NS6detail17trampoline_kernelINS0_14default_configENS1_22reduce_config_selectorIlEEZNS1_11reduce_implILb1ES3_PlS7_lN6hipcub16HIPCUB_304000_NS6detail34convert_binary_result_type_wrapperINS9_3SumENS9_22TransformInputIteratorIb7NonZeroIaEPalEElEEEE10hipError_tPvRmT1_T2_T3_mT4_P12ihipStream_tbEUlT_E1_NS1_11comp_targetILNS1_3genE4ELNS1_11target_archE910ELNS1_3gpuE8ELNS1_3repE0EEENS1_30default_config_static_selectorELNS0_4arch9wavefront6targetE1EEEvSM_
	.globl	_ZN7rocprim17ROCPRIM_400000_NS6detail17trampoline_kernelINS0_14default_configENS1_22reduce_config_selectorIlEEZNS1_11reduce_implILb1ES3_PlS7_lN6hipcub16HIPCUB_304000_NS6detail34convert_binary_result_type_wrapperINS9_3SumENS9_22TransformInputIteratorIb7NonZeroIaEPalEElEEEE10hipError_tPvRmT1_T2_T3_mT4_P12ihipStream_tbEUlT_E1_NS1_11comp_targetILNS1_3genE4ELNS1_11target_archE910ELNS1_3gpuE8ELNS1_3repE0EEENS1_30default_config_static_selectorELNS0_4arch9wavefront6targetE1EEEvSM_
	.p2align	8
	.type	_ZN7rocprim17ROCPRIM_400000_NS6detail17trampoline_kernelINS0_14default_configENS1_22reduce_config_selectorIlEEZNS1_11reduce_implILb1ES3_PlS7_lN6hipcub16HIPCUB_304000_NS6detail34convert_binary_result_type_wrapperINS9_3SumENS9_22TransformInputIteratorIb7NonZeroIaEPalEElEEEE10hipError_tPvRmT1_T2_T3_mT4_P12ihipStream_tbEUlT_E1_NS1_11comp_targetILNS1_3genE4ELNS1_11target_archE910ELNS1_3gpuE8ELNS1_3repE0EEENS1_30default_config_static_selectorELNS0_4arch9wavefront6targetE1EEEvSM_,@function
_ZN7rocprim17ROCPRIM_400000_NS6detail17trampoline_kernelINS0_14default_configENS1_22reduce_config_selectorIlEEZNS1_11reduce_implILb1ES3_PlS7_lN6hipcub16HIPCUB_304000_NS6detail34convert_binary_result_type_wrapperINS9_3SumENS9_22TransformInputIteratorIb7NonZeroIaEPalEElEEEE10hipError_tPvRmT1_T2_T3_mT4_P12ihipStream_tbEUlT_E1_NS1_11comp_targetILNS1_3genE4ELNS1_11target_archE910ELNS1_3gpuE8ELNS1_3repE0EEENS1_30default_config_static_selectorELNS0_4arch9wavefront6targetE1EEEvSM_: ; @_ZN7rocprim17ROCPRIM_400000_NS6detail17trampoline_kernelINS0_14default_configENS1_22reduce_config_selectorIlEEZNS1_11reduce_implILb1ES3_PlS7_lN6hipcub16HIPCUB_304000_NS6detail34convert_binary_result_type_wrapperINS9_3SumENS9_22TransformInputIteratorIb7NonZeroIaEPalEElEEEE10hipError_tPvRmT1_T2_T3_mT4_P12ihipStream_tbEUlT_E1_NS1_11comp_targetILNS1_3genE4ELNS1_11target_archE910ELNS1_3gpuE8ELNS1_3repE0EEENS1_30default_config_static_selectorELNS0_4arch9wavefront6targetE1EEEvSM_
; %bb.0:
	.section	.rodata,"a",@progbits
	.p2align	6, 0x0
	.amdhsa_kernel _ZN7rocprim17ROCPRIM_400000_NS6detail17trampoline_kernelINS0_14default_configENS1_22reduce_config_selectorIlEEZNS1_11reduce_implILb1ES3_PlS7_lN6hipcub16HIPCUB_304000_NS6detail34convert_binary_result_type_wrapperINS9_3SumENS9_22TransformInputIteratorIb7NonZeroIaEPalEElEEEE10hipError_tPvRmT1_T2_T3_mT4_P12ihipStream_tbEUlT_E1_NS1_11comp_targetILNS1_3genE4ELNS1_11target_archE910ELNS1_3gpuE8ELNS1_3repE0EEENS1_30default_config_static_selectorELNS0_4arch9wavefront6targetE1EEEvSM_
		.amdhsa_group_segment_fixed_size 0
		.amdhsa_private_segment_fixed_size 0
		.amdhsa_kernarg_size 48
		.amdhsa_user_sgpr_count 2
		.amdhsa_user_sgpr_dispatch_ptr 0
		.amdhsa_user_sgpr_queue_ptr 0
		.amdhsa_user_sgpr_kernarg_segment_ptr 1
		.amdhsa_user_sgpr_dispatch_id 0
		.amdhsa_user_sgpr_kernarg_preload_length 0
		.amdhsa_user_sgpr_kernarg_preload_offset 0
		.amdhsa_user_sgpr_private_segment_size 0
		.amdhsa_uses_dynamic_stack 0
		.amdhsa_enable_private_segment 0
		.amdhsa_system_sgpr_workgroup_id_x 1
		.amdhsa_system_sgpr_workgroup_id_y 0
		.amdhsa_system_sgpr_workgroup_id_z 0
		.amdhsa_system_sgpr_workgroup_info 0
		.amdhsa_system_vgpr_workitem_id 0
		.amdhsa_next_free_vgpr 1
		.amdhsa_next_free_sgpr 0
		.amdhsa_accum_offset 4
		.amdhsa_reserve_vcc 0
		.amdhsa_float_round_mode_32 0
		.amdhsa_float_round_mode_16_64 0
		.amdhsa_float_denorm_mode_32 3
		.amdhsa_float_denorm_mode_16_64 3
		.amdhsa_dx10_clamp 1
		.amdhsa_ieee_mode 1
		.amdhsa_fp16_overflow 0
		.amdhsa_tg_split 0
		.amdhsa_exception_fp_ieee_invalid_op 0
		.amdhsa_exception_fp_denorm_src 0
		.amdhsa_exception_fp_ieee_div_zero 0
		.amdhsa_exception_fp_ieee_overflow 0
		.amdhsa_exception_fp_ieee_underflow 0
		.amdhsa_exception_fp_ieee_inexact 0
		.amdhsa_exception_int_div_zero 0
	.end_amdhsa_kernel
	.section	.text._ZN7rocprim17ROCPRIM_400000_NS6detail17trampoline_kernelINS0_14default_configENS1_22reduce_config_selectorIlEEZNS1_11reduce_implILb1ES3_PlS7_lN6hipcub16HIPCUB_304000_NS6detail34convert_binary_result_type_wrapperINS9_3SumENS9_22TransformInputIteratorIb7NonZeroIaEPalEElEEEE10hipError_tPvRmT1_T2_T3_mT4_P12ihipStream_tbEUlT_E1_NS1_11comp_targetILNS1_3genE4ELNS1_11target_archE910ELNS1_3gpuE8ELNS1_3repE0EEENS1_30default_config_static_selectorELNS0_4arch9wavefront6targetE1EEEvSM_,"axG",@progbits,_ZN7rocprim17ROCPRIM_400000_NS6detail17trampoline_kernelINS0_14default_configENS1_22reduce_config_selectorIlEEZNS1_11reduce_implILb1ES3_PlS7_lN6hipcub16HIPCUB_304000_NS6detail34convert_binary_result_type_wrapperINS9_3SumENS9_22TransformInputIteratorIb7NonZeroIaEPalEElEEEE10hipError_tPvRmT1_T2_T3_mT4_P12ihipStream_tbEUlT_E1_NS1_11comp_targetILNS1_3genE4ELNS1_11target_archE910ELNS1_3gpuE8ELNS1_3repE0EEENS1_30default_config_static_selectorELNS0_4arch9wavefront6targetE1EEEvSM_,comdat
.Lfunc_end11:
	.size	_ZN7rocprim17ROCPRIM_400000_NS6detail17trampoline_kernelINS0_14default_configENS1_22reduce_config_selectorIlEEZNS1_11reduce_implILb1ES3_PlS7_lN6hipcub16HIPCUB_304000_NS6detail34convert_binary_result_type_wrapperINS9_3SumENS9_22TransformInputIteratorIb7NonZeroIaEPalEElEEEE10hipError_tPvRmT1_T2_T3_mT4_P12ihipStream_tbEUlT_E1_NS1_11comp_targetILNS1_3genE4ELNS1_11target_archE910ELNS1_3gpuE8ELNS1_3repE0EEENS1_30default_config_static_selectorELNS0_4arch9wavefront6targetE1EEEvSM_, .Lfunc_end11-_ZN7rocprim17ROCPRIM_400000_NS6detail17trampoline_kernelINS0_14default_configENS1_22reduce_config_selectorIlEEZNS1_11reduce_implILb1ES3_PlS7_lN6hipcub16HIPCUB_304000_NS6detail34convert_binary_result_type_wrapperINS9_3SumENS9_22TransformInputIteratorIb7NonZeroIaEPalEElEEEE10hipError_tPvRmT1_T2_T3_mT4_P12ihipStream_tbEUlT_E1_NS1_11comp_targetILNS1_3genE4ELNS1_11target_archE910ELNS1_3gpuE8ELNS1_3repE0EEENS1_30default_config_static_selectorELNS0_4arch9wavefront6targetE1EEEvSM_
                                        ; -- End function
	.set _ZN7rocprim17ROCPRIM_400000_NS6detail17trampoline_kernelINS0_14default_configENS1_22reduce_config_selectorIlEEZNS1_11reduce_implILb1ES3_PlS7_lN6hipcub16HIPCUB_304000_NS6detail34convert_binary_result_type_wrapperINS9_3SumENS9_22TransformInputIteratorIb7NonZeroIaEPalEElEEEE10hipError_tPvRmT1_T2_T3_mT4_P12ihipStream_tbEUlT_E1_NS1_11comp_targetILNS1_3genE4ELNS1_11target_archE910ELNS1_3gpuE8ELNS1_3repE0EEENS1_30default_config_static_selectorELNS0_4arch9wavefront6targetE1EEEvSM_.num_vgpr, 0
	.set _ZN7rocprim17ROCPRIM_400000_NS6detail17trampoline_kernelINS0_14default_configENS1_22reduce_config_selectorIlEEZNS1_11reduce_implILb1ES3_PlS7_lN6hipcub16HIPCUB_304000_NS6detail34convert_binary_result_type_wrapperINS9_3SumENS9_22TransformInputIteratorIb7NonZeroIaEPalEElEEEE10hipError_tPvRmT1_T2_T3_mT4_P12ihipStream_tbEUlT_E1_NS1_11comp_targetILNS1_3genE4ELNS1_11target_archE910ELNS1_3gpuE8ELNS1_3repE0EEENS1_30default_config_static_selectorELNS0_4arch9wavefront6targetE1EEEvSM_.num_agpr, 0
	.set _ZN7rocprim17ROCPRIM_400000_NS6detail17trampoline_kernelINS0_14default_configENS1_22reduce_config_selectorIlEEZNS1_11reduce_implILb1ES3_PlS7_lN6hipcub16HIPCUB_304000_NS6detail34convert_binary_result_type_wrapperINS9_3SumENS9_22TransformInputIteratorIb7NonZeroIaEPalEElEEEE10hipError_tPvRmT1_T2_T3_mT4_P12ihipStream_tbEUlT_E1_NS1_11comp_targetILNS1_3genE4ELNS1_11target_archE910ELNS1_3gpuE8ELNS1_3repE0EEENS1_30default_config_static_selectorELNS0_4arch9wavefront6targetE1EEEvSM_.numbered_sgpr, 0
	.set _ZN7rocprim17ROCPRIM_400000_NS6detail17trampoline_kernelINS0_14default_configENS1_22reduce_config_selectorIlEEZNS1_11reduce_implILb1ES3_PlS7_lN6hipcub16HIPCUB_304000_NS6detail34convert_binary_result_type_wrapperINS9_3SumENS9_22TransformInputIteratorIb7NonZeroIaEPalEElEEEE10hipError_tPvRmT1_T2_T3_mT4_P12ihipStream_tbEUlT_E1_NS1_11comp_targetILNS1_3genE4ELNS1_11target_archE910ELNS1_3gpuE8ELNS1_3repE0EEENS1_30default_config_static_selectorELNS0_4arch9wavefront6targetE1EEEvSM_.num_named_barrier, 0
	.set _ZN7rocprim17ROCPRIM_400000_NS6detail17trampoline_kernelINS0_14default_configENS1_22reduce_config_selectorIlEEZNS1_11reduce_implILb1ES3_PlS7_lN6hipcub16HIPCUB_304000_NS6detail34convert_binary_result_type_wrapperINS9_3SumENS9_22TransformInputIteratorIb7NonZeroIaEPalEElEEEE10hipError_tPvRmT1_T2_T3_mT4_P12ihipStream_tbEUlT_E1_NS1_11comp_targetILNS1_3genE4ELNS1_11target_archE910ELNS1_3gpuE8ELNS1_3repE0EEENS1_30default_config_static_selectorELNS0_4arch9wavefront6targetE1EEEvSM_.private_seg_size, 0
	.set _ZN7rocprim17ROCPRIM_400000_NS6detail17trampoline_kernelINS0_14default_configENS1_22reduce_config_selectorIlEEZNS1_11reduce_implILb1ES3_PlS7_lN6hipcub16HIPCUB_304000_NS6detail34convert_binary_result_type_wrapperINS9_3SumENS9_22TransformInputIteratorIb7NonZeroIaEPalEElEEEE10hipError_tPvRmT1_T2_T3_mT4_P12ihipStream_tbEUlT_E1_NS1_11comp_targetILNS1_3genE4ELNS1_11target_archE910ELNS1_3gpuE8ELNS1_3repE0EEENS1_30default_config_static_selectorELNS0_4arch9wavefront6targetE1EEEvSM_.uses_vcc, 0
	.set _ZN7rocprim17ROCPRIM_400000_NS6detail17trampoline_kernelINS0_14default_configENS1_22reduce_config_selectorIlEEZNS1_11reduce_implILb1ES3_PlS7_lN6hipcub16HIPCUB_304000_NS6detail34convert_binary_result_type_wrapperINS9_3SumENS9_22TransformInputIteratorIb7NonZeroIaEPalEElEEEE10hipError_tPvRmT1_T2_T3_mT4_P12ihipStream_tbEUlT_E1_NS1_11comp_targetILNS1_3genE4ELNS1_11target_archE910ELNS1_3gpuE8ELNS1_3repE0EEENS1_30default_config_static_selectorELNS0_4arch9wavefront6targetE1EEEvSM_.uses_flat_scratch, 0
	.set _ZN7rocprim17ROCPRIM_400000_NS6detail17trampoline_kernelINS0_14default_configENS1_22reduce_config_selectorIlEEZNS1_11reduce_implILb1ES3_PlS7_lN6hipcub16HIPCUB_304000_NS6detail34convert_binary_result_type_wrapperINS9_3SumENS9_22TransformInputIteratorIb7NonZeroIaEPalEElEEEE10hipError_tPvRmT1_T2_T3_mT4_P12ihipStream_tbEUlT_E1_NS1_11comp_targetILNS1_3genE4ELNS1_11target_archE910ELNS1_3gpuE8ELNS1_3repE0EEENS1_30default_config_static_selectorELNS0_4arch9wavefront6targetE1EEEvSM_.has_dyn_sized_stack, 0
	.set _ZN7rocprim17ROCPRIM_400000_NS6detail17trampoline_kernelINS0_14default_configENS1_22reduce_config_selectorIlEEZNS1_11reduce_implILb1ES3_PlS7_lN6hipcub16HIPCUB_304000_NS6detail34convert_binary_result_type_wrapperINS9_3SumENS9_22TransformInputIteratorIb7NonZeroIaEPalEElEEEE10hipError_tPvRmT1_T2_T3_mT4_P12ihipStream_tbEUlT_E1_NS1_11comp_targetILNS1_3genE4ELNS1_11target_archE910ELNS1_3gpuE8ELNS1_3repE0EEENS1_30default_config_static_selectorELNS0_4arch9wavefront6targetE1EEEvSM_.has_recursion, 0
	.set _ZN7rocprim17ROCPRIM_400000_NS6detail17trampoline_kernelINS0_14default_configENS1_22reduce_config_selectorIlEEZNS1_11reduce_implILb1ES3_PlS7_lN6hipcub16HIPCUB_304000_NS6detail34convert_binary_result_type_wrapperINS9_3SumENS9_22TransformInputIteratorIb7NonZeroIaEPalEElEEEE10hipError_tPvRmT1_T2_T3_mT4_P12ihipStream_tbEUlT_E1_NS1_11comp_targetILNS1_3genE4ELNS1_11target_archE910ELNS1_3gpuE8ELNS1_3repE0EEENS1_30default_config_static_selectorELNS0_4arch9wavefront6targetE1EEEvSM_.has_indirect_call, 0
	.section	.AMDGPU.csdata,"",@progbits
; Kernel info:
; codeLenInByte = 0
; TotalNumSgprs: 6
; NumVgprs: 0
; NumAgprs: 0
; TotalNumVgprs: 0
; ScratchSize: 0
; MemoryBound: 0
; FloatMode: 240
; IeeeMode: 1
; LDSByteSize: 0 bytes/workgroup (compile time only)
; SGPRBlocks: 0
; VGPRBlocks: 0
; NumSGPRsForWavesPerEU: 6
; NumVGPRsForWavesPerEU: 1
; AccumOffset: 4
; Occupancy: 8
; WaveLimiterHint : 0
; COMPUTE_PGM_RSRC2:SCRATCH_EN: 0
; COMPUTE_PGM_RSRC2:USER_SGPR: 2
; COMPUTE_PGM_RSRC2:TRAP_HANDLER: 0
; COMPUTE_PGM_RSRC2:TGID_X_EN: 1
; COMPUTE_PGM_RSRC2:TGID_Y_EN: 0
; COMPUTE_PGM_RSRC2:TGID_Z_EN: 0
; COMPUTE_PGM_RSRC2:TIDIG_COMP_CNT: 0
; COMPUTE_PGM_RSRC3_GFX90A:ACCUM_OFFSET: 0
; COMPUTE_PGM_RSRC3_GFX90A:TG_SPLIT: 0
	.section	.text._ZN7rocprim17ROCPRIM_400000_NS6detail17trampoline_kernelINS0_14default_configENS1_22reduce_config_selectorIlEEZNS1_11reduce_implILb1ES3_PlS7_lN6hipcub16HIPCUB_304000_NS6detail34convert_binary_result_type_wrapperINS9_3SumENS9_22TransformInputIteratorIb7NonZeroIaEPalEElEEEE10hipError_tPvRmT1_T2_T3_mT4_P12ihipStream_tbEUlT_E1_NS1_11comp_targetILNS1_3genE3ELNS1_11target_archE908ELNS1_3gpuE7ELNS1_3repE0EEENS1_30default_config_static_selectorELNS0_4arch9wavefront6targetE1EEEvSM_,"axG",@progbits,_ZN7rocprim17ROCPRIM_400000_NS6detail17trampoline_kernelINS0_14default_configENS1_22reduce_config_selectorIlEEZNS1_11reduce_implILb1ES3_PlS7_lN6hipcub16HIPCUB_304000_NS6detail34convert_binary_result_type_wrapperINS9_3SumENS9_22TransformInputIteratorIb7NonZeroIaEPalEElEEEE10hipError_tPvRmT1_T2_T3_mT4_P12ihipStream_tbEUlT_E1_NS1_11comp_targetILNS1_3genE3ELNS1_11target_archE908ELNS1_3gpuE7ELNS1_3repE0EEENS1_30default_config_static_selectorELNS0_4arch9wavefront6targetE1EEEvSM_,comdat
	.protected	_ZN7rocprim17ROCPRIM_400000_NS6detail17trampoline_kernelINS0_14default_configENS1_22reduce_config_selectorIlEEZNS1_11reduce_implILb1ES3_PlS7_lN6hipcub16HIPCUB_304000_NS6detail34convert_binary_result_type_wrapperINS9_3SumENS9_22TransformInputIteratorIb7NonZeroIaEPalEElEEEE10hipError_tPvRmT1_T2_T3_mT4_P12ihipStream_tbEUlT_E1_NS1_11comp_targetILNS1_3genE3ELNS1_11target_archE908ELNS1_3gpuE7ELNS1_3repE0EEENS1_30default_config_static_selectorELNS0_4arch9wavefront6targetE1EEEvSM_ ; -- Begin function _ZN7rocprim17ROCPRIM_400000_NS6detail17trampoline_kernelINS0_14default_configENS1_22reduce_config_selectorIlEEZNS1_11reduce_implILb1ES3_PlS7_lN6hipcub16HIPCUB_304000_NS6detail34convert_binary_result_type_wrapperINS9_3SumENS9_22TransformInputIteratorIb7NonZeroIaEPalEElEEEE10hipError_tPvRmT1_T2_T3_mT4_P12ihipStream_tbEUlT_E1_NS1_11comp_targetILNS1_3genE3ELNS1_11target_archE908ELNS1_3gpuE7ELNS1_3repE0EEENS1_30default_config_static_selectorELNS0_4arch9wavefront6targetE1EEEvSM_
	.globl	_ZN7rocprim17ROCPRIM_400000_NS6detail17trampoline_kernelINS0_14default_configENS1_22reduce_config_selectorIlEEZNS1_11reduce_implILb1ES3_PlS7_lN6hipcub16HIPCUB_304000_NS6detail34convert_binary_result_type_wrapperINS9_3SumENS9_22TransformInputIteratorIb7NonZeroIaEPalEElEEEE10hipError_tPvRmT1_T2_T3_mT4_P12ihipStream_tbEUlT_E1_NS1_11comp_targetILNS1_3genE3ELNS1_11target_archE908ELNS1_3gpuE7ELNS1_3repE0EEENS1_30default_config_static_selectorELNS0_4arch9wavefront6targetE1EEEvSM_
	.p2align	8
	.type	_ZN7rocprim17ROCPRIM_400000_NS6detail17trampoline_kernelINS0_14default_configENS1_22reduce_config_selectorIlEEZNS1_11reduce_implILb1ES3_PlS7_lN6hipcub16HIPCUB_304000_NS6detail34convert_binary_result_type_wrapperINS9_3SumENS9_22TransformInputIteratorIb7NonZeroIaEPalEElEEEE10hipError_tPvRmT1_T2_T3_mT4_P12ihipStream_tbEUlT_E1_NS1_11comp_targetILNS1_3genE3ELNS1_11target_archE908ELNS1_3gpuE7ELNS1_3repE0EEENS1_30default_config_static_selectorELNS0_4arch9wavefront6targetE1EEEvSM_,@function
_ZN7rocprim17ROCPRIM_400000_NS6detail17trampoline_kernelINS0_14default_configENS1_22reduce_config_selectorIlEEZNS1_11reduce_implILb1ES3_PlS7_lN6hipcub16HIPCUB_304000_NS6detail34convert_binary_result_type_wrapperINS9_3SumENS9_22TransformInputIteratorIb7NonZeroIaEPalEElEEEE10hipError_tPvRmT1_T2_T3_mT4_P12ihipStream_tbEUlT_E1_NS1_11comp_targetILNS1_3genE3ELNS1_11target_archE908ELNS1_3gpuE7ELNS1_3repE0EEENS1_30default_config_static_selectorELNS0_4arch9wavefront6targetE1EEEvSM_: ; @_ZN7rocprim17ROCPRIM_400000_NS6detail17trampoline_kernelINS0_14default_configENS1_22reduce_config_selectorIlEEZNS1_11reduce_implILb1ES3_PlS7_lN6hipcub16HIPCUB_304000_NS6detail34convert_binary_result_type_wrapperINS9_3SumENS9_22TransformInputIteratorIb7NonZeroIaEPalEElEEEE10hipError_tPvRmT1_T2_T3_mT4_P12ihipStream_tbEUlT_E1_NS1_11comp_targetILNS1_3genE3ELNS1_11target_archE908ELNS1_3gpuE7ELNS1_3repE0EEENS1_30default_config_static_selectorELNS0_4arch9wavefront6targetE1EEEvSM_
; %bb.0:
	.section	.rodata,"a",@progbits
	.p2align	6, 0x0
	.amdhsa_kernel _ZN7rocprim17ROCPRIM_400000_NS6detail17trampoline_kernelINS0_14default_configENS1_22reduce_config_selectorIlEEZNS1_11reduce_implILb1ES3_PlS7_lN6hipcub16HIPCUB_304000_NS6detail34convert_binary_result_type_wrapperINS9_3SumENS9_22TransformInputIteratorIb7NonZeroIaEPalEElEEEE10hipError_tPvRmT1_T2_T3_mT4_P12ihipStream_tbEUlT_E1_NS1_11comp_targetILNS1_3genE3ELNS1_11target_archE908ELNS1_3gpuE7ELNS1_3repE0EEENS1_30default_config_static_selectorELNS0_4arch9wavefront6targetE1EEEvSM_
		.amdhsa_group_segment_fixed_size 0
		.amdhsa_private_segment_fixed_size 0
		.amdhsa_kernarg_size 48
		.amdhsa_user_sgpr_count 2
		.amdhsa_user_sgpr_dispatch_ptr 0
		.amdhsa_user_sgpr_queue_ptr 0
		.amdhsa_user_sgpr_kernarg_segment_ptr 1
		.amdhsa_user_sgpr_dispatch_id 0
		.amdhsa_user_sgpr_kernarg_preload_length 0
		.amdhsa_user_sgpr_kernarg_preload_offset 0
		.amdhsa_user_sgpr_private_segment_size 0
		.amdhsa_uses_dynamic_stack 0
		.amdhsa_enable_private_segment 0
		.amdhsa_system_sgpr_workgroup_id_x 1
		.amdhsa_system_sgpr_workgroup_id_y 0
		.amdhsa_system_sgpr_workgroup_id_z 0
		.amdhsa_system_sgpr_workgroup_info 0
		.amdhsa_system_vgpr_workitem_id 0
		.amdhsa_next_free_vgpr 1
		.amdhsa_next_free_sgpr 0
		.amdhsa_accum_offset 4
		.amdhsa_reserve_vcc 0
		.amdhsa_float_round_mode_32 0
		.amdhsa_float_round_mode_16_64 0
		.amdhsa_float_denorm_mode_32 3
		.amdhsa_float_denorm_mode_16_64 3
		.amdhsa_dx10_clamp 1
		.amdhsa_ieee_mode 1
		.amdhsa_fp16_overflow 0
		.amdhsa_tg_split 0
		.amdhsa_exception_fp_ieee_invalid_op 0
		.amdhsa_exception_fp_denorm_src 0
		.amdhsa_exception_fp_ieee_div_zero 0
		.amdhsa_exception_fp_ieee_overflow 0
		.amdhsa_exception_fp_ieee_underflow 0
		.amdhsa_exception_fp_ieee_inexact 0
		.amdhsa_exception_int_div_zero 0
	.end_amdhsa_kernel
	.section	.text._ZN7rocprim17ROCPRIM_400000_NS6detail17trampoline_kernelINS0_14default_configENS1_22reduce_config_selectorIlEEZNS1_11reduce_implILb1ES3_PlS7_lN6hipcub16HIPCUB_304000_NS6detail34convert_binary_result_type_wrapperINS9_3SumENS9_22TransformInputIteratorIb7NonZeroIaEPalEElEEEE10hipError_tPvRmT1_T2_T3_mT4_P12ihipStream_tbEUlT_E1_NS1_11comp_targetILNS1_3genE3ELNS1_11target_archE908ELNS1_3gpuE7ELNS1_3repE0EEENS1_30default_config_static_selectorELNS0_4arch9wavefront6targetE1EEEvSM_,"axG",@progbits,_ZN7rocprim17ROCPRIM_400000_NS6detail17trampoline_kernelINS0_14default_configENS1_22reduce_config_selectorIlEEZNS1_11reduce_implILb1ES3_PlS7_lN6hipcub16HIPCUB_304000_NS6detail34convert_binary_result_type_wrapperINS9_3SumENS9_22TransformInputIteratorIb7NonZeroIaEPalEElEEEE10hipError_tPvRmT1_T2_T3_mT4_P12ihipStream_tbEUlT_E1_NS1_11comp_targetILNS1_3genE3ELNS1_11target_archE908ELNS1_3gpuE7ELNS1_3repE0EEENS1_30default_config_static_selectorELNS0_4arch9wavefront6targetE1EEEvSM_,comdat
.Lfunc_end12:
	.size	_ZN7rocprim17ROCPRIM_400000_NS6detail17trampoline_kernelINS0_14default_configENS1_22reduce_config_selectorIlEEZNS1_11reduce_implILb1ES3_PlS7_lN6hipcub16HIPCUB_304000_NS6detail34convert_binary_result_type_wrapperINS9_3SumENS9_22TransformInputIteratorIb7NonZeroIaEPalEElEEEE10hipError_tPvRmT1_T2_T3_mT4_P12ihipStream_tbEUlT_E1_NS1_11comp_targetILNS1_3genE3ELNS1_11target_archE908ELNS1_3gpuE7ELNS1_3repE0EEENS1_30default_config_static_selectorELNS0_4arch9wavefront6targetE1EEEvSM_, .Lfunc_end12-_ZN7rocprim17ROCPRIM_400000_NS6detail17trampoline_kernelINS0_14default_configENS1_22reduce_config_selectorIlEEZNS1_11reduce_implILb1ES3_PlS7_lN6hipcub16HIPCUB_304000_NS6detail34convert_binary_result_type_wrapperINS9_3SumENS9_22TransformInputIteratorIb7NonZeroIaEPalEElEEEE10hipError_tPvRmT1_T2_T3_mT4_P12ihipStream_tbEUlT_E1_NS1_11comp_targetILNS1_3genE3ELNS1_11target_archE908ELNS1_3gpuE7ELNS1_3repE0EEENS1_30default_config_static_selectorELNS0_4arch9wavefront6targetE1EEEvSM_
                                        ; -- End function
	.set _ZN7rocprim17ROCPRIM_400000_NS6detail17trampoline_kernelINS0_14default_configENS1_22reduce_config_selectorIlEEZNS1_11reduce_implILb1ES3_PlS7_lN6hipcub16HIPCUB_304000_NS6detail34convert_binary_result_type_wrapperINS9_3SumENS9_22TransformInputIteratorIb7NonZeroIaEPalEElEEEE10hipError_tPvRmT1_T2_T3_mT4_P12ihipStream_tbEUlT_E1_NS1_11comp_targetILNS1_3genE3ELNS1_11target_archE908ELNS1_3gpuE7ELNS1_3repE0EEENS1_30default_config_static_selectorELNS0_4arch9wavefront6targetE1EEEvSM_.num_vgpr, 0
	.set _ZN7rocprim17ROCPRIM_400000_NS6detail17trampoline_kernelINS0_14default_configENS1_22reduce_config_selectorIlEEZNS1_11reduce_implILb1ES3_PlS7_lN6hipcub16HIPCUB_304000_NS6detail34convert_binary_result_type_wrapperINS9_3SumENS9_22TransformInputIteratorIb7NonZeroIaEPalEElEEEE10hipError_tPvRmT1_T2_T3_mT4_P12ihipStream_tbEUlT_E1_NS1_11comp_targetILNS1_3genE3ELNS1_11target_archE908ELNS1_3gpuE7ELNS1_3repE0EEENS1_30default_config_static_selectorELNS0_4arch9wavefront6targetE1EEEvSM_.num_agpr, 0
	.set _ZN7rocprim17ROCPRIM_400000_NS6detail17trampoline_kernelINS0_14default_configENS1_22reduce_config_selectorIlEEZNS1_11reduce_implILb1ES3_PlS7_lN6hipcub16HIPCUB_304000_NS6detail34convert_binary_result_type_wrapperINS9_3SumENS9_22TransformInputIteratorIb7NonZeroIaEPalEElEEEE10hipError_tPvRmT1_T2_T3_mT4_P12ihipStream_tbEUlT_E1_NS1_11comp_targetILNS1_3genE3ELNS1_11target_archE908ELNS1_3gpuE7ELNS1_3repE0EEENS1_30default_config_static_selectorELNS0_4arch9wavefront6targetE1EEEvSM_.numbered_sgpr, 0
	.set _ZN7rocprim17ROCPRIM_400000_NS6detail17trampoline_kernelINS0_14default_configENS1_22reduce_config_selectorIlEEZNS1_11reduce_implILb1ES3_PlS7_lN6hipcub16HIPCUB_304000_NS6detail34convert_binary_result_type_wrapperINS9_3SumENS9_22TransformInputIteratorIb7NonZeroIaEPalEElEEEE10hipError_tPvRmT1_T2_T3_mT4_P12ihipStream_tbEUlT_E1_NS1_11comp_targetILNS1_3genE3ELNS1_11target_archE908ELNS1_3gpuE7ELNS1_3repE0EEENS1_30default_config_static_selectorELNS0_4arch9wavefront6targetE1EEEvSM_.num_named_barrier, 0
	.set _ZN7rocprim17ROCPRIM_400000_NS6detail17trampoline_kernelINS0_14default_configENS1_22reduce_config_selectorIlEEZNS1_11reduce_implILb1ES3_PlS7_lN6hipcub16HIPCUB_304000_NS6detail34convert_binary_result_type_wrapperINS9_3SumENS9_22TransformInputIteratorIb7NonZeroIaEPalEElEEEE10hipError_tPvRmT1_T2_T3_mT4_P12ihipStream_tbEUlT_E1_NS1_11comp_targetILNS1_3genE3ELNS1_11target_archE908ELNS1_3gpuE7ELNS1_3repE0EEENS1_30default_config_static_selectorELNS0_4arch9wavefront6targetE1EEEvSM_.private_seg_size, 0
	.set _ZN7rocprim17ROCPRIM_400000_NS6detail17trampoline_kernelINS0_14default_configENS1_22reduce_config_selectorIlEEZNS1_11reduce_implILb1ES3_PlS7_lN6hipcub16HIPCUB_304000_NS6detail34convert_binary_result_type_wrapperINS9_3SumENS9_22TransformInputIteratorIb7NonZeroIaEPalEElEEEE10hipError_tPvRmT1_T2_T3_mT4_P12ihipStream_tbEUlT_E1_NS1_11comp_targetILNS1_3genE3ELNS1_11target_archE908ELNS1_3gpuE7ELNS1_3repE0EEENS1_30default_config_static_selectorELNS0_4arch9wavefront6targetE1EEEvSM_.uses_vcc, 0
	.set _ZN7rocprim17ROCPRIM_400000_NS6detail17trampoline_kernelINS0_14default_configENS1_22reduce_config_selectorIlEEZNS1_11reduce_implILb1ES3_PlS7_lN6hipcub16HIPCUB_304000_NS6detail34convert_binary_result_type_wrapperINS9_3SumENS9_22TransformInputIteratorIb7NonZeroIaEPalEElEEEE10hipError_tPvRmT1_T2_T3_mT4_P12ihipStream_tbEUlT_E1_NS1_11comp_targetILNS1_3genE3ELNS1_11target_archE908ELNS1_3gpuE7ELNS1_3repE0EEENS1_30default_config_static_selectorELNS0_4arch9wavefront6targetE1EEEvSM_.uses_flat_scratch, 0
	.set _ZN7rocprim17ROCPRIM_400000_NS6detail17trampoline_kernelINS0_14default_configENS1_22reduce_config_selectorIlEEZNS1_11reduce_implILb1ES3_PlS7_lN6hipcub16HIPCUB_304000_NS6detail34convert_binary_result_type_wrapperINS9_3SumENS9_22TransformInputIteratorIb7NonZeroIaEPalEElEEEE10hipError_tPvRmT1_T2_T3_mT4_P12ihipStream_tbEUlT_E1_NS1_11comp_targetILNS1_3genE3ELNS1_11target_archE908ELNS1_3gpuE7ELNS1_3repE0EEENS1_30default_config_static_selectorELNS0_4arch9wavefront6targetE1EEEvSM_.has_dyn_sized_stack, 0
	.set _ZN7rocprim17ROCPRIM_400000_NS6detail17trampoline_kernelINS0_14default_configENS1_22reduce_config_selectorIlEEZNS1_11reduce_implILb1ES3_PlS7_lN6hipcub16HIPCUB_304000_NS6detail34convert_binary_result_type_wrapperINS9_3SumENS9_22TransformInputIteratorIb7NonZeroIaEPalEElEEEE10hipError_tPvRmT1_T2_T3_mT4_P12ihipStream_tbEUlT_E1_NS1_11comp_targetILNS1_3genE3ELNS1_11target_archE908ELNS1_3gpuE7ELNS1_3repE0EEENS1_30default_config_static_selectorELNS0_4arch9wavefront6targetE1EEEvSM_.has_recursion, 0
	.set _ZN7rocprim17ROCPRIM_400000_NS6detail17trampoline_kernelINS0_14default_configENS1_22reduce_config_selectorIlEEZNS1_11reduce_implILb1ES3_PlS7_lN6hipcub16HIPCUB_304000_NS6detail34convert_binary_result_type_wrapperINS9_3SumENS9_22TransformInputIteratorIb7NonZeroIaEPalEElEEEE10hipError_tPvRmT1_T2_T3_mT4_P12ihipStream_tbEUlT_E1_NS1_11comp_targetILNS1_3genE3ELNS1_11target_archE908ELNS1_3gpuE7ELNS1_3repE0EEENS1_30default_config_static_selectorELNS0_4arch9wavefront6targetE1EEEvSM_.has_indirect_call, 0
	.section	.AMDGPU.csdata,"",@progbits
; Kernel info:
; codeLenInByte = 0
; TotalNumSgprs: 6
; NumVgprs: 0
; NumAgprs: 0
; TotalNumVgprs: 0
; ScratchSize: 0
; MemoryBound: 0
; FloatMode: 240
; IeeeMode: 1
; LDSByteSize: 0 bytes/workgroup (compile time only)
; SGPRBlocks: 0
; VGPRBlocks: 0
; NumSGPRsForWavesPerEU: 6
; NumVGPRsForWavesPerEU: 1
; AccumOffset: 4
; Occupancy: 8
; WaveLimiterHint : 0
; COMPUTE_PGM_RSRC2:SCRATCH_EN: 0
; COMPUTE_PGM_RSRC2:USER_SGPR: 2
; COMPUTE_PGM_RSRC2:TRAP_HANDLER: 0
; COMPUTE_PGM_RSRC2:TGID_X_EN: 1
; COMPUTE_PGM_RSRC2:TGID_Y_EN: 0
; COMPUTE_PGM_RSRC2:TGID_Z_EN: 0
; COMPUTE_PGM_RSRC2:TIDIG_COMP_CNT: 0
; COMPUTE_PGM_RSRC3_GFX90A:ACCUM_OFFSET: 0
; COMPUTE_PGM_RSRC3_GFX90A:TG_SPLIT: 0
	.section	.text._ZN7rocprim17ROCPRIM_400000_NS6detail17trampoline_kernelINS0_14default_configENS1_22reduce_config_selectorIlEEZNS1_11reduce_implILb1ES3_PlS7_lN6hipcub16HIPCUB_304000_NS6detail34convert_binary_result_type_wrapperINS9_3SumENS9_22TransformInputIteratorIb7NonZeroIaEPalEElEEEE10hipError_tPvRmT1_T2_T3_mT4_P12ihipStream_tbEUlT_E1_NS1_11comp_targetILNS1_3genE2ELNS1_11target_archE906ELNS1_3gpuE6ELNS1_3repE0EEENS1_30default_config_static_selectorELNS0_4arch9wavefront6targetE1EEEvSM_,"axG",@progbits,_ZN7rocprim17ROCPRIM_400000_NS6detail17trampoline_kernelINS0_14default_configENS1_22reduce_config_selectorIlEEZNS1_11reduce_implILb1ES3_PlS7_lN6hipcub16HIPCUB_304000_NS6detail34convert_binary_result_type_wrapperINS9_3SumENS9_22TransformInputIteratorIb7NonZeroIaEPalEElEEEE10hipError_tPvRmT1_T2_T3_mT4_P12ihipStream_tbEUlT_E1_NS1_11comp_targetILNS1_3genE2ELNS1_11target_archE906ELNS1_3gpuE6ELNS1_3repE0EEENS1_30default_config_static_selectorELNS0_4arch9wavefront6targetE1EEEvSM_,comdat
	.protected	_ZN7rocprim17ROCPRIM_400000_NS6detail17trampoline_kernelINS0_14default_configENS1_22reduce_config_selectorIlEEZNS1_11reduce_implILb1ES3_PlS7_lN6hipcub16HIPCUB_304000_NS6detail34convert_binary_result_type_wrapperINS9_3SumENS9_22TransformInputIteratorIb7NonZeroIaEPalEElEEEE10hipError_tPvRmT1_T2_T3_mT4_P12ihipStream_tbEUlT_E1_NS1_11comp_targetILNS1_3genE2ELNS1_11target_archE906ELNS1_3gpuE6ELNS1_3repE0EEENS1_30default_config_static_selectorELNS0_4arch9wavefront6targetE1EEEvSM_ ; -- Begin function _ZN7rocprim17ROCPRIM_400000_NS6detail17trampoline_kernelINS0_14default_configENS1_22reduce_config_selectorIlEEZNS1_11reduce_implILb1ES3_PlS7_lN6hipcub16HIPCUB_304000_NS6detail34convert_binary_result_type_wrapperINS9_3SumENS9_22TransformInputIteratorIb7NonZeroIaEPalEElEEEE10hipError_tPvRmT1_T2_T3_mT4_P12ihipStream_tbEUlT_E1_NS1_11comp_targetILNS1_3genE2ELNS1_11target_archE906ELNS1_3gpuE6ELNS1_3repE0EEENS1_30default_config_static_selectorELNS0_4arch9wavefront6targetE1EEEvSM_
	.globl	_ZN7rocprim17ROCPRIM_400000_NS6detail17trampoline_kernelINS0_14default_configENS1_22reduce_config_selectorIlEEZNS1_11reduce_implILb1ES3_PlS7_lN6hipcub16HIPCUB_304000_NS6detail34convert_binary_result_type_wrapperINS9_3SumENS9_22TransformInputIteratorIb7NonZeroIaEPalEElEEEE10hipError_tPvRmT1_T2_T3_mT4_P12ihipStream_tbEUlT_E1_NS1_11comp_targetILNS1_3genE2ELNS1_11target_archE906ELNS1_3gpuE6ELNS1_3repE0EEENS1_30default_config_static_selectorELNS0_4arch9wavefront6targetE1EEEvSM_
	.p2align	8
	.type	_ZN7rocprim17ROCPRIM_400000_NS6detail17trampoline_kernelINS0_14default_configENS1_22reduce_config_selectorIlEEZNS1_11reduce_implILb1ES3_PlS7_lN6hipcub16HIPCUB_304000_NS6detail34convert_binary_result_type_wrapperINS9_3SumENS9_22TransformInputIteratorIb7NonZeroIaEPalEElEEEE10hipError_tPvRmT1_T2_T3_mT4_P12ihipStream_tbEUlT_E1_NS1_11comp_targetILNS1_3genE2ELNS1_11target_archE906ELNS1_3gpuE6ELNS1_3repE0EEENS1_30default_config_static_selectorELNS0_4arch9wavefront6targetE1EEEvSM_,@function
_ZN7rocprim17ROCPRIM_400000_NS6detail17trampoline_kernelINS0_14default_configENS1_22reduce_config_selectorIlEEZNS1_11reduce_implILb1ES3_PlS7_lN6hipcub16HIPCUB_304000_NS6detail34convert_binary_result_type_wrapperINS9_3SumENS9_22TransformInputIteratorIb7NonZeroIaEPalEElEEEE10hipError_tPvRmT1_T2_T3_mT4_P12ihipStream_tbEUlT_E1_NS1_11comp_targetILNS1_3genE2ELNS1_11target_archE906ELNS1_3gpuE6ELNS1_3repE0EEENS1_30default_config_static_selectorELNS0_4arch9wavefront6targetE1EEEvSM_: ; @_ZN7rocprim17ROCPRIM_400000_NS6detail17trampoline_kernelINS0_14default_configENS1_22reduce_config_selectorIlEEZNS1_11reduce_implILb1ES3_PlS7_lN6hipcub16HIPCUB_304000_NS6detail34convert_binary_result_type_wrapperINS9_3SumENS9_22TransformInputIteratorIb7NonZeroIaEPalEElEEEE10hipError_tPvRmT1_T2_T3_mT4_P12ihipStream_tbEUlT_E1_NS1_11comp_targetILNS1_3genE2ELNS1_11target_archE906ELNS1_3gpuE6ELNS1_3repE0EEENS1_30default_config_static_selectorELNS0_4arch9wavefront6targetE1EEEvSM_
; %bb.0:
	.section	.rodata,"a",@progbits
	.p2align	6, 0x0
	.amdhsa_kernel _ZN7rocprim17ROCPRIM_400000_NS6detail17trampoline_kernelINS0_14default_configENS1_22reduce_config_selectorIlEEZNS1_11reduce_implILb1ES3_PlS7_lN6hipcub16HIPCUB_304000_NS6detail34convert_binary_result_type_wrapperINS9_3SumENS9_22TransformInputIteratorIb7NonZeroIaEPalEElEEEE10hipError_tPvRmT1_T2_T3_mT4_P12ihipStream_tbEUlT_E1_NS1_11comp_targetILNS1_3genE2ELNS1_11target_archE906ELNS1_3gpuE6ELNS1_3repE0EEENS1_30default_config_static_selectorELNS0_4arch9wavefront6targetE1EEEvSM_
		.amdhsa_group_segment_fixed_size 0
		.amdhsa_private_segment_fixed_size 0
		.amdhsa_kernarg_size 48
		.amdhsa_user_sgpr_count 2
		.amdhsa_user_sgpr_dispatch_ptr 0
		.amdhsa_user_sgpr_queue_ptr 0
		.amdhsa_user_sgpr_kernarg_segment_ptr 1
		.amdhsa_user_sgpr_dispatch_id 0
		.amdhsa_user_sgpr_kernarg_preload_length 0
		.amdhsa_user_sgpr_kernarg_preload_offset 0
		.amdhsa_user_sgpr_private_segment_size 0
		.amdhsa_uses_dynamic_stack 0
		.amdhsa_enable_private_segment 0
		.amdhsa_system_sgpr_workgroup_id_x 1
		.amdhsa_system_sgpr_workgroup_id_y 0
		.amdhsa_system_sgpr_workgroup_id_z 0
		.amdhsa_system_sgpr_workgroup_info 0
		.amdhsa_system_vgpr_workitem_id 0
		.amdhsa_next_free_vgpr 1
		.amdhsa_next_free_sgpr 0
		.amdhsa_accum_offset 4
		.amdhsa_reserve_vcc 0
		.amdhsa_float_round_mode_32 0
		.amdhsa_float_round_mode_16_64 0
		.amdhsa_float_denorm_mode_32 3
		.amdhsa_float_denorm_mode_16_64 3
		.amdhsa_dx10_clamp 1
		.amdhsa_ieee_mode 1
		.amdhsa_fp16_overflow 0
		.amdhsa_tg_split 0
		.amdhsa_exception_fp_ieee_invalid_op 0
		.amdhsa_exception_fp_denorm_src 0
		.amdhsa_exception_fp_ieee_div_zero 0
		.amdhsa_exception_fp_ieee_overflow 0
		.amdhsa_exception_fp_ieee_underflow 0
		.amdhsa_exception_fp_ieee_inexact 0
		.amdhsa_exception_int_div_zero 0
	.end_amdhsa_kernel
	.section	.text._ZN7rocprim17ROCPRIM_400000_NS6detail17trampoline_kernelINS0_14default_configENS1_22reduce_config_selectorIlEEZNS1_11reduce_implILb1ES3_PlS7_lN6hipcub16HIPCUB_304000_NS6detail34convert_binary_result_type_wrapperINS9_3SumENS9_22TransformInputIteratorIb7NonZeroIaEPalEElEEEE10hipError_tPvRmT1_T2_T3_mT4_P12ihipStream_tbEUlT_E1_NS1_11comp_targetILNS1_3genE2ELNS1_11target_archE906ELNS1_3gpuE6ELNS1_3repE0EEENS1_30default_config_static_selectorELNS0_4arch9wavefront6targetE1EEEvSM_,"axG",@progbits,_ZN7rocprim17ROCPRIM_400000_NS6detail17trampoline_kernelINS0_14default_configENS1_22reduce_config_selectorIlEEZNS1_11reduce_implILb1ES3_PlS7_lN6hipcub16HIPCUB_304000_NS6detail34convert_binary_result_type_wrapperINS9_3SumENS9_22TransformInputIteratorIb7NonZeroIaEPalEElEEEE10hipError_tPvRmT1_T2_T3_mT4_P12ihipStream_tbEUlT_E1_NS1_11comp_targetILNS1_3genE2ELNS1_11target_archE906ELNS1_3gpuE6ELNS1_3repE0EEENS1_30default_config_static_selectorELNS0_4arch9wavefront6targetE1EEEvSM_,comdat
.Lfunc_end13:
	.size	_ZN7rocprim17ROCPRIM_400000_NS6detail17trampoline_kernelINS0_14default_configENS1_22reduce_config_selectorIlEEZNS1_11reduce_implILb1ES3_PlS7_lN6hipcub16HIPCUB_304000_NS6detail34convert_binary_result_type_wrapperINS9_3SumENS9_22TransformInputIteratorIb7NonZeroIaEPalEElEEEE10hipError_tPvRmT1_T2_T3_mT4_P12ihipStream_tbEUlT_E1_NS1_11comp_targetILNS1_3genE2ELNS1_11target_archE906ELNS1_3gpuE6ELNS1_3repE0EEENS1_30default_config_static_selectorELNS0_4arch9wavefront6targetE1EEEvSM_, .Lfunc_end13-_ZN7rocprim17ROCPRIM_400000_NS6detail17trampoline_kernelINS0_14default_configENS1_22reduce_config_selectorIlEEZNS1_11reduce_implILb1ES3_PlS7_lN6hipcub16HIPCUB_304000_NS6detail34convert_binary_result_type_wrapperINS9_3SumENS9_22TransformInputIteratorIb7NonZeroIaEPalEElEEEE10hipError_tPvRmT1_T2_T3_mT4_P12ihipStream_tbEUlT_E1_NS1_11comp_targetILNS1_3genE2ELNS1_11target_archE906ELNS1_3gpuE6ELNS1_3repE0EEENS1_30default_config_static_selectorELNS0_4arch9wavefront6targetE1EEEvSM_
                                        ; -- End function
	.set _ZN7rocprim17ROCPRIM_400000_NS6detail17trampoline_kernelINS0_14default_configENS1_22reduce_config_selectorIlEEZNS1_11reduce_implILb1ES3_PlS7_lN6hipcub16HIPCUB_304000_NS6detail34convert_binary_result_type_wrapperINS9_3SumENS9_22TransformInputIteratorIb7NonZeroIaEPalEElEEEE10hipError_tPvRmT1_T2_T3_mT4_P12ihipStream_tbEUlT_E1_NS1_11comp_targetILNS1_3genE2ELNS1_11target_archE906ELNS1_3gpuE6ELNS1_3repE0EEENS1_30default_config_static_selectorELNS0_4arch9wavefront6targetE1EEEvSM_.num_vgpr, 0
	.set _ZN7rocprim17ROCPRIM_400000_NS6detail17trampoline_kernelINS0_14default_configENS1_22reduce_config_selectorIlEEZNS1_11reduce_implILb1ES3_PlS7_lN6hipcub16HIPCUB_304000_NS6detail34convert_binary_result_type_wrapperINS9_3SumENS9_22TransformInputIteratorIb7NonZeroIaEPalEElEEEE10hipError_tPvRmT1_T2_T3_mT4_P12ihipStream_tbEUlT_E1_NS1_11comp_targetILNS1_3genE2ELNS1_11target_archE906ELNS1_3gpuE6ELNS1_3repE0EEENS1_30default_config_static_selectorELNS0_4arch9wavefront6targetE1EEEvSM_.num_agpr, 0
	.set _ZN7rocprim17ROCPRIM_400000_NS6detail17trampoline_kernelINS0_14default_configENS1_22reduce_config_selectorIlEEZNS1_11reduce_implILb1ES3_PlS7_lN6hipcub16HIPCUB_304000_NS6detail34convert_binary_result_type_wrapperINS9_3SumENS9_22TransformInputIteratorIb7NonZeroIaEPalEElEEEE10hipError_tPvRmT1_T2_T3_mT4_P12ihipStream_tbEUlT_E1_NS1_11comp_targetILNS1_3genE2ELNS1_11target_archE906ELNS1_3gpuE6ELNS1_3repE0EEENS1_30default_config_static_selectorELNS0_4arch9wavefront6targetE1EEEvSM_.numbered_sgpr, 0
	.set _ZN7rocprim17ROCPRIM_400000_NS6detail17trampoline_kernelINS0_14default_configENS1_22reduce_config_selectorIlEEZNS1_11reduce_implILb1ES3_PlS7_lN6hipcub16HIPCUB_304000_NS6detail34convert_binary_result_type_wrapperINS9_3SumENS9_22TransformInputIteratorIb7NonZeroIaEPalEElEEEE10hipError_tPvRmT1_T2_T3_mT4_P12ihipStream_tbEUlT_E1_NS1_11comp_targetILNS1_3genE2ELNS1_11target_archE906ELNS1_3gpuE6ELNS1_3repE0EEENS1_30default_config_static_selectorELNS0_4arch9wavefront6targetE1EEEvSM_.num_named_barrier, 0
	.set _ZN7rocprim17ROCPRIM_400000_NS6detail17trampoline_kernelINS0_14default_configENS1_22reduce_config_selectorIlEEZNS1_11reduce_implILb1ES3_PlS7_lN6hipcub16HIPCUB_304000_NS6detail34convert_binary_result_type_wrapperINS9_3SumENS9_22TransformInputIteratorIb7NonZeroIaEPalEElEEEE10hipError_tPvRmT1_T2_T3_mT4_P12ihipStream_tbEUlT_E1_NS1_11comp_targetILNS1_3genE2ELNS1_11target_archE906ELNS1_3gpuE6ELNS1_3repE0EEENS1_30default_config_static_selectorELNS0_4arch9wavefront6targetE1EEEvSM_.private_seg_size, 0
	.set _ZN7rocprim17ROCPRIM_400000_NS6detail17trampoline_kernelINS0_14default_configENS1_22reduce_config_selectorIlEEZNS1_11reduce_implILb1ES3_PlS7_lN6hipcub16HIPCUB_304000_NS6detail34convert_binary_result_type_wrapperINS9_3SumENS9_22TransformInputIteratorIb7NonZeroIaEPalEElEEEE10hipError_tPvRmT1_T2_T3_mT4_P12ihipStream_tbEUlT_E1_NS1_11comp_targetILNS1_3genE2ELNS1_11target_archE906ELNS1_3gpuE6ELNS1_3repE0EEENS1_30default_config_static_selectorELNS0_4arch9wavefront6targetE1EEEvSM_.uses_vcc, 0
	.set _ZN7rocprim17ROCPRIM_400000_NS6detail17trampoline_kernelINS0_14default_configENS1_22reduce_config_selectorIlEEZNS1_11reduce_implILb1ES3_PlS7_lN6hipcub16HIPCUB_304000_NS6detail34convert_binary_result_type_wrapperINS9_3SumENS9_22TransformInputIteratorIb7NonZeroIaEPalEElEEEE10hipError_tPvRmT1_T2_T3_mT4_P12ihipStream_tbEUlT_E1_NS1_11comp_targetILNS1_3genE2ELNS1_11target_archE906ELNS1_3gpuE6ELNS1_3repE0EEENS1_30default_config_static_selectorELNS0_4arch9wavefront6targetE1EEEvSM_.uses_flat_scratch, 0
	.set _ZN7rocprim17ROCPRIM_400000_NS6detail17trampoline_kernelINS0_14default_configENS1_22reduce_config_selectorIlEEZNS1_11reduce_implILb1ES3_PlS7_lN6hipcub16HIPCUB_304000_NS6detail34convert_binary_result_type_wrapperINS9_3SumENS9_22TransformInputIteratorIb7NonZeroIaEPalEElEEEE10hipError_tPvRmT1_T2_T3_mT4_P12ihipStream_tbEUlT_E1_NS1_11comp_targetILNS1_3genE2ELNS1_11target_archE906ELNS1_3gpuE6ELNS1_3repE0EEENS1_30default_config_static_selectorELNS0_4arch9wavefront6targetE1EEEvSM_.has_dyn_sized_stack, 0
	.set _ZN7rocprim17ROCPRIM_400000_NS6detail17trampoline_kernelINS0_14default_configENS1_22reduce_config_selectorIlEEZNS1_11reduce_implILb1ES3_PlS7_lN6hipcub16HIPCUB_304000_NS6detail34convert_binary_result_type_wrapperINS9_3SumENS9_22TransformInputIteratorIb7NonZeroIaEPalEElEEEE10hipError_tPvRmT1_T2_T3_mT4_P12ihipStream_tbEUlT_E1_NS1_11comp_targetILNS1_3genE2ELNS1_11target_archE906ELNS1_3gpuE6ELNS1_3repE0EEENS1_30default_config_static_selectorELNS0_4arch9wavefront6targetE1EEEvSM_.has_recursion, 0
	.set _ZN7rocprim17ROCPRIM_400000_NS6detail17trampoline_kernelINS0_14default_configENS1_22reduce_config_selectorIlEEZNS1_11reduce_implILb1ES3_PlS7_lN6hipcub16HIPCUB_304000_NS6detail34convert_binary_result_type_wrapperINS9_3SumENS9_22TransformInputIteratorIb7NonZeroIaEPalEElEEEE10hipError_tPvRmT1_T2_T3_mT4_P12ihipStream_tbEUlT_E1_NS1_11comp_targetILNS1_3genE2ELNS1_11target_archE906ELNS1_3gpuE6ELNS1_3repE0EEENS1_30default_config_static_selectorELNS0_4arch9wavefront6targetE1EEEvSM_.has_indirect_call, 0
	.section	.AMDGPU.csdata,"",@progbits
; Kernel info:
; codeLenInByte = 0
; TotalNumSgprs: 6
; NumVgprs: 0
; NumAgprs: 0
; TotalNumVgprs: 0
; ScratchSize: 0
; MemoryBound: 0
; FloatMode: 240
; IeeeMode: 1
; LDSByteSize: 0 bytes/workgroup (compile time only)
; SGPRBlocks: 0
; VGPRBlocks: 0
; NumSGPRsForWavesPerEU: 6
; NumVGPRsForWavesPerEU: 1
; AccumOffset: 4
; Occupancy: 8
; WaveLimiterHint : 0
; COMPUTE_PGM_RSRC2:SCRATCH_EN: 0
; COMPUTE_PGM_RSRC2:USER_SGPR: 2
; COMPUTE_PGM_RSRC2:TRAP_HANDLER: 0
; COMPUTE_PGM_RSRC2:TGID_X_EN: 1
; COMPUTE_PGM_RSRC2:TGID_Y_EN: 0
; COMPUTE_PGM_RSRC2:TGID_Z_EN: 0
; COMPUTE_PGM_RSRC2:TIDIG_COMP_CNT: 0
; COMPUTE_PGM_RSRC3_GFX90A:ACCUM_OFFSET: 0
; COMPUTE_PGM_RSRC3_GFX90A:TG_SPLIT: 0
	.section	.text._ZN7rocprim17ROCPRIM_400000_NS6detail17trampoline_kernelINS0_14default_configENS1_22reduce_config_selectorIlEEZNS1_11reduce_implILb1ES3_PlS7_lN6hipcub16HIPCUB_304000_NS6detail34convert_binary_result_type_wrapperINS9_3SumENS9_22TransformInputIteratorIb7NonZeroIaEPalEElEEEE10hipError_tPvRmT1_T2_T3_mT4_P12ihipStream_tbEUlT_E1_NS1_11comp_targetILNS1_3genE10ELNS1_11target_archE1201ELNS1_3gpuE5ELNS1_3repE0EEENS1_30default_config_static_selectorELNS0_4arch9wavefront6targetE1EEEvSM_,"axG",@progbits,_ZN7rocprim17ROCPRIM_400000_NS6detail17trampoline_kernelINS0_14default_configENS1_22reduce_config_selectorIlEEZNS1_11reduce_implILb1ES3_PlS7_lN6hipcub16HIPCUB_304000_NS6detail34convert_binary_result_type_wrapperINS9_3SumENS9_22TransformInputIteratorIb7NonZeroIaEPalEElEEEE10hipError_tPvRmT1_T2_T3_mT4_P12ihipStream_tbEUlT_E1_NS1_11comp_targetILNS1_3genE10ELNS1_11target_archE1201ELNS1_3gpuE5ELNS1_3repE0EEENS1_30default_config_static_selectorELNS0_4arch9wavefront6targetE1EEEvSM_,comdat
	.protected	_ZN7rocprim17ROCPRIM_400000_NS6detail17trampoline_kernelINS0_14default_configENS1_22reduce_config_selectorIlEEZNS1_11reduce_implILb1ES3_PlS7_lN6hipcub16HIPCUB_304000_NS6detail34convert_binary_result_type_wrapperINS9_3SumENS9_22TransformInputIteratorIb7NonZeroIaEPalEElEEEE10hipError_tPvRmT1_T2_T3_mT4_P12ihipStream_tbEUlT_E1_NS1_11comp_targetILNS1_3genE10ELNS1_11target_archE1201ELNS1_3gpuE5ELNS1_3repE0EEENS1_30default_config_static_selectorELNS0_4arch9wavefront6targetE1EEEvSM_ ; -- Begin function _ZN7rocprim17ROCPRIM_400000_NS6detail17trampoline_kernelINS0_14default_configENS1_22reduce_config_selectorIlEEZNS1_11reduce_implILb1ES3_PlS7_lN6hipcub16HIPCUB_304000_NS6detail34convert_binary_result_type_wrapperINS9_3SumENS9_22TransformInputIteratorIb7NonZeroIaEPalEElEEEE10hipError_tPvRmT1_T2_T3_mT4_P12ihipStream_tbEUlT_E1_NS1_11comp_targetILNS1_3genE10ELNS1_11target_archE1201ELNS1_3gpuE5ELNS1_3repE0EEENS1_30default_config_static_selectorELNS0_4arch9wavefront6targetE1EEEvSM_
	.globl	_ZN7rocprim17ROCPRIM_400000_NS6detail17trampoline_kernelINS0_14default_configENS1_22reduce_config_selectorIlEEZNS1_11reduce_implILb1ES3_PlS7_lN6hipcub16HIPCUB_304000_NS6detail34convert_binary_result_type_wrapperINS9_3SumENS9_22TransformInputIteratorIb7NonZeroIaEPalEElEEEE10hipError_tPvRmT1_T2_T3_mT4_P12ihipStream_tbEUlT_E1_NS1_11comp_targetILNS1_3genE10ELNS1_11target_archE1201ELNS1_3gpuE5ELNS1_3repE0EEENS1_30default_config_static_selectorELNS0_4arch9wavefront6targetE1EEEvSM_
	.p2align	8
	.type	_ZN7rocprim17ROCPRIM_400000_NS6detail17trampoline_kernelINS0_14default_configENS1_22reduce_config_selectorIlEEZNS1_11reduce_implILb1ES3_PlS7_lN6hipcub16HIPCUB_304000_NS6detail34convert_binary_result_type_wrapperINS9_3SumENS9_22TransformInputIteratorIb7NonZeroIaEPalEElEEEE10hipError_tPvRmT1_T2_T3_mT4_P12ihipStream_tbEUlT_E1_NS1_11comp_targetILNS1_3genE10ELNS1_11target_archE1201ELNS1_3gpuE5ELNS1_3repE0EEENS1_30default_config_static_selectorELNS0_4arch9wavefront6targetE1EEEvSM_,@function
_ZN7rocprim17ROCPRIM_400000_NS6detail17trampoline_kernelINS0_14default_configENS1_22reduce_config_selectorIlEEZNS1_11reduce_implILb1ES3_PlS7_lN6hipcub16HIPCUB_304000_NS6detail34convert_binary_result_type_wrapperINS9_3SumENS9_22TransformInputIteratorIb7NonZeroIaEPalEElEEEE10hipError_tPvRmT1_T2_T3_mT4_P12ihipStream_tbEUlT_E1_NS1_11comp_targetILNS1_3genE10ELNS1_11target_archE1201ELNS1_3gpuE5ELNS1_3repE0EEENS1_30default_config_static_selectorELNS0_4arch9wavefront6targetE1EEEvSM_: ; @_ZN7rocprim17ROCPRIM_400000_NS6detail17trampoline_kernelINS0_14default_configENS1_22reduce_config_selectorIlEEZNS1_11reduce_implILb1ES3_PlS7_lN6hipcub16HIPCUB_304000_NS6detail34convert_binary_result_type_wrapperINS9_3SumENS9_22TransformInputIteratorIb7NonZeroIaEPalEElEEEE10hipError_tPvRmT1_T2_T3_mT4_P12ihipStream_tbEUlT_E1_NS1_11comp_targetILNS1_3genE10ELNS1_11target_archE1201ELNS1_3gpuE5ELNS1_3repE0EEENS1_30default_config_static_selectorELNS0_4arch9wavefront6targetE1EEEvSM_
; %bb.0:
	.section	.rodata,"a",@progbits
	.p2align	6, 0x0
	.amdhsa_kernel _ZN7rocprim17ROCPRIM_400000_NS6detail17trampoline_kernelINS0_14default_configENS1_22reduce_config_selectorIlEEZNS1_11reduce_implILb1ES3_PlS7_lN6hipcub16HIPCUB_304000_NS6detail34convert_binary_result_type_wrapperINS9_3SumENS9_22TransformInputIteratorIb7NonZeroIaEPalEElEEEE10hipError_tPvRmT1_T2_T3_mT4_P12ihipStream_tbEUlT_E1_NS1_11comp_targetILNS1_3genE10ELNS1_11target_archE1201ELNS1_3gpuE5ELNS1_3repE0EEENS1_30default_config_static_selectorELNS0_4arch9wavefront6targetE1EEEvSM_
		.amdhsa_group_segment_fixed_size 0
		.amdhsa_private_segment_fixed_size 0
		.amdhsa_kernarg_size 48
		.amdhsa_user_sgpr_count 2
		.amdhsa_user_sgpr_dispatch_ptr 0
		.amdhsa_user_sgpr_queue_ptr 0
		.amdhsa_user_sgpr_kernarg_segment_ptr 1
		.amdhsa_user_sgpr_dispatch_id 0
		.amdhsa_user_sgpr_kernarg_preload_length 0
		.amdhsa_user_sgpr_kernarg_preload_offset 0
		.amdhsa_user_sgpr_private_segment_size 0
		.amdhsa_uses_dynamic_stack 0
		.amdhsa_enable_private_segment 0
		.amdhsa_system_sgpr_workgroup_id_x 1
		.amdhsa_system_sgpr_workgroup_id_y 0
		.amdhsa_system_sgpr_workgroup_id_z 0
		.amdhsa_system_sgpr_workgroup_info 0
		.amdhsa_system_vgpr_workitem_id 0
		.amdhsa_next_free_vgpr 1
		.amdhsa_next_free_sgpr 0
		.amdhsa_accum_offset 4
		.amdhsa_reserve_vcc 0
		.amdhsa_float_round_mode_32 0
		.amdhsa_float_round_mode_16_64 0
		.amdhsa_float_denorm_mode_32 3
		.amdhsa_float_denorm_mode_16_64 3
		.amdhsa_dx10_clamp 1
		.amdhsa_ieee_mode 1
		.amdhsa_fp16_overflow 0
		.amdhsa_tg_split 0
		.amdhsa_exception_fp_ieee_invalid_op 0
		.amdhsa_exception_fp_denorm_src 0
		.amdhsa_exception_fp_ieee_div_zero 0
		.amdhsa_exception_fp_ieee_overflow 0
		.amdhsa_exception_fp_ieee_underflow 0
		.amdhsa_exception_fp_ieee_inexact 0
		.amdhsa_exception_int_div_zero 0
	.end_amdhsa_kernel
	.section	.text._ZN7rocprim17ROCPRIM_400000_NS6detail17trampoline_kernelINS0_14default_configENS1_22reduce_config_selectorIlEEZNS1_11reduce_implILb1ES3_PlS7_lN6hipcub16HIPCUB_304000_NS6detail34convert_binary_result_type_wrapperINS9_3SumENS9_22TransformInputIteratorIb7NonZeroIaEPalEElEEEE10hipError_tPvRmT1_T2_T3_mT4_P12ihipStream_tbEUlT_E1_NS1_11comp_targetILNS1_3genE10ELNS1_11target_archE1201ELNS1_3gpuE5ELNS1_3repE0EEENS1_30default_config_static_selectorELNS0_4arch9wavefront6targetE1EEEvSM_,"axG",@progbits,_ZN7rocprim17ROCPRIM_400000_NS6detail17trampoline_kernelINS0_14default_configENS1_22reduce_config_selectorIlEEZNS1_11reduce_implILb1ES3_PlS7_lN6hipcub16HIPCUB_304000_NS6detail34convert_binary_result_type_wrapperINS9_3SumENS9_22TransformInputIteratorIb7NonZeroIaEPalEElEEEE10hipError_tPvRmT1_T2_T3_mT4_P12ihipStream_tbEUlT_E1_NS1_11comp_targetILNS1_3genE10ELNS1_11target_archE1201ELNS1_3gpuE5ELNS1_3repE0EEENS1_30default_config_static_selectorELNS0_4arch9wavefront6targetE1EEEvSM_,comdat
.Lfunc_end14:
	.size	_ZN7rocprim17ROCPRIM_400000_NS6detail17trampoline_kernelINS0_14default_configENS1_22reduce_config_selectorIlEEZNS1_11reduce_implILb1ES3_PlS7_lN6hipcub16HIPCUB_304000_NS6detail34convert_binary_result_type_wrapperINS9_3SumENS9_22TransformInputIteratorIb7NonZeroIaEPalEElEEEE10hipError_tPvRmT1_T2_T3_mT4_P12ihipStream_tbEUlT_E1_NS1_11comp_targetILNS1_3genE10ELNS1_11target_archE1201ELNS1_3gpuE5ELNS1_3repE0EEENS1_30default_config_static_selectorELNS0_4arch9wavefront6targetE1EEEvSM_, .Lfunc_end14-_ZN7rocprim17ROCPRIM_400000_NS6detail17trampoline_kernelINS0_14default_configENS1_22reduce_config_selectorIlEEZNS1_11reduce_implILb1ES3_PlS7_lN6hipcub16HIPCUB_304000_NS6detail34convert_binary_result_type_wrapperINS9_3SumENS9_22TransformInputIteratorIb7NonZeroIaEPalEElEEEE10hipError_tPvRmT1_T2_T3_mT4_P12ihipStream_tbEUlT_E1_NS1_11comp_targetILNS1_3genE10ELNS1_11target_archE1201ELNS1_3gpuE5ELNS1_3repE0EEENS1_30default_config_static_selectorELNS0_4arch9wavefront6targetE1EEEvSM_
                                        ; -- End function
	.set _ZN7rocprim17ROCPRIM_400000_NS6detail17trampoline_kernelINS0_14default_configENS1_22reduce_config_selectorIlEEZNS1_11reduce_implILb1ES3_PlS7_lN6hipcub16HIPCUB_304000_NS6detail34convert_binary_result_type_wrapperINS9_3SumENS9_22TransformInputIteratorIb7NonZeroIaEPalEElEEEE10hipError_tPvRmT1_T2_T3_mT4_P12ihipStream_tbEUlT_E1_NS1_11comp_targetILNS1_3genE10ELNS1_11target_archE1201ELNS1_3gpuE5ELNS1_3repE0EEENS1_30default_config_static_selectorELNS0_4arch9wavefront6targetE1EEEvSM_.num_vgpr, 0
	.set _ZN7rocprim17ROCPRIM_400000_NS6detail17trampoline_kernelINS0_14default_configENS1_22reduce_config_selectorIlEEZNS1_11reduce_implILb1ES3_PlS7_lN6hipcub16HIPCUB_304000_NS6detail34convert_binary_result_type_wrapperINS9_3SumENS9_22TransformInputIteratorIb7NonZeroIaEPalEElEEEE10hipError_tPvRmT1_T2_T3_mT4_P12ihipStream_tbEUlT_E1_NS1_11comp_targetILNS1_3genE10ELNS1_11target_archE1201ELNS1_3gpuE5ELNS1_3repE0EEENS1_30default_config_static_selectorELNS0_4arch9wavefront6targetE1EEEvSM_.num_agpr, 0
	.set _ZN7rocprim17ROCPRIM_400000_NS6detail17trampoline_kernelINS0_14default_configENS1_22reduce_config_selectorIlEEZNS1_11reduce_implILb1ES3_PlS7_lN6hipcub16HIPCUB_304000_NS6detail34convert_binary_result_type_wrapperINS9_3SumENS9_22TransformInputIteratorIb7NonZeroIaEPalEElEEEE10hipError_tPvRmT1_T2_T3_mT4_P12ihipStream_tbEUlT_E1_NS1_11comp_targetILNS1_3genE10ELNS1_11target_archE1201ELNS1_3gpuE5ELNS1_3repE0EEENS1_30default_config_static_selectorELNS0_4arch9wavefront6targetE1EEEvSM_.numbered_sgpr, 0
	.set _ZN7rocprim17ROCPRIM_400000_NS6detail17trampoline_kernelINS0_14default_configENS1_22reduce_config_selectorIlEEZNS1_11reduce_implILb1ES3_PlS7_lN6hipcub16HIPCUB_304000_NS6detail34convert_binary_result_type_wrapperINS9_3SumENS9_22TransformInputIteratorIb7NonZeroIaEPalEElEEEE10hipError_tPvRmT1_T2_T3_mT4_P12ihipStream_tbEUlT_E1_NS1_11comp_targetILNS1_3genE10ELNS1_11target_archE1201ELNS1_3gpuE5ELNS1_3repE0EEENS1_30default_config_static_selectorELNS0_4arch9wavefront6targetE1EEEvSM_.num_named_barrier, 0
	.set _ZN7rocprim17ROCPRIM_400000_NS6detail17trampoline_kernelINS0_14default_configENS1_22reduce_config_selectorIlEEZNS1_11reduce_implILb1ES3_PlS7_lN6hipcub16HIPCUB_304000_NS6detail34convert_binary_result_type_wrapperINS9_3SumENS9_22TransformInputIteratorIb7NonZeroIaEPalEElEEEE10hipError_tPvRmT1_T2_T3_mT4_P12ihipStream_tbEUlT_E1_NS1_11comp_targetILNS1_3genE10ELNS1_11target_archE1201ELNS1_3gpuE5ELNS1_3repE0EEENS1_30default_config_static_selectorELNS0_4arch9wavefront6targetE1EEEvSM_.private_seg_size, 0
	.set _ZN7rocprim17ROCPRIM_400000_NS6detail17trampoline_kernelINS0_14default_configENS1_22reduce_config_selectorIlEEZNS1_11reduce_implILb1ES3_PlS7_lN6hipcub16HIPCUB_304000_NS6detail34convert_binary_result_type_wrapperINS9_3SumENS9_22TransformInputIteratorIb7NonZeroIaEPalEElEEEE10hipError_tPvRmT1_T2_T3_mT4_P12ihipStream_tbEUlT_E1_NS1_11comp_targetILNS1_3genE10ELNS1_11target_archE1201ELNS1_3gpuE5ELNS1_3repE0EEENS1_30default_config_static_selectorELNS0_4arch9wavefront6targetE1EEEvSM_.uses_vcc, 0
	.set _ZN7rocprim17ROCPRIM_400000_NS6detail17trampoline_kernelINS0_14default_configENS1_22reduce_config_selectorIlEEZNS1_11reduce_implILb1ES3_PlS7_lN6hipcub16HIPCUB_304000_NS6detail34convert_binary_result_type_wrapperINS9_3SumENS9_22TransformInputIteratorIb7NonZeroIaEPalEElEEEE10hipError_tPvRmT1_T2_T3_mT4_P12ihipStream_tbEUlT_E1_NS1_11comp_targetILNS1_3genE10ELNS1_11target_archE1201ELNS1_3gpuE5ELNS1_3repE0EEENS1_30default_config_static_selectorELNS0_4arch9wavefront6targetE1EEEvSM_.uses_flat_scratch, 0
	.set _ZN7rocprim17ROCPRIM_400000_NS6detail17trampoline_kernelINS0_14default_configENS1_22reduce_config_selectorIlEEZNS1_11reduce_implILb1ES3_PlS7_lN6hipcub16HIPCUB_304000_NS6detail34convert_binary_result_type_wrapperINS9_3SumENS9_22TransformInputIteratorIb7NonZeroIaEPalEElEEEE10hipError_tPvRmT1_T2_T3_mT4_P12ihipStream_tbEUlT_E1_NS1_11comp_targetILNS1_3genE10ELNS1_11target_archE1201ELNS1_3gpuE5ELNS1_3repE0EEENS1_30default_config_static_selectorELNS0_4arch9wavefront6targetE1EEEvSM_.has_dyn_sized_stack, 0
	.set _ZN7rocprim17ROCPRIM_400000_NS6detail17trampoline_kernelINS0_14default_configENS1_22reduce_config_selectorIlEEZNS1_11reduce_implILb1ES3_PlS7_lN6hipcub16HIPCUB_304000_NS6detail34convert_binary_result_type_wrapperINS9_3SumENS9_22TransformInputIteratorIb7NonZeroIaEPalEElEEEE10hipError_tPvRmT1_T2_T3_mT4_P12ihipStream_tbEUlT_E1_NS1_11comp_targetILNS1_3genE10ELNS1_11target_archE1201ELNS1_3gpuE5ELNS1_3repE0EEENS1_30default_config_static_selectorELNS0_4arch9wavefront6targetE1EEEvSM_.has_recursion, 0
	.set _ZN7rocprim17ROCPRIM_400000_NS6detail17trampoline_kernelINS0_14default_configENS1_22reduce_config_selectorIlEEZNS1_11reduce_implILb1ES3_PlS7_lN6hipcub16HIPCUB_304000_NS6detail34convert_binary_result_type_wrapperINS9_3SumENS9_22TransformInputIteratorIb7NonZeroIaEPalEElEEEE10hipError_tPvRmT1_T2_T3_mT4_P12ihipStream_tbEUlT_E1_NS1_11comp_targetILNS1_3genE10ELNS1_11target_archE1201ELNS1_3gpuE5ELNS1_3repE0EEENS1_30default_config_static_selectorELNS0_4arch9wavefront6targetE1EEEvSM_.has_indirect_call, 0
	.section	.AMDGPU.csdata,"",@progbits
; Kernel info:
; codeLenInByte = 0
; TotalNumSgprs: 6
; NumVgprs: 0
; NumAgprs: 0
; TotalNumVgprs: 0
; ScratchSize: 0
; MemoryBound: 0
; FloatMode: 240
; IeeeMode: 1
; LDSByteSize: 0 bytes/workgroup (compile time only)
; SGPRBlocks: 0
; VGPRBlocks: 0
; NumSGPRsForWavesPerEU: 6
; NumVGPRsForWavesPerEU: 1
; AccumOffset: 4
; Occupancy: 8
; WaveLimiterHint : 0
; COMPUTE_PGM_RSRC2:SCRATCH_EN: 0
; COMPUTE_PGM_RSRC2:USER_SGPR: 2
; COMPUTE_PGM_RSRC2:TRAP_HANDLER: 0
; COMPUTE_PGM_RSRC2:TGID_X_EN: 1
; COMPUTE_PGM_RSRC2:TGID_Y_EN: 0
; COMPUTE_PGM_RSRC2:TGID_Z_EN: 0
; COMPUTE_PGM_RSRC2:TIDIG_COMP_CNT: 0
; COMPUTE_PGM_RSRC3_GFX90A:ACCUM_OFFSET: 0
; COMPUTE_PGM_RSRC3_GFX90A:TG_SPLIT: 0
	.section	.text._ZN7rocprim17ROCPRIM_400000_NS6detail17trampoline_kernelINS0_14default_configENS1_22reduce_config_selectorIlEEZNS1_11reduce_implILb1ES3_PlS7_lN6hipcub16HIPCUB_304000_NS6detail34convert_binary_result_type_wrapperINS9_3SumENS9_22TransformInputIteratorIb7NonZeroIaEPalEElEEEE10hipError_tPvRmT1_T2_T3_mT4_P12ihipStream_tbEUlT_E1_NS1_11comp_targetILNS1_3genE10ELNS1_11target_archE1200ELNS1_3gpuE4ELNS1_3repE0EEENS1_30default_config_static_selectorELNS0_4arch9wavefront6targetE1EEEvSM_,"axG",@progbits,_ZN7rocprim17ROCPRIM_400000_NS6detail17trampoline_kernelINS0_14default_configENS1_22reduce_config_selectorIlEEZNS1_11reduce_implILb1ES3_PlS7_lN6hipcub16HIPCUB_304000_NS6detail34convert_binary_result_type_wrapperINS9_3SumENS9_22TransformInputIteratorIb7NonZeroIaEPalEElEEEE10hipError_tPvRmT1_T2_T3_mT4_P12ihipStream_tbEUlT_E1_NS1_11comp_targetILNS1_3genE10ELNS1_11target_archE1200ELNS1_3gpuE4ELNS1_3repE0EEENS1_30default_config_static_selectorELNS0_4arch9wavefront6targetE1EEEvSM_,comdat
	.protected	_ZN7rocprim17ROCPRIM_400000_NS6detail17trampoline_kernelINS0_14default_configENS1_22reduce_config_selectorIlEEZNS1_11reduce_implILb1ES3_PlS7_lN6hipcub16HIPCUB_304000_NS6detail34convert_binary_result_type_wrapperINS9_3SumENS9_22TransformInputIteratorIb7NonZeroIaEPalEElEEEE10hipError_tPvRmT1_T2_T3_mT4_P12ihipStream_tbEUlT_E1_NS1_11comp_targetILNS1_3genE10ELNS1_11target_archE1200ELNS1_3gpuE4ELNS1_3repE0EEENS1_30default_config_static_selectorELNS0_4arch9wavefront6targetE1EEEvSM_ ; -- Begin function _ZN7rocprim17ROCPRIM_400000_NS6detail17trampoline_kernelINS0_14default_configENS1_22reduce_config_selectorIlEEZNS1_11reduce_implILb1ES3_PlS7_lN6hipcub16HIPCUB_304000_NS6detail34convert_binary_result_type_wrapperINS9_3SumENS9_22TransformInputIteratorIb7NonZeroIaEPalEElEEEE10hipError_tPvRmT1_T2_T3_mT4_P12ihipStream_tbEUlT_E1_NS1_11comp_targetILNS1_3genE10ELNS1_11target_archE1200ELNS1_3gpuE4ELNS1_3repE0EEENS1_30default_config_static_selectorELNS0_4arch9wavefront6targetE1EEEvSM_
	.globl	_ZN7rocprim17ROCPRIM_400000_NS6detail17trampoline_kernelINS0_14default_configENS1_22reduce_config_selectorIlEEZNS1_11reduce_implILb1ES3_PlS7_lN6hipcub16HIPCUB_304000_NS6detail34convert_binary_result_type_wrapperINS9_3SumENS9_22TransformInputIteratorIb7NonZeroIaEPalEElEEEE10hipError_tPvRmT1_T2_T3_mT4_P12ihipStream_tbEUlT_E1_NS1_11comp_targetILNS1_3genE10ELNS1_11target_archE1200ELNS1_3gpuE4ELNS1_3repE0EEENS1_30default_config_static_selectorELNS0_4arch9wavefront6targetE1EEEvSM_
	.p2align	8
	.type	_ZN7rocprim17ROCPRIM_400000_NS6detail17trampoline_kernelINS0_14default_configENS1_22reduce_config_selectorIlEEZNS1_11reduce_implILb1ES3_PlS7_lN6hipcub16HIPCUB_304000_NS6detail34convert_binary_result_type_wrapperINS9_3SumENS9_22TransformInputIteratorIb7NonZeroIaEPalEElEEEE10hipError_tPvRmT1_T2_T3_mT4_P12ihipStream_tbEUlT_E1_NS1_11comp_targetILNS1_3genE10ELNS1_11target_archE1200ELNS1_3gpuE4ELNS1_3repE0EEENS1_30default_config_static_selectorELNS0_4arch9wavefront6targetE1EEEvSM_,@function
_ZN7rocprim17ROCPRIM_400000_NS6detail17trampoline_kernelINS0_14default_configENS1_22reduce_config_selectorIlEEZNS1_11reduce_implILb1ES3_PlS7_lN6hipcub16HIPCUB_304000_NS6detail34convert_binary_result_type_wrapperINS9_3SumENS9_22TransformInputIteratorIb7NonZeroIaEPalEElEEEE10hipError_tPvRmT1_T2_T3_mT4_P12ihipStream_tbEUlT_E1_NS1_11comp_targetILNS1_3genE10ELNS1_11target_archE1200ELNS1_3gpuE4ELNS1_3repE0EEENS1_30default_config_static_selectorELNS0_4arch9wavefront6targetE1EEEvSM_: ; @_ZN7rocprim17ROCPRIM_400000_NS6detail17trampoline_kernelINS0_14default_configENS1_22reduce_config_selectorIlEEZNS1_11reduce_implILb1ES3_PlS7_lN6hipcub16HIPCUB_304000_NS6detail34convert_binary_result_type_wrapperINS9_3SumENS9_22TransformInputIteratorIb7NonZeroIaEPalEElEEEE10hipError_tPvRmT1_T2_T3_mT4_P12ihipStream_tbEUlT_E1_NS1_11comp_targetILNS1_3genE10ELNS1_11target_archE1200ELNS1_3gpuE4ELNS1_3repE0EEENS1_30default_config_static_selectorELNS0_4arch9wavefront6targetE1EEEvSM_
; %bb.0:
	.section	.rodata,"a",@progbits
	.p2align	6, 0x0
	.amdhsa_kernel _ZN7rocprim17ROCPRIM_400000_NS6detail17trampoline_kernelINS0_14default_configENS1_22reduce_config_selectorIlEEZNS1_11reduce_implILb1ES3_PlS7_lN6hipcub16HIPCUB_304000_NS6detail34convert_binary_result_type_wrapperINS9_3SumENS9_22TransformInputIteratorIb7NonZeroIaEPalEElEEEE10hipError_tPvRmT1_T2_T3_mT4_P12ihipStream_tbEUlT_E1_NS1_11comp_targetILNS1_3genE10ELNS1_11target_archE1200ELNS1_3gpuE4ELNS1_3repE0EEENS1_30default_config_static_selectorELNS0_4arch9wavefront6targetE1EEEvSM_
		.amdhsa_group_segment_fixed_size 0
		.amdhsa_private_segment_fixed_size 0
		.amdhsa_kernarg_size 48
		.amdhsa_user_sgpr_count 2
		.amdhsa_user_sgpr_dispatch_ptr 0
		.amdhsa_user_sgpr_queue_ptr 0
		.amdhsa_user_sgpr_kernarg_segment_ptr 1
		.amdhsa_user_sgpr_dispatch_id 0
		.amdhsa_user_sgpr_kernarg_preload_length 0
		.amdhsa_user_sgpr_kernarg_preload_offset 0
		.amdhsa_user_sgpr_private_segment_size 0
		.amdhsa_uses_dynamic_stack 0
		.amdhsa_enable_private_segment 0
		.amdhsa_system_sgpr_workgroup_id_x 1
		.amdhsa_system_sgpr_workgroup_id_y 0
		.amdhsa_system_sgpr_workgroup_id_z 0
		.amdhsa_system_sgpr_workgroup_info 0
		.amdhsa_system_vgpr_workitem_id 0
		.amdhsa_next_free_vgpr 1
		.amdhsa_next_free_sgpr 0
		.amdhsa_accum_offset 4
		.amdhsa_reserve_vcc 0
		.amdhsa_float_round_mode_32 0
		.amdhsa_float_round_mode_16_64 0
		.amdhsa_float_denorm_mode_32 3
		.amdhsa_float_denorm_mode_16_64 3
		.amdhsa_dx10_clamp 1
		.amdhsa_ieee_mode 1
		.amdhsa_fp16_overflow 0
		.amdhsa_tg_split 0
		.amdhsa_exception_fp_ieee_invalid_op 0
		.amdhsa_exception_fp_denorm_src 0
		.amdhsa_exception_fp_ieee_div_zero 0
		.amdhsa_exception_fp_ieee_overflow 0
		.amdhsa_exception_fp_ieee_underflow 0
		.amdhsa_exception_fp_ieee_inexact 0
		.amdhsa_exception_int_div_zero 0
	.end_amdhsa_kernel
	.section	.text._ZN7rocprim17ROCPRIM_400000_NS6detail17trampoline_kernelINS0_14default_configENS1_22reduce_config_selectorIlEEZNS1_11reduce_implILb1ES3_PlS7_lN6hipcub16HIPCUB_304000_NS6detail34convert_binary_result_type_wrapperINS9_3SumENS9_22TransformInputIteratorIb7NonZeroIaEPalEElEEEE10hipError_tPvRmT1_T2_T3_mT4_P12ihipStream_tbEUlT_E1_NS1_11comp_targetILNS1_3genE10ELNS1_11target_archE1200ELNS1_3gpuE4ELNS1_3repE0EEENS1_30default_config_static_selectorELNS0_4arch9wavefront6targetE1EEEvSM_,"axG",@progbits,_ZN7rocprim17ROCPRIM_400000_NS6detail17trampoline_kernelINS0_14default_configENS1_22reduce_config_selectorIlEEZNS1_11reduce_implILb1ES3_PlS7_lN6hipcub16HIPCUB_304000_NS6detail34convert_binary_result_type_wrapperINS9_3SumENS9_22TransformInputIteratorIb7NonZeroIaEPalEElEEEE10hipError_tPvRmT1_T2_T3_mT4_P12ihipStream_tbEUlT_E1_NS1_11comp_targetILNS1_3genE10ELNS1_11target_archE1200ELNS1_3gpuE4ELNS1_3repE0EEENS1_30default_config_static_selectorELNS0_4arch9wavefront6targetE1EEEvSM_,comdat
.Lfunc_end15:
	.size	_ZN7rocprim17ROCPRIM_400000_NS6detail17trampoline_kernelINS0_14default_configENS1_22reduce_config_selectorIlEEZNS1_11reduce_implILb1ES3_PlS7_lN6hipcub16HIPCUB_304000_NS6detail34convert_binary_result_type_wrapperINS9_3SumENS9_22TransformInputIteratorIb7NonZeroIaEPalEElEEEE10hipError_tPvRmT1_T2_T3_mT4_P12ihipStream_tbEUlT_E1_NS1_11comp_targetILNS1_3genE10ELNS1_11target_archE1200ELNS1_3gpuE4ELNS1_3repE0EEENS1_30default_config_static_selectorELNS0_4arch9wavefront6targetE1EEEvSM_, .Lfunc_end15-_ZN7rocprim17ROCPRIM_400000_NS6detail17trampoline_kernelINS0_14default_configENS1_22reduce_config_selectorIlEEZNS1_11reduce_implILb1ES3_PlS7_lN6hipcub16HIPCUB_304000_NS6detail34convert_binary_result_type_wrapperINS9_3SumENS9_22TransformInputIteratorIb7NonZeroIaEPalEElEEEE10hipError_tPvRmT1_T2_T3_mT4_P12ihipStream_tbEUlT_E1_NS1_11comp_targetILNS1_3genE10ELNS1_11target_archE1200ELNS1_3gpuE4ELNS1_3repE0EEENS1_30default_config_static_selectorELNS0_4arch9wavefront6targetE1EEEvSM_
                                        ; -- End function
	.set _ZN7rocprim17ROCPRIM_400000_NS6detail17trampoline_kernelINS0_14default_configENS1_22reduce_config_selectorIlEEZNS1_11reduce_implILb1ES3_PlS7_lN6hipcub16HIPCUB_304000_NS6detail34convert_binary_result_type_wrapperINS9_3SumENS9_22TransformInputIteratorIb7NonZeroIaEPalEElEEEE10hipError_tPvRmT1_T2_T3_mT4_P12ihipStream_tbEUlT_E1_NS1_11comp_targetILNS1_3genE10ELNS1_11target_archE1200ELNS1_3gpuE4ELNS1_3repE0EEENS1_30default_config_static_selectorELNS0_4arch9wavefront6targetE1EEEvSM_.num_vgpr, 0
	.set _ZN7rocprim17ROCPRIM_400000_NS6detail17trampoline_kernelINS0_14default_configENS1_22reduce_config_selectorIlEEZNS1_11reduce_implILb1ES3_PlS7_lN6hipcub16HIPCUB_304000_NS6detail34convert_binary_result_type_wrapperINS9_3SumENS9_22TransformInputIteratorIb7NonZeroIaEPalEElEEEE10hipError_tPvRmT1_T2_T3_mT4_P12ihipStream_tbEUlT_E1_NS1_11comp_targetILNS1_3genE10ELNS1_11target_archE1200ELNS1_3gpuE4ELNS1_3repE0EEENS1_30default_config_static_selectorELNS0_4arch9wavefront6targetE1EEEvSM_.num_agpr, 0
	.set _ZN7rocprim17ROCPRIM_400000_NS6detail17trampoline_kernelINS0_14default_configENS1_22reduce_config_selectorIlEEZNS1_11reduce_implILb1ES3_PlS7_lN6hipcub16HIPCUB_304000_NS6detail34convert_binary_result_type_wrapperINS9_3SumENS9_22TransformInputIteratorIb7NonZeroIaEPalEElEEEE10hipError_tPvRmT1_T2_T3_mT4_P12ihipStream_tbEUlT_E1_NS1_11comp_targetILNS1_3genE10ELNS1_11target_archE1200ELNS1_3gpuE4ELNS1_3repE0EEENS1_30default_config_static_selectorELNS0_4arch9wavefront6targetE1EEEvSM_.numbered_sgpr, 0
	.set _ZN7rocprim17ROCPRIM_400000_NS6detail17trampoline_kernelINS0_14default_configENS1_22reduce_config_selectorIlEEZNS1_11reduce_implILb1ES3_PlS7_lN6hipcub16HIPCUB_304000_NS6detail34convert_binary_result_type_wrapperINS9_3SumENS9_22TransformInputIteratorIb7NonZeroIaEPalEElEEEE10hipError_tPvRmT1_T2_T3_mT4_P12ihipStream_tbEUlT_E1_NS1_11comp_targetILNS1_3genE10ELNS1_11target_archE1200ELNS1_3gpuE4ELNS1_3repE0EEENS1_30default_config_static_selectorELNS0_4arch9wavefront6targetE1EEEvSM_.num_named_barrier, 0
	.set _ZN7rocprim17ROCPRIM_400000_NS6detail17trampoline_kernelINS0_14default_configENS1_22reduce_config_selectorIlEEZNS1_11reduce_implILb1ES3_PlS7_lN6hipcub16HIPCUB_304000_NS6detail34convert_binary_result_type_wrapperINS9_3SumENS9_22TransformInputIteratorIb7NonZeroIaEPalEElEEEE10hipError_tPvRmT1_T2_T3_mT4_P12ihipStream_tbEUlT_E1_NS1_11comp_targetILNS1_3genE10ELNS1_11target_archE1200ELNS1_3gpuE4ELNS1_3repE0EEENS1_30default_config_static_selectorELNS0_4arch9wavefront6targetE1EEEvSM_.private_seg_size, 0
	.set _ZN7rocprim17ROCPRIM_400000_NS6detail17trampoline_kernelINS0_14default_configENS1_22reduce_config_selectorIlEEZNS1_11reduce_implILb1ES3_PlS7_lN6hipcub16HIPCUB_304000_NS6detail34convert_binary_result_type_wrapperINS9_3SumENS9_22TransformInputIteratorIb7NonZeroIaEPalEElEEEE10hipError_tPvRmT1_T2_T3_mT4_P12ihipStream_tbEUlT_E1_NS1_11comp_targetILNS1_3genE10ELNS1_11target_archE1200ELNS1_3gpuE4ELNS1_3repE0EEENS1_30default_config_static_selectorELNS0_4arch9wavefront6targetE1EEEvSM_.uses_vcc, 0
	.set _ZN7rocprim17ROCPRIM_400000_NS6detail17trampoline_kernelINS0_14default_configENS1_22reduce_config_selectorIlEEZNS1_11reduce_implILb1ES3_PlS7_lN6hipcub16HIPCUB_304000_NS6detail34convert_binary_result_type_wrapperINS9_3SumENS9_22TransformInputIteratorIb7NonZeroIaEPalEElEEEE10hipError_tPvRmT1_T2_T3_mT4_P12ihipStream_tbEUlT_E1_NS1_11comp_targetILNS1_3genE10ELNS1_11target_archE1200ELNS1_3gpuE4ELNS1_3repE0EEENS1_30default_config_static_selectorELNS0_4arch9wavefront6targetE1EEEvSM_.uses_flat_scratch, 0
	.set _ZN7rocprim17ROCPRIM_400000_NS6detail17trampoline_kernelINS0_14default_configENS1_22reduce_config_selectorIlEEZNS1_11reduce_implILb1ES3_PlS7_lN6hipcub16HIPCUB_304000_NS6detail34convert_binary_result_type_wrapperINS9_3SumENS9_22TransformInputIteratorIb7NonZeroIaEPalEElEEEE10hipError_tPvRmT1_T2_T3_mT4_P12ihipStream_tbEUlT_E1_NS1_11comp_targetILNS1_3genE10ELNS1_11target_archE1200ELNS1_3gpuE4ELNS1_3repE0EEENS1_30default_config_static_selectorELNS0_4arch9wavefront6targetE1EEEvSM_.has_dyn_sized_stack, 0
	.set _ZN7rocprim17ROCPRIM_400000_NS6detail17trampoline_kernelINS0_14default_configENS1_22reduce_config_selectorIlEEZNS1_11reduce_implILb1ES3_PlS7_lN6hipcub16HIPCUB_304000_NS6detail34convert_binary_result_type_wrapperINS9_3SumENS9_22TransformInputIteratorIb7NonZeroIaEPalEElEEEE10hipError_tPvRmT1_T2_T3_mT4_P12ihipStream_tbEUlT_E1_NS1_11comp_targetILNS1_3genE10ELNS1_11target_archE1200ELNS1_3gpuE4ELNS1_3repE0EEENS1_30default_config_static_selectorELNS0_4arch9wavefront6targetE1EEEvSM_.has_recursion, 0
	.set _ZN7rocprim17ROCPRIM_400000_NS6detail17trampoline_kernelINS0_14default_configENS1_22reduce_config_selectorIlEEZNS1_11reduce_implILb1ES3_PlS7_lN6hipcub16HIPCUB_304000_NS6detail34convert_binary_result_type_wrapperINS9_3SumENS9_22TransformInputIteratorIb7NonZeroIaEPalEElEEEE10hipError_tPvRmT1_T2_T3_mT4_P12ihipStream_tbEUlT_E1_NS1_11comp_targetILNS1_3genE10ELNS1_11target_archE1200ELNS1_3gpuE4ELNS1_3repE0EEENS1_30default_config_static_selectorELNS0_4arch9wavefront6targetE1EEEvSM_.has_indirect_call, 0
	.section	.AMDGPU.csdata,"",@progbits
; Kernel info:
; codeLenInByte = 0
; TotalNumSgprs: 6
; NumVgprs: 0
; NumAgprs: 0
; TotalNumVgprs: 0
; ScratchSize: 0
; MemoryBound: 0
; FloatMode: 240
; IeeeMode: 1
; LDSByteSize: 0 bytes/workgroup (compile time only)
; SGPRBlocks: 0
; VGPRBlocks: 0
; NumSGPRsForWavesPerEU: 6
; NumVGPRsForWavesPerEU: 1
; AccumOffset: 4
; Occupancy: 8
; WaveLimiterHint : 0
; COMPUTE_PGM_RSRC2:SCRATCH_EN: 0
; COMPUTE_PGM_RSRC2:USER_SGPR: 2
; COMPUTE_PGM_RSRC2:TRAP_HANDLER: 0
; COMPUTE_PGM_RSRC2:TGID_X_EN: 1
; COMPUTE_PGM_RSRC2:TGID_Y_EN: 0
; COMPUTE_PGM_RSRC2:TGID_Z_EN: 0
; COMPUTE_PGM_RSRC2:TIDIG_COMP_CNT: 0
; COMPUTE_PGM_RSRC3_GFX90A:ACCUM_OFFSET: 0
; COMPUTE_PGM_RSRC3_GFX90A:TG_SPLIT: 0
	.section	.text._ZN7rocprim17ROCPRIM_400000_NS6detail17trampoline_kernelINS0_14default_configENS1_22reduce_config_selectorIlEEZNS1_11reduce_implILb1ES3_PlS7_lN6hipcub16HIPCUB_304000_NS6detail34convert_binary_result_type_wrapperINS9_3SumENS9_22TransformInputIteratorIb7NonZeroIaEPalEElEEEE10hipError_tPvRmT1_T2_T3_mT4_P12ihipStream_tbEUlT_E1_NS1_11comp_targetILNS1_3genE9ELNS1_11target_archE1100ELNS1_3gpuE3ELNS1_3repE0EEENS1_30default_config_static_selectorELNS0_4arch9wavefront6targetE1EEEvSM_,"axG",@progbits,_ZN7rocprim17ROCPRIM_400000_NS6detail17trampoline_kernelINS0_14default_configENS1_22reduce_config_selectorIlEEZNS1_11reduce_implILb1ES3_PlS7_lN6hipcub16HIPCUB_304000_NS6detail34convert_binary_result_type_wrapperINS9_3SumENS9_22TransformInputIteratorIb7NonZeroIaEPalEElEEEE10hipError_tPvRmT1_T2_T3_mT4_P12ihipStream_tbEUlT_E1_NS1_11comp_targetILNS1_3genE9ELNS1_11target_archE1100ELNS1_3gpuE3ELNS1_3repE0EEENS1_30default_config_static_selectorELNS0_4arch9wavefront6targetE1EEEvSM_,comdat
	.protected	_ZN7rocprim17ROCPRIM_400000_NS6detail17trampoline_kernelINS0_14default_configENS1_22reduce_config_selectorIlEEZNS1_11reduce_implILb1ES3_PlS7_lN6hipcub16HIPCUB_304000_NS6detail34convert_binary_result_type_wrapperINS9_3SumENS9_22TransformInputIteratorIb7NonZeroIaEPalEElEEEE10hipError_tPvRmT1_T2_T3_mT4_P12ihipStream_tbEUlT_E1_NS1_11comp_targetILNS1_3genE9ELNS1_11target_archE1100ELNS1_3gpuE3ELNS1_3repE0EEENS1_30default_config_static_selectorELNS0_4arch9wavefront6targetE1EEEvSM_ ; -- Begin function _ZN7rocprim17ROCPRIM_400000_NS6detail17trampoline_kernelINS0_14default_configENS1_22reduce_config_selectorIlEEZNS1_11reduce_implILb1ES3_PlS7_lN6hipcub16HIPCUB_304000_NS6detail34convert_binary_result_type_wrapperINS9_3SumENS9_22TransformInputIteratorIb7NonZeroIaEPalEElEEEE10hipError_tPvRmT1_T2_T3_mT4_P12ihipStream_tbEUlT_E1_NS1_11comp_targetILNS1_3genE9ELNS1_11target_archE1100ELNS1_3gpuE3ELNS1_3repE0EEENS1_30default_config_static_selectorELNS0_4arch9wavefront6targetE1EEEvSM_
	.globl	_ZN7rocprim17ROCPRIM_400000_NS6detail17trampoline_kernelINS0_14default_configENS1_22reduce_config_selectorIlEEZNS1_11reduce_implILb1ES3_PlS7_lN6hipcub16HIPCUB_304000_NS6detail34convert_binary_result_type_wrapperINS9_3SumENS9_22TransformInputIteratorIb7NonZeroIaEPalEElEEEE10hipError_tPvRmT1_T2_T3_mT4_P12ihipStream_tbEUlT_E1_NS1_11comp_targetILNS1_3genE9ELNS1_11target_archE1100ELNS1_3gpuE3ELNS1_3repE0EEENS1_30default_config_static_selectorELNS0_4arch9wavefront6targetE1EEEvSM_
	.p2align	8
	.type	_ZN7rocprim17ROCPRIM_400000_NS6detail17trampoline_kernelINS0_14default_configENS1_22reduce_config_selectorIlEEZNS1_11reduce_implILb1ES3_PlS7_lN6hipcub16HIPCUB_304000_NS6detail34convert_binary_result_type_wrapperINS9_3SumENS9_22TransformInputIteratorIb7NonZeroIaEPalEElEEEE10hipError_tPvRmT1_T2_T3_mT4_P12ihipStream_tbEUlT_E1_NS1_11comp_targetILNS1_3genE9ELNS1_11target_archE1100ELNS1_3gpuE3ELNS1_3repE0EEENS1_30default_config_static_selectorELNS0_4arch9wavefront6targetE1EEEvSM_,@function
_ZN7rocprim17ROCPRIM_400000_NS6detail17trampoline_kernelINS0_14default_configENS1_22reduce_config_selectorIlEEZNS1_11reduce_implILb1ES3_PlS7_lN6hipcub16HIPCUB_304000_NS6detail34convert_binary_result_type_wrapperINS9_3SumENS9_22TransformInputIteratorIb7NonZeroIaEPalEElEEEE10hipError_tPvRmT1_T2_T3_mT4_P12ihipStream_tbEUlT_E1_NS1_11comp_targetILNS1_3genE9ELNS1_11target_archE1100ELNS1_3gpuE3ELNS1_3repE0EEENS1_30default_config_static_selectorELNS0_4arch9wavefront6targetE1EEEvSM_: ; @_ZN7rocprim17ROCPRIM_400000_NS6detail17trampoline_kernelINS0_14default_configENS1_22reduce_config_selectorIlEEZNS1_11reduce_implILb1ES3_PlS7_lN6hipcub16HIPCUB_304000_NS6detail34convert_binary_result_type_wrapperINS9_3SumENS9_22TransformInputIteratorIb7NonZeroIaEPalEElEEEE10hipError_tPvRmT1_T2_T3_mT4_P12ihipStream_tbEUlT_E1_NS1_11comp_targetILNS1_3genE9ELNS1_11target_archE1100ELNS1_3gpuE3ELNS1_3repE0EEENS1_30default_config_static_selectorELNS0_4arch9wavefront6targetE1EEEvSM_
; %bb.0:
	.section	.rodata,"a",@progbits
	.p2align	6, 0x0
	.amdhsa_kernel _ZN7rocprim17ROCPRIM_400000_NS6detail17trampoline_kernelINS0_14default_configENS1_22reduce_config_selectorIlEEZNS1_11reduce_implILb1ES3_PlS7_lN6hipcub16HIPCUB_304000_NS6detail34convert_binary_result_type_wrapperINS9_3SumENS9_22TransformInputIteratorIb7NonZeroIaEPalEElEEEE10hipError_tPvRmT1_T2_T3_mT4_P12ihipStream_tbEUlT_E1_NS1_11comp_targetILNS1_3genE9ELNS1_11target_archE1100ELNS1_3gpuE3ELNS1_3repE0EEENS1_30default_config_static_selectorELNS0_4arch9wavefront6targetE1EEEvSM_
		.amdhsa_group_segment_fixed_size 0
		.amdhsa_private_segment_fixed_size 0
		.amdhsa_kernarg_size 48
		.amdhsa_user_sgpr_count 2
		.amdhsa_user_sgpr_dispatch_ptr 0
		.amdhsa_user_sgpr_queue_ptr 0
		.amdhsa_user_sgpr_kernarg_segment_ptr 1
		.amdhsa_user_sgpr_dispatch_id 0
		.amdhsa_user_sgpr_kernarg_preload_length 0
		.amdhsa_user_sgpr_kernarg_preload_offset 0
		.amdhsa_user_sgpr_private_segment_size 0
		.amdhsa_uses_dynamic_stack 0
		.amdhsa_enable_private_segment 0
		.amdhsa_system_sgpr_workgroup_id_x 1
		.amdhsa_system_sgpr_workgroup_id_y 0
		.amdhsa_system_sgpr_workgroup_id_z 0
		.amdhsa_system_sgpr_workgroup_info 0
		.amdhsa_system_vgpr_workitem_id 0
		.amdhsa_next_free_vgpr 1
		.amdhsa_next_free_sgpr 0
		.amdhsa_accum_offset 4
		.amdhsa_reserve_vcc 0
		.amdhsa_float_round_mode_32 0
		.amdhsa_float_round_mode_16_64 0
		.amdhsa_float_denorm_mode_32 3
		.amdhsa_float_denorm_mode_16_64 3
		.amdhsa_dx10_clamp 1
		.amdhsa_ieee_mode 1
		.amdhsa_fp16_overflow 0
		.amdhsa_tg_split 0
		.amdhsa_exception_fp_ieee_invalid_op 0
		.amdhsa_exception_fp_denorm_src 0
		.amdhsa_exception_fp_ieee_div_zero 0
		.amdhsa_exception_fp_ieee_overflow 0
		.amdhsa_exception_fp_ieee_underflow 0
		.amdhsa_exception_fp_ieee_inexact 0
		.amdhsa_exception_int_div_zero 0
	.end_amdhsa_kernel
	.section	.text._ZN7rocprim17ROCPRIM_400000_NS6detail17trampoline_kernelINS0_14default_configENS1_22reduce_config_selectorIlEEZNS1_11reduce_implILb1ES3_PlS7_lN6hipcub16HIPCUB_304000_NS6detail34convert_binary_result_type_wrapperINS9_3SumENS9_22TransformInputIteratorIb7NonZeroIaEPalEElEEEE10hipError_tPvRmT1_T2_T3_mT4_P12ihipStream_tbEUlT_E1_NS1_11comp_targetILNS1_3genE9ELNS1_11target_archE1100ELNS1_3gpuE3ELNS1_3repE0EEENS1_30default_config_static_selectorELNS0_4arch9wavefront6targetE1EEEvSM_,"axG",@progbits,_ZN7rocprim17ROCPRIM_400000_NS6detail17trampoline_kernelINS0_14default_configENS1_22reduce_config_selectorIlEEZNS1_11reduce_implILb1ES3_PlS7_lN6hipcub16HIPCUB_304000_NS6detail34convert_binary_result_type_wrapperINS9_3SumENS9_22TransformInputIteratorIb7NonZeroIaEPalEElEEEE10hipError_tPvRmT1_T2_T3_mT4_P12ihipStream_tbEUlT_E1_NS1_11comp_targetILNS1_3genE9ELNS1_11target_archE1100ELNS1_3gpuE3ELNS1_3repE0EEENS1_30default_config_static_selectorELNS0_4arch9wavefront6targetE1EEEvSM_,comdat
.Lfunc_end16:
	.size	_ZN7rocprim17ROCPRIM_400000_NS6detail17trampoline_kernelINS0_14default_configENS1_22reduce_config_selectorIlEEZNS1_11reduce_implILb1ES3_PlS7_lN6hipcub16HIPCUB_304000_NS6detail34convert_binary_result_type_wrapperINS9_3SumENS9_22TransformInputIteratorIb7NonZeroIaEPalEElEEEE10hipError_tPvRmT1_T2_T3_mT4_P12ihipStream_tbEUlT_E1_NS1_11comp_targetILNS1_3genE9ELNS1_11target_archE1100ELNS1_3gpuE3ELNS1_3repE0EEENS1_30default_config_static_selectorELNS0_4arch9wavefront6targetE1EEEvSM_, .Lfunc_end16-_ZN7rocprim17ROCPRIM_400000_NS6detail17trampoline_kernelINS0_14default_configENS1_22reduce_config_selectorIlEEZNS1_11reduce_implILb1ES3_PlS7_lN6hipcub16HIPCUB_304000_NS6detail34convert_binary_result_type_wrapperINS9_3SumENS9_22TransformInputIteratorIb7NonZeroIaEPalEElEEEE10hipError_tPvRmT1_T2_T3_mT4_P12ihipStream_tbEUlT_E1_NS1_11comp_targetILNS1_3genE9ELNS1_11target_archE1100ELNS1_3gpuE3ELNS1_3repE0EEENS1_30default_config_static_selectorELNS0_4arch9wavefront6targetE1EEEvSM_
                                        ; -- End function
	.set _ZN7rocprim17ROCPRIM_400000_NS6detail17trampoline_kernelINS0_14default_configENS1_22reduce_config_selectorIlEEZNS1_11reduce_implILb1ES3_PlS7_lN6hipcub16HIPCUB_304000_NS6detail34convert_binary_result_type_wrapperINS9_3SumENS9_22TransformInputIteratorIb7NonZeroIaEPalEElEEEE10hipError_tPvRmT1_T2_T3_mT4_P12ihipStream_tbEUlT_E1_NS1_11comp_targetILNS1_3genE9ELNS1_11target_archE1100ELNS1_3gpuE3ELNS1_3repE0EEENS1_30default_config_static_selectorELNS0_4arch9wavefront6targetE1EEEvSM_.num_vgpr, 0
	.set _ZN7rocprim17ROCPRIM_400000_NS6detail17trampoline_kernelINS0_14default_configENS1_22reduce_config_selectorIlEEZNS1_11reduce_implILb1ES3_PlS7_lN6hipcub16HIPCUB_304000_NS6detail34convert_binary_result_type_wrapperINS9_3SumENS9_22TransformInputIteratorIb7NonZeroIaEPalEElEEEE10hipError_tPvRmT1_T2_T3_mT4_P12ihipStream_tbEUlT_E1_NS1_11comp_targetILNS1_3genE9ELNS1_11target_archE1100ELNS1_3gpuE3ELNS1_3repE0EEENS1_30default_config_static_selectorELNS0_4arch9wavefront6targetE1EEEvSM_.num_agpr, 0
	.set _ZN7rocprim17ROCPRIM_400000_NS6detail17trampoline_kernelINS0_14default_configENS1_22reduce_config_selectorIlEEZNS1_11reduce_implILb1ES3_PlS7_lN6hipcub16HIPCUB_304000_NS6detail34convert_binary_result_type_wrapperINS9_3SumENS9_22TransformInputIteratorIb7NonZeroIaEPalEElEEEE10hipError_tPvRmT1_T2_T3_mT4_P12ihipStream_tbEUlT_E1_NS1_11comp_targetILNS1_3genE9ELNS1_11target_archE1100ELNS1_3gpuE3ELNS1_3repE0EEENS1_30default_config_static_selectorELNS0_4arch9wavefront6targetE1EEEvSM_.numbered_sgpr, 0
	.set _ZN7rocprim17ROCPRIM_400000_NS6detail17trampoline_kernelINS0_14default_configENS1_22reduce_config_selectorIlEEZNS1_11reduce_implILb1ES3_PlS7_lN6hipcub16HIPCUB_304000_NS6detail34convert_binary_result_type_wrapperINS9_3SumENS9_22TransformInputIteratorIb7NonZeroIaEPalEElEEEE10hipError_tPvRmT1_T2_T3_mT4_P12ihipStream_tbEUlT_E1_NS1_11comp_targetILNS1_3genE9ELNS1_11target_archE1100ELNS1_3gpuE3ELNS1_3repE0EEENS1_30default_config_static_selectorELNS0_4arch9wavefront6targetE1EEEvSM_.num_named_barrier, 0
	.set _ZN7rocprim17ROCPRIM_400000_NS6detail17trampoline_kernelINS0_14default_configENS1_22reduce_config_selectorIlEEZNS1_11reduce_implILb1ES3_PlS7_lN6hipcub16HIPCUB_304000_NS6detail34convert_binary_result_type_wrapperINS9_3SumENS9_22TransformInputIteratorIb7NonZeroIaEPalEElEEEE10hipError_tPvRmT1_T2_T3_mT4_P12ihipStream_tbEUlT_E1_NS1_11comp_targetILNS1_3genE9ELNS1_11target_archE1100ELNS1_3gpuE3ELNS1_3repE0EEENS1_30default_config_static_selectorELNS0_4arch9wavefront6targetE1EEEvSM_.private_seg_size, 0
	.set _ZN7rocprim17ROCPRIM_400000_NS6detail17trampoline_kernelINS0_14default_configENS1_22reduce_config_selectorIlEEZNS1_11reduce_implILb1ES3_PlS7_lN6hipcub16HIPCUB_304000_NS6detail34convert_binary_result_type_wrapperINS9_3SumENS9_22TransformInputIteratorIb7NonZeroIaEPalEElEEEE10hipError_tPvRmT1_T2_T3_mT4_P12ihipStream_tbEUlT_E1_NS1_11comp_targetILNS1_3genE9ELNS1_11target_archE1100ELNS1_3gpuE3ELNS1_3repE0EEENS1_30default_config_static_selectorELNS0_4arch9wavefront6targetE1EEEvSM_.uses_vcc, 0
	.set _ZN7rocprim17ROCPRIM_400000_NS6detail17trampoline_kernelINS0_14default_configENS1_22reduce_config_selectorIlEEZNS1_11reduce_implILb1ES3_PlS7_lN6hipcub16HIPCUB_304000_NS6detail34convert_binary_result_type_wrapperINS9_3SumENS9_22TransformInputIteratorIb7NonZeroIaEPalEElEEEE10hipError_tPvRmT1_T2_T3_mT4_P12ihipStream_tbEUlT_E1_NS1_11comp_targetILNS1_3genE9ELNS1_11target_archE1100ELNS1_3gpuE3ELNS1_3repE0EEENS1_30default_config_static_selectorELNS0_4arch9wavefront6targetE1EEEvSM_.uses_flat_scratch, 0
	.set _ZN7rocprim17ROCPRIM_400000_NS6detail17trampoline_kernelINS0_14default_configENS1_22reduce_config_selectorIlEEZNS1_11reduce_implILb1ES3_PlS7_lN6hipcub16HIPCUB_304000_NS6detail34convert_binary_result_type_wrapperINS9_3SumENS9_22TransformInputIteratorIb7NonZeroIaEPalEElEEEE10hipError_tPvRmT1_T2_T3_mT4_P12ihipStream_tbEUlT_E1_NS1_11comp_targetILNS1_3genE9ELNS1_11target_archE1100ELNS1_3gpuE3ELNS1_3repE0EEENS1_30default_config_static_selectorELNS0_4arch9wavefront6targetE1EEEvSM_.has_dyn_sized_stack, 0
	.set _ZN7rocprim17ROCPRIM_400000_NS6detail17trampoline_kernelINS0_14default_configENS1_22reduce_config_selectorIlEEZNS1_11reduce_implILb1ES3_PlS7_lN6hipcub16HIPCUB_304000_NS6detail34convert_binary_result_type_wrapperINS9_3SumENS9_22TransformInputIteratorIb7NonZeroIaEPalEElEEEE10hipError_tPvRmT1_T2_T3_mT4_P12ihipStream_tbEUlT_E1_NS1_11comp_targetILNS1_3genE9ELNS1_11target_archE1100ELNS1_3gpuE3ELNS1_3repE0EEENS1_30default_config_static_selectorELNS0_4arch9wavefront6targetE1EEEvSM_.has_recursion, 0
	.set _ZN7rocprim17ROCPRIM_400000_NS6detail17trampoline_kernelINS0_14default_configENS1_22reduce_config_selectorIlEEZNS1_11reduce_implILb1ES3_PlS7_lN6hipcub16HIPCUB_304000_NS6detail34convert_binary_result_type_wrapperINS9_3SumENS9_22TransformInputIteratorIb7NonZeroIaEPalEElEEEE10hipError_tPvRmT1_T2_T3_mT4_P12ihipStream_tbEUlT_E1_NS1_11comp_targetILNS1_3genE9ELNS1_11target_archE1100ELNS1_3gpuE3ELNS1_3repE0EEENS1_30default_config_static_selectorELNS0_4arch9wavefront6targetE1EEEvSM_.has_indirect_call, 0
	.section	.AMDGPU.csdata,"",@progbits
; Kernel info:
; codeLenInByte = 0
; TotalNumSgprs: 6
; NumVgprs: 0
; NumAgprs: 0
; TotalNumVgprs: 0
; ScratchSize: 0
; MemoryBound: 0
; FloatMode: 240
; IeeeMode: 1
; LDSByteSize: 0 bytes/workgroup (compile time only)
; SGPRBlocks: 0
; VGPRBlocks: 0
; NumSGPRsForWavesPerEU: 6
; NumVGPRsForWavesPerEU: 1
; AccumOffset: 4
; Occupancy: 8
; WaveLimiterHint : 0
; COMPUTE_PGM_RSRC2:SCRATCH_EN: 0
; COMPUTE_PGM_RSRC2:USER_SGPR: 2
; COMPUTE_PGM_RSRC2:TRAP_HANDLER: 0
; COMPUTE_PGM_RSRC2:TGID_X_EN: 1
; COMPUTE_PGM_RSRC2:TGID_Y_EN: 0
; COMPUTE_PGM_RSRC2:TGID_Z_EN: 0
; COMPUTE_PGM_RSRC2:TIDIG_COMP_CNT: 0
; COMPUTE_PGM_RSRC3_GFX90A:ACCUM_OFFSET: 0
; COMPUTE_PGM_RSRC3_GFX90A:TG_SPLIT: 0
	.section	.text._ZN7rocprim17ROCPRIM_400000_NS6detail17trampoline_kernelINS0_14default_configENS1_22reduce_config_selectorIlEEZNS1_11reduce_implILb1ES3_PlS7_lN6hipcub16HIPCUB_304000_NS6detail34convert_binary_result_type_wrapperINS9_3SumENS9_22TransformInputIteratorIb7NonZeroIaEPalEElEEEE10hipError_tPvRmT1_T2_T3_mT4_P12ihipStream_tbEUlT_E1_NS1_11comp_targetILNS1_3genE8ELNS1_11target_archE1030ELNS1_3gpuE2ELNS1_3repE0EEENS1_30default_config_static_selectorELNS0_4arch9wavefront6targetE1EEEvSM_,"axG",@progbits,_ZN7rocprim17ROCPRIM_400000_NS6detail17trampoline_kernelINS0_14default_configENS1_22reduce_config_selectorIlEEZNS1_11reduce_implILb1ES3_PlS7_lN6hipcub16HIPCUB_304000_NS6detail34convert_binary_result_type_wrapperINS9_3SumENS9_22TransformInputIteratorIb7NonZeroIaEPalEElEEEE10hipError_tPvRmT1_T2_T3_mT4_P12ihipStream_tbEUlT_E1_NS1_11comp_targetILNS1_3genE8ELNS1_11target_archE1030ELNS1_3gpuE2ELNS1_3repE0EEENS1_30default_config_static_selectorELNS0_4arch9wavefront6targetE1EEEvSM_,comdat
	.protected	_ZN7rocprim17ROCPRIM_400000_NS6detail17trampoline_kernelINS0_14default_configENS1_22reduce_config_selectorIlEEZNS1_11reduce_implILb1ES3_PlS7_lN6hipcub16HIPCUB_304000_NS6detail34convert_binary_result_type_wrapperINS9_3SumENS9_22TransformInputIteratorIb7NonZeroIaEPalEElEEEE10hipError_tPvRmT1_T2_T3_mT4_P12ihipStream_tbEUlT_E1_NS1_11comp_targetILNS1_3genE8ELNS1_11target_archE1030ELNS1_3gpuE2ELNS1_3repE0EEENS1_30default_config_static_selectorELNS0_4arch9wavefront6targetE1EEEvSM_ ; -- Begin function _ZN7rocprim17ROCPRIM_400000_NS6detail17trampoline_kernelINS0_14default_configENS1_22reduce_config_selectorIlEEZNS1_11reduce_implILb1ES3_PlS7_lN6hipcub16HIPCUB_304000_NS6detail34convert_binary_result_type_wrapperINS9_3SumENS9_22TransformInputIteratorIb7NonZeroIaEPalEElEEEE10hipError_tPvRmT1_T2_T3_mT4_P12ihipStream_tbEUlT_E1_NS1_11comp_targetILNS1_3genE8ELNS1_11target_archE1030ELNS1_3gpuE2ELNS1_3repE0EEENS1_30default_config_static_selectorELNS0_4arch9wavefront6targetE1EEEvSM_
	.globl	_ZN7rocprim17ROCPRIM_400000_NS6detail17trampoline_kernelINS0_14default_configENS1_22reduce_config_selectorIlEEZNS1_11reduce_implILb1ES3_PlS7_lN6hipcub16HIPCUB_304000_NS6detail34convert_binary_result_type_wrapperINS9_3SumENS9_22TransformInputIteratorIb7NonZeroIaEPalEElEEEE10hipError_tPvRmT1_T2_T3_mT4_P12ihipStream_tbEUlT_E1_NS1_11comp_targetILNS1_3genE8ELNS1_11target_archE1030ELNS1_3gpuE2ELNS1_3repE0EEENS1_30default_config_static_selectorELNS0_4arch9wavefront6targetE1EEEvSM_
	.p2align	8
	.type	_ZN7rocprim17ROCPRIM_400000_NS6detail17trampoline_kernelINS0_14default_configENS1_22reduce_config_selectorIlEEZNS1_11reduce_implILb1ES3_PlS7_lN6hipcub16HIPCUB_304000_NS6detail34convert_binary_result_type_wrapperINS9_3SumENS9_22TransformInputIteratorIb7NonZeroIaEPalEElEEEE10hipError_tPvRmT1_T2_T3_mT4_P12ihipStream_tbEUlT_E1_NS1_11comp_targetILNS1_3genE8ELNS1_11target_archE1030ELNS1_3gpuE2ELNS1_3repE0EEENS1_30default_config_static_selectorELNS0_4arch9wavefront6targetE1EEEvSM_,@function
_ZN7rocprim17ROCPRIM_400000_NS6detail17trampoline_kernelINS0_14default_configENS1_22reduce_config_selectorIlEEZNS1_11reduce_implILb1ES3_PlS7_lN6hipcub16HIPCUB_304000_NS6detail34convert_binary_result_type_wrapperINS9_3SumENS9_22TransformInputIteratorIb7NonZeroIaEPalEElEEEE10hipError_tPvRmT1_T2_T3_mT4_P12ihipStream_tbEUlT_E1_NS1_11comp_targetILNS1_3genE8ELNS1_11target_archE1030ELNS1_3gpuE2ELNS1_3repE0EEENS1_30default_config_static_selectorELNS0_4arch9wavefront6targetE1EEEvSM_: ; @_ZN7rocprim17ROCPRIM_400000_NS6detail17trampoline_kernelINS0_14default_configENS1_22reduce_config_selectorIlEEZNS1_11reduce_implILb1ES3_PlS7_lN6hipcub16HIPCUB_304000_NS6detail34convert_binary_result_type_wrapperINS9_3SumENS9_22TransformInputIteratorIb7NonZeroIaEPalEElEEEE10hipError_tPvRmT1_T2_T3_mT4_P12ihipStream_tbEUlT_E1_NS1_11comp_targetILNS1_3genE8ELNS1_11target_archE1030ELNS1_3gpuE2ELNS1_3repE0EEENS1_30default_config_static_selectorELNS0_4arch9wavefront6targetE1EEEvSM_
; %bb.0:
	.section	.rodata,"a",@progbits
	.p2align	6, 0x0
	.amdhsa_kernel _ZN7rocprim17ROCPRIM_400000_NS6detail17trampoline_kernelINS0_14default_configENS1_22reduce_config_selectorIlEEZNS1_11reduce_implILb1ES3_PlS7_lN6hipcub16HIPCUB_304000_NS6detail34convert_binary_result_type_wrapperINS9_3SumENS9_22TransformInputIteratorIb7NonZeroIaEPalEElEEEE10hipError_tPvRmT1_T2_T3_mT4_P12ihipStream_tbEUlT_E1_NS1_11comp_targetILNS1_3genE8ELNS1_11target_archE1030ELNS1_3gpuE2ELNS1_3repE0EEENS1_30default_config_static_selectorELNS0_4arch9wavefront6targetE1EEEvSM_
		.amdhsa_group_segment_fixed_size 0
		.amdhsa_private_segment_fixed_size 0
		.amdhsa_kernarg_size 48
		.amdhsa_user_sgpr_count 2
		.amdhsa_user_sgpr_dispatch_ptr 0
		.amdhsa_user_sgpr_queue_ptr 0
		.amdhsa_user_sgpr_kernarg_segment_ptr 1
		.amdhsa_user_sgpr_dispatch_id 0
		.amdhsa_user_sgpr_kernarg_preload_length 0
		.amdhsa_user_sgpr_kernarg_preload_offset 0
		.amdhsa_user_sgpr_private_segment_size 0
		.amdhsa_uses_dynamic_stack 0
		.amdhsa_enable_private_segment 0
		.amdhsa_system_sgpr_workgroup_id_x 1
		.amdhsa_system_sgpr_workgroup_id_y 0
		.amdhsa_system_sgpr_workgroup_id_z 0
		.amdhsa_system_sgpr_workgroup_info 0
		.amdhsa_system_vgpr_workitem_id 0
		.amdhsa_next_free_vgpr 1
		.amdhsa_next_free_sgpr 0
		.amdhsa_accum_offset 4
		.amdhsa_reserve_vcc 0
		.amdhsa_float_round_mode_32 0
		.amdhsa_float_round_mode_16_64 0
		.amdhsa_float_denorm_mode_32 3
		.amdhsa_float_denorm_mode_16_64 3
		.amdhsa_dx10_clamp 1
		.amdhsa_ieee_mode 1
		.amdhsa_fp16_overflow 0
		.amdhsa_tg_split 0
		.amdhsa_exception_fp_ieee_invalid_op 0
		.amdhsa_exception_fp_denorm_src 0
		.amdhsa_exception_fp_ieee_div_zero 0
		.amdhsa_exception_fp_ieee_overflow 0
		.amdhsa_exception_fp_ieee_underflow 0
		.amdhsa_exception_fp_ieee_inexact 0
		.amdhsa_exception_int_div_zero 0
	.end_amdhsa_kernel
	.section	.text._ZN7rocprim17ROCPRIM_400000_NS6detail17trampoline_kernelINS0_14default_configENS1_22reduce_config_selectorIlEEZNS1_11reduce_implILb1ES3_PlS7_lN6hipcub16HIPCUB_304000_NS6detail34convert_binary_result_type_wrapperINS9_3SumENS9_22TransformInputIteratorIb7NonZeroIaEPalEElEEEE10hipError_tPvRmT1_T2_T3_mT4_P12ihipStream_tbEUlT_E1_NS1_11comp_targetILNS1_3genE8ELNS1_11target_archE1030ELNS1_3gpuE2ELNS1_3repE0EEENS1_30default_config_static_selectorELNS0_4arch9wavefront6targetE1EEEvSM_,"axG",@progbits,_ZN7rocprim17ROCPRIM_400000_NS6detail17trampoline_kernelINS0_14default_configENS1_22reduce_config_selectorIlEEZNS1_11reduce_implILb1ES3_PlS7_lN6hipcub16HIPCUB_304000_NS6detail34convert_binary_result_type_wrapperINS9_3SumENS9_22TransformInputIteratorIb7NonZeroIaEPalEElEEEE10hipError_tPvRmT1_T2_T3_mT4_P12ihipStream_tbEUlT_E1_NS1_11comp_targetILNS1_3genE8ELNS1_11target_archE1030ELNS1_3gpuE2ELNS1_3repE0EEENS1_30default_config_static_selectorELNS0_4arch9wavefront6targetE1EEEvSM_,comdat
.Lfunc_end17:
	.size	_ZN7rocprim17ROCPRIM_400000_NS6detail17trampoline_kernelINS0_14default_configENS1_22reduce_config_selectorIlEEZNS1_11reduce_implILb1ES3_PlS7_lN6hipcub16HIPCUB_304000_NS6detail34convert_binary_result_type_wrapperINS9_3SumENS9_22TransformInputIteratorIb7NonZeroIaEPalEElEEEE10hipError_tPvRmT1_T2_T3_mT4_P12ihipStream_tbEUlT_E1_NS1_11comp_targetILNS1_3genE8ELNS1_11target_archE1030ELNS1_3gpuE2ELNS1_3repE0EEENS1_30default_config_static_selectorELNS0_4arch9wavefront6targetE1EEEvSM_, .Lfunc_end17-_ZN7rocprim17ROCPRIM_400000_NS6detail17trampoline_kernelINS0_14default_configENS1_22reduce_config_selectorIlEEZNS1_11reduce_implILb1ES3_PlS7_lN6hipcub16HIPCUB_304000_NS6detail34convert_binary_result_type_wrapperINS9_3SumENS9_22TransformInputIteratorIb7NonZeroIaEPalEElEEEE10hipError_tPvRmT1_T2_T3_mT4_P12ihipStream_tbEUlT_E1_NS1_11comp_targetILNS1_3genE8ELNS1_11target_archE1030ELNS1_3gpuE2ELNS1_3repE0EEENS1_30default_config_static_selectorELNS0_4arch9wavefront6targetE1EEEvSM_
                                        ; -- End function
	.set _ZN7rocprim17ROCPRIM_400000_NS6detail17trampoline_kernelINS0_14default_configENS1_22reduce_config_selectorIlEEZNS1_11reduce_implILb1ES3_PlS7_lN6hipcub16HIPCUB_304000_NS6detail34convert_binary_result_type_wrapperINS9_3SumENS9_22TransformInputIteratorIb7NonZeroIaEPalEElEEEE10hipError_tPvRmT1_T2_T3_mT4_P12ihipStream_tbEUlT_E1_NS1_11comp_targetILNS1_3genE8ELNS1_11target_archE1030ELNS1_3gpuE2ELNS1_3repE0EEENS1_30default_config_static_selectorELNS0_4arch9wavefront6targetE1EEEvSM_.num_vgpr, 0
	.set _ZN7rocprim17ROCPRIM_400000_NS6detail17trampoline_kernelINS0_14default_configENS1_22reduce_config_selectorIlEEZNS1_11reduce_implILb1ES3_PlS7_lN6hipcub16HIPCUB_304000_NS6detail34convert_binary_result_type_wrapperINS9_3SumENS9_22TransformInputIteratorIb7NonZeroIaEPalEElEEEE10hipError_tPvRmT1_T2_T3_mT4_P12ihipStream_tbEUlT_E1_NS1_11comp_targetILNS1_3genE8ELNS1_11target_archE1030ELNS1_3gpuE2ELNS1_3repE0EEENS1_30default_config_static_selectorELNS0_4arch9wavefront6targetE1EEEvSM_.num_agpr, 0
	.set _ZN7rocprim17ROCPRIM_400000_NS6detail17trampoline_kernelINS0_14default_configENS1_22reduce_config_selectorIlEEZNS1_11reduce_implILb1ES3_PlS7_lN6hipcub16HIPCUB_304000_NS6detail34convert_binary_result_type_wrapperINS9_3SumENS9_22TransformInputIteratorIb7NonZeroIaEPalEElEEEE10hipError_tPvRmT1_T2_T3_mT4_P12ihipStream_tbEUlT_E1_NS1_11comp_targetILNS1_3genE8ELNS1_11target_archE1030ELNS1_3gpuE2ELNS1_3repE0EEENS1_30default_config_static_selectorELNS0_4arch9wavefront6targetE1EEEvSM_.numbered_sgpr, 0
	.set _ZN7rocprim17ROCPRIM_400000_NS6detail17trampoline_kernelINS0_14default_configENS1_22reduce_config_selectorIlEEZNS1_11reduce_implILb1ES3_PlS7_lN6hipcub16HIPCUB_304000_NS6detail34convert_binary_result_type_wrapperINS9_3SumENS9_22TransformInputIteratorIb7NonZeroIaEPalEElEEEE10hipError_tPvRmT1_T2_T3_mT4_P12ihipStream_tbEUlT_E1_NS1_11comp_targetILNS1_3genE8ELNS1_11target_archE1030ELNS1_3gpuE2ELNS1_3repE0EEENS1_30default_config_static_selectorELNS0_4arch9wavefront6targetE1EEEvSM_.num_named_barrier, 0
	.set _ZN7rocprim17ROCPRIM_400000_NS6detail17trampoline_kernelINS0_14default_configENS1_22reduce_config_selectorIlEEZNS1_11reduce_implILb1ES3_PlS7_lN6hipcub16HIPCUB_304000_NS6detail34convert_binary_result_type_wrapperINS9_3SumENS9_22TransformInputIteratorIb7NonZeroIaEPalEElEEEE10hipError_tPvRmT1_T2_T3_mT4_P12ihipStream_tbEUlT_E1_NS1_11comp_targetILNS1_3genE8ELNS1_11target_archE1030ELNS1_3gpuE2ELNS1_3repE0EEENS1_30default_config_static_selectorELNS0_4arch9wavefront6targetE1EEEvSM_.private_seg_size, 0
	.set _ZN7rocprim17ROCPRIM_400000_NS6detail17trampoline_kernelINS0_14default_configENS1_22reduce_config_selectorIlEEZNS1_11reduce_implILb1ES3_PlS7_lN6hipcub16HIPCUB_304000_NS6detail34convert_binary_result_type_wrapperINS9_3SumENS9_22TransformInputIteratorIb7NonZeroIaEPalEElEEEE10hipError_tPvRmT1_T2_T3_mT4_P12ihipStream_tbEUlT_E1_NS1_11comp_targetILNS1_3genE8ELNS1_11target_archE1030ELNS1_3gpuE2ELNS1_3repE0EEENS1_30default_config_static_selectorELNS0_4arch9wavefront6targetE1EEEvSM_.uses_vcc, 0
	.set _ZN7rocprim17ROCPRIM_400000_NS6detail17trampoline_kernelINS0_14default_configENS1_22reduce_config_selectorIlEEZNS1_11reduce_implILb1ES3_PlS7_lN6hipcub16HIPCUB_304000_NS6detail34convert_binary_result_type_wrapperINS9_3SumENS9_22TransformInputIteratorIb7NonZeroIaEPalEElEEEE10hipError_tPvRmT1_T2_T3_mT4_P12ihipStream_tbEUlT_E1_NS1_11comp_targetILNS1_3genE8ELNS1_11target_archE1030ELNS1_3gpuE2ELNS1_3repE0EEENS1_30default_config_static_selectorELNS0_4arch9wavefront6targetE1EEEvSM_.uses_flat_scratch, 0
	.set _ZN7rocprim17ROCPRIM_400000_NS6detail17trampoline_kernelINS0_14default_configENS1_22reduce_config_selectorIlEEZNS1_11reduce_implILb1ES3_PlS7_lN6hipcub16HIPCUB_304000_NS6detail34convert_binary_result_type_wrapperINS9_3SumENS9_22TransformInputIteratorIb7NonZeroIaEPalEElEEEE10hipError_tPvRmT1_T2_T3_mT4_P12ihipStream_tbEUlT_E1_NS1_11comp_targetILNS1_3genE8ELNS1_11target_archE1030ELNS1_3gpuE2ELNS1_3repE0EEENS1_30default_config_static_selectorELNS0_4arch9wavefront6targetE1EEEvSM_.has_dyn_sized_stack, 0
	.set _ZN7rocprim17ROCPRIM_400000_NS6detail17trampoline_kernelINS0_14default_configENS1_22reduce_config_selectorIlEEZNS1_11reduce_implILb1ES3_PlS7_lN6hipcub16HIPCUB_304000_NS6detail34convert_binary_result_type_wrapperINS9_3SumENS9_22TransformInputIteratorIb7NonZeroIaEPalEElEEEE10hipError_tPvRmT1_T2_T3_mT4_P12ihipStream_tbEUlT_E1_NS1_11comp_targetILNS1_3genE8ELNS1_11target_archE1030ELNS1_3gpuE2ELNS1_3repE0EEENS1_30default_config_static_selectorELNS0_4arch9wavefront6targetE1EEEvSM_.has_recursion, 0
	.set _ZN7rocprim17ROCPRIM_400000_NS6detail17trampoline_kernelINS0_14default_configENS1_22reduce_config_selectorIlEEZNS1_11reduce_implILb1ES3_PlS7_lN6hipcub16HIPCUB_304000_NS6detail34convert_binary_result_type_wrapperINS9_3SumENS9_22TransformInputIteratorIb7NonZeroIaEPalEElEEEE10hipError_tPvRmT1_T2_T3_mT4_P12ihipStream_tbEUlT_E1_NS1_11comp_targetILNS1_3genE8ELNS1_11target_archE1030ELNS1_3gpuE2ELNS1_3repE0EEENS1_30default_config_static_selectorELNS0_4arch9wavefront6targetE1EEEvSM_.has_indirect_call, 0
	.section	.AMDGPU.csdata,"",@progbits
; Kernel info:
; codeLenInByte = 0
; TotalNumSgprs: 6
; NumVgprs: 0
; NumAgprs: 0
; TotalNumVgprs: 0
; ScratchSize: 0
; MemoryBound: 0
; FloatMode: 240
; IeeeMode: 1
; LDSByteSize: 0 bytes/workgroup (compile time only)
; SGPRBlocks: 0
; VGPRBlocks: 0
; NumSGPRsForWavesPerEU: 6
; NumVGPRsForWavesPerEU: 1
; AccumOffset: 4
; Occupancy: 8
; WaveLimiterHint : 0
; COMPUTE_PGM_RSRC2:SCRATCH_EN: 0
; COMPUTE_PGM_RSRC2:USER_SGPR: 2
; COMPUTE_PGM_RSRC2:TRAP_HANDLER: 0
; COMPUTE_PGM_RSRC2:TGID_X_EN: 1
; COMPUTE_PGM_RSRC2:TGID_Y_EN: 0
; COMPUTE_PGM_RSRC2:TGID_Z_EN: 0
; COMPUTE_PGM_RSRC2:TIDIG_COMP_CNT: 0
; COMPUTE_PGM_RSRC3_GFX90A:ACCUM_OFFSET: 0
; COMPUTE_PGM_RSRC3_GFX90A:TG_SPLIT: 0
	.section	.text._ZN7rocprim17ROCPRIM_400000_NS6detail17trampoline_kernelINS0_14default_configENS1_22reduce_config_selectorIbEEZNS1_11reduce_implILb1ES3_N6hipcub16HIPCUB_304000_NS22TransformInputIteratorIb7NonZeroIaEPalEEPllNS8_6detail34convert_binary_result_type_wrapperINS8_3SumESD_lEEEE10hipError_tPvRmT1_T2_T3_mT4_P12ihipStream_tbEUlT_E0_NS1_11comp_targetILNS1_3genE0ELNS1_11target_archE4294967295ELNS1_3gpuE0ELNS1_3repE0EEENS1_30default_config_static_selectorELNS0_4arch9wavefront6targetE1EEEvSM_,"axG",@progbits,_ZN7rocprim17ROCPRIM_400000_NS6detail17trampoline_kernelINS0_14default_configENS1_22reduce_config_selectorIbEEZNS1_11reduce_implILb1ES3_N6hipcub16HIPCUB_304000_NS22TransformInputIteratorIb7NonZeroIaEPalEEPllNS8_6detail34convert_binary_result_type_wrapperINS8_3SumESD_lEEEE10hipError_tPvRmT1_T2_T3_mT4_P12ihipStream_tbEUlT_E0_NS1_11comp_targetILNS1_3genE0ELNS1_11target_archE4294967295ELNS1_3gpuE0ELNS1_3repE0EEENS1_30default_config_static_selectorELNS0_4arch9wavefront6targetE1EEEvSM_,comdat
	.protected	_ZN7rocprim17ROCPRIM_400000_NS6detail17trampoline_kernelINS0_14default_configENS1_22reduce_config_selectorIbEEZNS1_11reduce_implILb1ES3_N6hipcub16HIPCUB_304000_NS22TransformInputIteratorIb7NonZeroIaEPalEEPllNS8_6detail34convert_binary_result_type_wrapperINS8_3SumESD_lEEEE10hipError_tPvRmT1_T2_T3_mT4_P12ihipStream_tbEUlT_E0_NS1_11comp_targetILNS1_3genE0ELNS1_11target_archE4294967295ELNS1_3gpuE0ELNS1_3repE0EEENS1_30default_config_static_selectorELNS0_4arch9wavefront6targetE1EEEvSM_ ; -- Begin function _ZN7rocprim17ROCPRIM_400000_NS6detail17trampoline_kernelINS0_14default_configENS1_22reduce_config_selectorIbEEZNS1_11reduce_implILb1ES3_N6hipcub16HIPCUB_304000_NS22TransformInputIteratorIb7NonZeroIaEPalEEPllNS8_6detail34convert_binary_result_type_wrapperINS8_3SumESD_lEEEE10hipError_tPvRmT1_T2_T3_mT4_P12ihipStream_tbEUlT_E0_NS1_11comp_targetILNS1_3genE0ELNS1_11target_archE4294967295ELNS1_3gpuE0ELNS1_3repE0EEENS1_30default_config_static_selectorELNS0_4arch9wavefront6targetE1EEEvSM_
	.globl	_ZN7rocprim17ROCPRIM_400000_NS6detail17trampoline_kernelINS0_14default_configENS1_22reduce_config_selectorIbEEZNS1_11reduce_implILb1ES3_N6hipcub16HIPCUB_304000_NS22TransformInputIteratorIb7NonZeroIaEPalEEPllNS8_6detail34convert_binary_result_type_wrapperINS8_3SumESD_lEEEE10hipError_tPvRmT1_T2_T3_mT4_P12ihipStream_tbEUlT_E0_NS1_11comp_targetILNS1_3genE0ELNS1_11target_archE4294967295ELNS1_3gpuE0ELNS1_3repE0EEENS1_30default_config_static_selectorELNS0_4arch9wavefront6targetE1EEEvSM_
	.p2align	8
	.type	_ZN7rocprim17ROCPRIM_400000_NS6detail17trampoline_kernelINS0_14default_configENS1_22reduce_config_selectorIbEEZNS1_11reduce_implILb1ES3_N6hipcub16HIPCUB_304000_NS22TransformInputIteratorIb7NonZeroIaEPalEEPllNS8_6detail34convert_binary_result_type_wrapperINS8_3SumESD_lEEEE10hipError_tPvRmT1_T2_T3_mT4_P12ihipStream_tbEUlT_E0_NS1_11comp_targetILNS1_3genE0ELNS1_11target_archE4294967295ELNS1_3gpuE0ELNS1_3repE0EEENS1_30default_config_static_selectorELNS0_4arch9wavefront6targetE1EEEvSM_,@function
_ZN7rocprim17ROCPRIM_400000_NS6detail17trampoline_kernelINS0_14default_configENS1_22reduce_config_selectorIbEEZNS1_11reduce_implILb1ES3_N6hipcub16HIPCUB_304000_NS22TransformInputIteratorIb7NonZeroIaEPalEEPllNS8_6detail34convert_binary_result_type_wrapperINS8_3SumESD_lEEEE10hipError_tPvRmT1_T2_T3_mT4_P12ihipStream_tbEUlT_E0_NS1_11comp_targetILNS1_3genE0ELNS1_11target_archE4294967295ELNS1_3gpuE0ELNS1_3repE0EEENS1_30default_config_static_selectorELNS0_4arch9wavefront6targetE1EEEvSM_: ; @_ZN7rocprim17ROCPRIM_400000_NS6detail17trampoline_kernelINS0_14default_configENS1_22reduce_config_selectorIbEEZNS1_11reduce_implILb1ES3_N6hipcub16HIPCUB_304000_NS22TransformInputIteratorIb7NonZeroIaEPalEEPllNS8_6detail34convert_binary_result_type_wrapperINS8_3SumESD_lEEEE10hipError_tPvRmT1_T2_T3_mT4_P12ihipStream_tbEUlT_E0_NS1_11comp_targetILNS1_3genE0ELNS1_11target_archE4294967295ELNS1_3gpuE0ELNS1_3repE0EEENS1_30default_config_static_selectorELNS0_4arch9wavefront6targetE1EEEvSM_
; %bb.0:
	s_load_dwordx2 s[4:5], s[0:1], 0x0
	s_load_dwordx8 s[36:43], s[0:1], 0x10
	s_load_dwordx4 s[44:47], s[0:1], 0x30
	s_mov_b32 s3, 0
	v_mbcnt_lo_u32_b32 v1, -1, 0
	s_waitcnt lgkmcnt(0)
	s_add_u32 s6, s4, s36
	s_addc_u32 s5, s5, s37
	s_lshl_b32 s4, s2, 12
	s_lshr_b64 s[0:1], s[38:39], 12
	s_add_u32 s30, s6, s4
	s_addc_u32 s31, s5, 0
	s_cmp_lg_u64 s[0:1], s[2:3]
	s_cbranch_scc0 .LBB18_6
; %bb.1:
	global_load_ubyte v2, v0, s[30:31] offset:768
	global_load_ubyte v6, v0, s[30:31] offset:1024
	;; [unrolled: 1-line block ×14, first 2 shown]
	global_load_ubyte v35, v0, s[30:31]
	global_load_ubyte v37, v0, s[30:31] offset:512
	v_mov_b32_e32 v3, s3
	v_mov_b32_e32 v31, 0
	;; [unrolled: 1-line block ×14, first 2 shown]
	v_mov_b32_dpp v33, v31 quad_perm:[1,0,3,2] row_mask:0xf bank_mask:0xf bound_ctrl:1
	v_mov_b32_e32 v32, v31
	v_mov_b32_e32 v34, v31
	;; [unrolled: 1-line block ×5, first 2 shown]
	v_mbcnt_hi_u32_b32 v4, -1, v1
	v_lshlrev_b32_e32 v5, 2, v4
	v_or_b32_e32 v42, 0xfc, v5
	s_waitcnt vmcnt(15)
	v_cmp_ne_u16_e32 vcc, 0, v2
	s_nop 1
	v_cndmask_b32_e64 v2, 0, 1, vcc
	s_waitcnt vmcnt(14)
	v_cmp_ne_u16_e32 vcc, 0, v6
	s_nop 1
	v_cndmask_b32_e64 v6, 0, 1, vcc
	;; [unrolled: 4-line block ×15, first 2 shown]
	s_waitcnt vmcnt(0)
	v_cmp_ne_u16_e32 vcc, 0, v37
	s_nop 1
	v_addc_co_u32_e32 v30, vcc, v30, v35, vcc
	v_lshl_add_u64 v[2:3], v[30:31], 0, v[2:3]
	v_lshl_add_u64 v[2:3], v[2:3], 0, v[6:7]
	;; [unrolled: 1-line block ×13, first 2 shown]
	v_cmp_eq_u32_e32 vcc, 0, v4
	s_nop 0
	v_mov_b32_dpp v30, v2 quad_perm:[1,0,3,2] row_mask:0xf bank_mask:0xf bound_ctrl:1
	v_lshl_add_u64 v[2:3], v[2:3], 0, v[30:31]
	v_lshl_add_u64 v[6:7], v[32:33], 0, v[2:3]
	s_nop 0
	v_mov_b32_dpp v30, v2 quad_perm:[2,3,0,1] row_mask:0xf bank_mask:0xf bound_ctrl:1
	v_mov_b32_dpp v35, v7 quad_perm:[2,3,0,1] row_mask:0xf bank_mask:0xf bound_ctrl:1
	v_lshl_add_u64 v[2:3], v[6:7], 0, v[30:31]
	v_lshl_add_u64 v[6:7], v[2:3], 0, v[34:35]
	s_nop 0
	v_mov_b32_dpp v30, v2 row_ror:4 row_mask:0xf bank_mask:0xf bound_ctrl:1
	v_mov_b32_dpp v37, v7 row_ror:4 row_mask:0xf bank_mask:0xf bound_ctrl:1
	v_lshl_add_u64 v[2:3], v[6:7], 0, v[30:31]
	v_lshl_add_u64 v[6:7], v[2:3], 0, v[36:37]
	s_nop 0
	v_mov_b32_dpp v30, v2 row_ror:8 row_mask:0xf bank_mask:0xf bound_ctrl:1
	v_mov_b32_dpp v39, v7 row_ror:8 row_mask:0xf bank_mask:0xf bound_ctrl:1
	v_lshl_add_u64 v[2:3], v[6:7], 0, v[30:31]
	v_lshl_add_u64 v[6:7], v[2:3], 0, v[38:39]
	s_nop 0
	v_mov_b32_dpp v30, v2 row_bcast:15 row_mask:0xf bank_mask:0xf bound_ctrl:1
	v_mov_b32_dpp v41, v7 row_bcast:15 row_mask:0xf bank_mask:0xf bound_ctrl:1
	v_lshl_add_u64 v[2:3], v[6:7], 0, v[30:31]
	v_lshl_add_u64 v[6:7], v[2:3], 0, v[40:41]
	s_nop 0
	v_mov_b32_dpp v30, v2 row_bcast:31 row_mask:0xf bank_mask:0xf bound_ctrl:1
	v_lshl_add_u64 v[2:3], v[6:7], 0, v[30:31]
	ds_bpermute_b32 v2, v42, v2
	s_nop 0
	v_add_u32_dpp v3, v7, v3 row_bcast:31 row_mask:0xf bank_mask:0xf bound_ctrl:1
	ds_bpermute_b32 v3, v42, v3
	s_and_saveexec_b64 s[0:1], vcc
	s_cbranch_execz .LBB18_3
; %bb.2:
	v_lshrrev_b32_e32 v6, 3, v0
	v_and_b32_e32 v6, 24, v6
	s_waitcnt lgkmcnt(0)
	ds_write_b64 v6, v[2:3]
.LBB18_3:
	s_or_b64 exec, exec, s[0:1]
	v_cmp_gt_u32_e32 vcc, 64, v0
	s_waitcnt lgkmcnt(0)
	s_barrier
	s_and_saveexec_b64 s[0:1], vcc
	s_cbranch_execz .LBB18_5
; %bb.4:
	v_and_b32_e32 v6, 3, v4
	v_lshlrev_b32_e32 v2, 3, v6
	ds_read_b64 v[2:3], v2
	v_cmp_ne_u32_e32 vcc, 3, v6
	v_or_b32_e32 v8, 8, v5
	s_nop 0
	v_addc_co_u32_e32 v4, vcc, 0, v4, vcc
	v_lshlrev_b32_e32 v6, 2, v4
	s_waitcnt lgkmcnt(0)
	ds_bpermute_b32 v4, v6, v2
	ds_bpermute_b32 v7, v6, v3
	v_mov_b32_e32 v6, 0
	v_mov_b32_e32 v5, v6
	s_waitcnt lgkmcnt(1)
	v_lshl_add_u64 v[2:3], v[2:3], 0, v[4:5]
	s_waitcnt lgkmcnt(0)
	v_lshl_add_u64 v[4:5], v[6:7], 0, v[2:3]
	ds_bpermute_b32 v2, v8, v2
	ds_bpermute_b32 v7, v8, v5
	v_mov_b32_e32 v3, v6
	s_waitcnt lgkmcnt(1)
	v_lshl_add_u64 v[2:3], v[4:5], 0, v[2:3]
	s_waitcnt lgkmcnt(0)
	v_lshl_add_u64 v[2:3], v[2:3], 0, v[6:7]
.LBB18_5:
	s_or_b64 exec, exec, s[0:1]
	s_branch .LBB18_48
.LBB18_6:
                                        ; implicit-def: $vgpr2_vgpr3
	s_cbranch_execz .LBB18_48
; %bb.7:
	s_sub_i32 s33, s38, s4
	v_mov_b32_e32 v2, 0
	v_cmp_gt_u32_e32 vcc, s33, v0
	v_mov_b32_e32 v3, v2
	v_mov_b32_e32 v4, v2
	;; [unrolled: 1-line block ×31, first 2 shown]
	s_and_saveexec_b64 s[0:1], vcc
	s_cbranch_execz .LBB18_9
; %bb.8:
	global_load_ubyte v34, v0, s[30:31]
	v_mov_b32_e32 v3, v2
	v_mov_b32_e32 v4, v2
	;; [unrolled: 1-line block ×31, first 2 shown]
	s_waitcnt vmcnt(0)
	v_cmp_ne_u16_e32 vcc, 0, v34
	s_nop 1
	v_cndmask_b32_e64 v2, 0, 1, vcc
.LBB18_9:
	s_or_b64 exec, exec, s[0:1]
	v_or_b32_e32 v34, 0x100, v0
	v_cmp_gt_u32_e32 vcc, s33, v34
	s_and_saveexec_b64 s[4:5], vcc
	s_cbranch_execz .LBB18_11
; %bb.10:
	global_load_ubyte v4, v0, s[30:31] offset:256
	s_mov_b32 s6, 0
	v_mov_b32_e32 v5, s6
	s_waitcnt vmcnt(0)
	v_cmp_ne_u16_e64 s[0:1], 0, v4
	s_nop 1
	v_cndmask_b32_e64 v4, 0, 1, s[0:1]
.LBB18_11:
	s_or_b64 exec, exec, s[4:5]
	v_or_b32_e32 v34, 0x200, v0
	v_cmp_gt_u32_e64 s[0:1], s33, v34
	s_and_saveexec_b64 s[6:7], s[0:1]
	s_cbranch_execz .LBB18_13
; %bb.12:
	global_load_ubyte v6, v0, s[30:31] offset:512
	s_mov_b32 s8, 0
	v_mov_b32_e32 v7, s8
	s_waitcnt vmcnt(0)
	v_cmp_ne_u16_e64 s[4:5], 0, v6
	s_nop 1
	v_cndmask_b32_e64 v6, 0, 1, s[4:5]
.LBB18_13:
	s_or_b64 exec, exec, s[6:7]
	v_or_b32_e32 v34, 0x300, v0
	v_cmp_gt_u32_e64 s[4:5], s33, v34
	s_and_saveexec_b64 s[8:9], s[4:5]
	;; [unrolled: 14-line block ×14, first 2 shown]
	s_cbranch_execz .LBB18_39
; %bb.38:
	global_load_ubyte v32, v0, s[30:31] offset:3840
	s_mov_b32 s36, 0
	v_mov_b32_e32 v33, s36
	s_waitcnt vmcnt(0)
	v_cmp_ne_u16_e64 s[30:31], 0, v32
	s_nop 1
	v_cndmask_b32_e64 v32, 0, 1, s[30:31]
.LBB18_39:
	s_or_b64 exec, exec, s[34:35]
	v_cndmask_b32_e32 v5, 0, v5, vcc
	v_cndmask_b32_e32 v4, 0, v4, vcc
	v_lshl_add_u64 v[2:3], v[4:5], 0, v[2:3]
	v_cndmask_b32_e64 v5, 0, v7, s[0:1]
	v_cndmask_b32_e64 v4, 0, v6, s[0:1]
	v_lshl_add_u64 v[2:3], v[2:3], 0, v[4:5]
	v_cndmask_b32_e64 v5, 0, v9, s[4:5]
	v_cndmask_b32_e64 v4, 0, v8, s[4:5]
	;; [unrolled: 3-line block ×13, first 2 shown]
	v_mbcnt_hi_u32_b32 v1, -1, v1
	v_lshl_add_u64 v[2:3], v[2:3], 0, v[4:5]
	v_cndmask_b32_e64 v5, 0, v33, s[28:29]
	v_cndmask_b32_e64 v4, 0, v32, s[28:29]
	v_and_b32_e32 v9, 63, v1
	v_lshl_add_u64 v[2:3], v[2:3], 0, v[4:5]
	s_min_u32 s6, s33, 0x100
	v_and_b32_e32 v4, 0xc0, v0
	v_cmp_ne_u32_e32 vcc, 63, v9
	v_sub_u32_e64 v8, s6, v4 clamp
	v_mov_b32_e32 v6, 0
	v_addc_co_u32_e32 v4, vcc, 0, v1, vcc
	v_lshlrev_b32_e32 v5, 2, v4
	ds_bpermute_b32 v4, v5, v2
	ds_bpermute_b32 v7, v5, v3
	v_add_u32_e32 v10, 1, v9
	v_mov_b32_e32 v5, v6
	v_cmp_lt_u32_e64 s[0:1], v10, v8
	s_waitcnt lgkmcnt(1)
	v_lshl_add_u64 v[4:5], v[2:3], 0, v[4:5]
	v_cmp_gt_u32_e32 vcc, 62, v9
	s_waitcnt lgkmcnt(0)
	v_lshl_add_u64 v[6:7], v[4:5], 0, v[6:7]
	v_cndmask_b32_e64 v12, v2, v4, s[0:1]
	v_cndmask_b32_e64 v4, 0, 2, vcc
	v_cndmask_b32_e64 v5, v3, v7, s[0:1]
	v_add_lshl_u32 v4, v4, v1, 2
	ds_bpermute_b32 v10, v4, v12
	ds_bpermute_b32 v11, v4, v5
	v_cndmask_b32_e64 v4, v2, v6, s[0:1]
	v_add_u32_e32 v13, 2, v9
	v_cmp_lt_u32_e32 vcc, v13, v8
	v_cmp_gt_u32_e64 s[4:5], 60, v9
	s_waitcnt lgkmcnt(0)
	v_lshl_add_u64 v[6:7], v[10:11], 0, v[4:5]
	v_cndmask_b32_e32 v5, v5, v7, vcc
	v_cndmask_b32_e64 v7, 0, 4, s[4:5]
	v_cndmask_b32_e32 v12, v12, v6, vcc
	v_add_lshl_u32 v7, v7, v1, 2
	ds_bpermute_b32 v10, v7, v12
	ds_bpermute_b32 v11, v7, v5
	v_cndmask_b32_e32 v4, v4, v6, vcc
	v_add_u32_e32 v13, 4, v9
	v_cmp_lt_u32_e32 vcc, v13, v8
	v_cmp_gt_u32_e64 s[4:5], 56, v9
	s_waitcnt lgkmcnt(0)
	v_lshl_add_u64 v[6:7], v[10:11], 0, v[4:5]
	v_cndmask_b32_e32 v5, v5, v7, vcc
	v_cndmask_b32_e64 v7, 0, 8, s[4:5]
	v_cndmask_b32_e32 v12, v12, v6, vcc
	v_add_lshl_u32 v7, v7, v1, 2
	ds_bpermute_b32 v10, v7, v12
	ds_bpermute_b32 v11, v7, v5
	v_cndmask_b32_e32 v4, v4, v6, vcc
	;; [unrolled: 12-line block ×3, first 2 shown]
	v_add_u32_e32 v13, 16, v9
	v_cmp_lt_u32_e32 vcc, v13, v8
	s_waitcnt lgkmcnt(0)
	v_lshl_add_u64 v[6:7], v[10:11], 0, v[4:5]
	v_lshlrev_b32_e32 v10, 2, v1
	v_cndmask_b32_e32 v13, v5, v7, vcc
	v_cndmask_b32_e32 v11, v12, v6, vcc
	v_or_b32_e32 v12, 0x80, v10
	ds_bpermute_b32 v11, v12, v11
	ds_bpermute_b32 v12, v12, v13
	s_and_saveexec_b64 s[4:5], s[0:1]
	s_cbranch_execz .LBB18_41
; %bb.40:
	v_add_u32_e32 v9, 32, v9
	v_cndmask_b32_e32 v3, v5, v7, vcc
	v_cndmask_b32_e32 v2, v4, v6, vcc
	v_cmp_lt_u32_e32 vcc, v9, v8
	s_waitcnt lgkmcnt(0)
	s_nop 0
	v_cndmask_b32_e32 v5, 0, v12, vcc
	v_cndmask_b32_e32 v4, 0, v11, vcc
	v_lshl_add_u64 v[2:3], v[2:3], 0, v[4:5]
.LBB18_41:
	s_or_b64 exec, exec, s[4:5]
	v_cmp_eq_u32_e32 vcc, 0, v1
	s_and_saveexec_b64 s[0:1], vcc
; %bb.42:
	v_lshrrev_b32_e32 v4, 3, v0
	v_and_b32_e32 v4, 24, v4
	ds_write_b64 v4, v[2:3] offset:32
; %bb.43:
	s_or_b64 exec, exec, s[0:1]
	v_cmp_gt_u32_e32 vcc, 4, v0
	s_waitcnt lgkmcnt(0)
	s_barrier
	s_and_saveexec_b64 s[0:1], vcc
	s_cbranch_execz .LBB18_47
; %bb.44:
	v_lshlrev_b32_e32 v2, 3, v1
	ds_read_b64 v[2:3], v2 offset:32
	v_and_b32_e32 v6, 3, v1
	v_cmp_ne_u32_e32 vcc, 3, v6
	v_mov_b32_e32 v8, 0
	s_add_i32 s6, s6, 63
	v_addc_co_u32_e32 v1, vcc, 0, v1, vcc
	v_lshlrev_b32_e32 v1, 2, v1
	s_waitcnt lgkmcnt(0)
	ds_bpermute_b32 v4, v1, v2
	ds_bpermute_b32 v9, v1, v3
	v_mov_b32_e32 v5, v8
	s_lshr_b32 s6, s6, 6
	v_add_u32_e32 v1, 1, v6
	s_waitcnt lgkmcnt(1)
	v_lshl_add_u64 v[12:13], v[2:3], 0, v[4:5]
	s_waitcnt lgkmcnt(0)
	v_lshl_add_u64 v[4:5], v[8:9], 0, v[12:13]
	v_cmp_gt_u32_e32 vcc, s6, v1
	v_or_b32_e32 v8, 8, v10
	s_nop 0
	v_cndmask_b32_e32 v7, v3, v5, vcc
	v_cndmask_b32_e32 v1, v2, v12, vcc
	ds_bpermute_b32 v1, v8, v1
	ds_bpermute_b32 v7, v8, v7
	s_and_saveexec_b64 s[4:5], vcc
	s_cbranch_execz .LBB18_46
; %bb.45:
	v_add_u32_e32 v2, 2, v6
	v_cmp_gt_u32_e32 vcc, s6, v2
	s_waitcnt lgkmcnt(0)
	s_nop 0
	v_cndmask_b32_e32 v3, 0, v7, vcc
	v_cndmask_b32_e32 v2, 0, v1, vcc
	v_lshl_add_u64 v[2:3], v[2:3], 0, v[4:5]
.LBB18_46:
	s_or_b64 exec, exec, s[4:5]
.LBB18_47:
	s_or_b64 exec, exec, s[0:1]
.LBB18_48:
	v_cmp_eq_u32_e32 vcc, 0, v0
	s_and_saveexec_b64 s[0:1], vcc
	s_cbranch_execnz .LBB18_50
; %bb.49:
	s_endpgm
.LBB18_50:
	s_mul_i32 s0, s44, s43
	s_mul_hi_u32 s1, s44, s42
	s_add_i32 s0, s1, s0
	s_mul_i32 s1, s45, s42
	s_add_i32 s1, s0, s1
	s_mul_i32 s0, s44, s42
	s_lshl_b64 s[0:1], s[0:1], 3
	s_add_u32 s4, s40, s0
	s_addc_u32 s5, s41, s1
	s_cmp_eq_u64 s[38:39], 0
	v_mov_b32_e32 v0, s47
	s_cselect_b64 vcc, -1, 0
	s_lshl_b64 s[0:1], s[2:3], 3
	s_waitcnt lgkmcnt(1)
	v_cndmask_b32_e32 v1, v3, v0, vcc
	v_mov_b32_e32 v0, s46
	s_add_u32 s0, s4, s0
	v_cndmask_b32_e32 v0, v2, v0, vcc
	s_addc_u32 s1, s5, s1
	v_mov_b32_e32 v2, 0
	global_store_dwordx2 v2, v[0:1], s[0:1]
	s_endpgm
	.section	.rodata,"a",@progbits
	.p2align	6, 0x0
	.amdhsa_kernel _ZN7rocprim17ROCPRIM_400000_NS6detail17trampoline_kernelINS0_14default_configENS1_22reduce_config_selectorIbEEZNS1_11reduce_implILb1ES3_N6hipcub16HIPCUB_304000_NS22TransformInputIteratorIb7NonZeroIaEPalEEPllNS8_6detail34convert_binary_result_type_wrapperINS8_3SumESD_lEEEE10hipError_tPvRmT1_T2_T3_mT4_P12ihipStream_tbEUlT_E0_NS1_11comp_targetILNS1_3genE0ELNS1_11target_archE4294967295ELNS1_3gpuE0ELNS1_3repE0EEENS1_30default_config_static_selectorELNS0_4arch9wavefront6targetE1EEEvSM_
		.amdhsa_group_segment_fixed_size 64
		.amdhsa_private_segment_fixed_size 0
		.amdhsa_kernarg_size 72
		.amdhsa_user_sgpr_count 2
		.amdhsa_user_sgpr_dispatch_ptr 0
		.amdhsa_user_sgpr_queue_ptr 0
		.amdhsa_user_sgpr_kernarg_segment_ptr 1
		.amdhsa_user_sgpr_dispatch_id 0
		.amdhsa_user_sgpr_kernarg_preload_length 0
		.amdhsa_user_sgpr_kernarg_preload_offset 0
		.amdhsa_user_sgpr_private_segment_size 0
		.amdhsa_uses_dynamic_stack 0
		.amdhsa_enable_private_segment 0
		.amdhsa_system_sgpr_workgroup_id_x 1
		.amdhsa_system_sgpr_workgroup_id_y 0
		.amdhsa_system_sgpr_workgroup_id_z 0
		.amdhsa_system_sgpr_workgroup_info 0
		.amdhsa_system_vgpr_workitem_id 0
		.amdhsa_next_free_vgpr 43
		.amdhsa_next_free_sgpr 48
		.amdhsa_accum_offset 44
		.amdhsa_reserve_vcc 1
		.amdhsa_float_round_mode_32 0
		.amdhsa_float_round_mode_16_64 0
		.amdhsa_float_denorm_mode_32 3
		.amdhsa_float_denorm_mode_16_64 3
		.amdhsa_dx10_clamp 1
		.amdhsa_ieee_mode 1
		.amdhsa_fp16_overflow 0
		.amdhsa_tg_split 0
		.amdhsa_exception_fp_ieee_invalid_op 0
		.amdhsa_exception_fp_denorm_src 0
		.amdhsa_exception_fp_ieee_div_zero 0
		.amdhsa_exception_fp_ieee_overflow 0
		.amdhsa_exception_fp_ieee_underflow 0
		.amdhsa_exception_fp_ieee_inexact 0
		.amdhsa_exception_int_div_zero 0
	.end_amdhsa_kernel
	.section	.text._ZN7rocprim17ROCPRIM_400000_NS6detail17trampoline_kernelINS0_14default_configENS1_22reduce_config_selectorIbEEZNS1_11reduce_implILb1ES3_N6hipcub16HIPCUB_304000_NS22TransformInputIteratorIb7NonZeroIaEPalEEPllNS8_6detail34convert_binary_result_type_wrapperINS8_3SumESD_lEEEE10hipError_tPvRmT1_T2_T3_mT4_P12ihipStream_tbEUlT_E0_NS1_11comp_targetILNS1_3genE0ELNS1_11target_archE4294967295ELNS1_3gpuE0ELNS1_3repE0EEENS1_30default_config_static_selectorELNS0_4arch9wavefront6targetE1EEEvSM_,"axG",@progbits,_ZN7rocprim17ROCPRIM_400000_NS6detail17trampoline_kernelINS0_14default_configENS1_22reduce_config_selectorIbEEZNS1_11reduce_implILb1ES3_N6hipcub16HIPCUB_304000_NS22TransformInputIteratorIb7NonZeroIaEPalEEPllNS8_6detail34convert_binary_result_type_wrapperINS8_3SumESD_lEEEE10hipError_tPvRmT1_T2_T3_mT4_P12ihipStream_tbEUlT_E0_NS1_11comp_targetILNS1_3genE0ELNS1_11target_archE4294967295ELNS1_3gpuE0ELNS1_3repE0EEENS1_30default_config_static_selectorELNS0_4arch9wavefront6targetE1EEEvSM_,comdat
.Lfunc_end18:
	.size	_ZN7rocprim17ROCPRIM_400000_NS6detail17trampoline_kernelINS0_14default_configENS1_22reduce_config_selectorIbEEZNS1_11reduce_implILb1ES3_N6hipcub16HIPCUB_304000_NS22TransformInputIteratorIb7NonZeroIaEPalEEPllNS8_6detail34convert_binary_result_type_wrapperINS8_3SumESD_lEEEE10hipError_tPvRmT1_T2_T3_mT4_P12ihipStream_tbEUlT_E0_NS1_11comp_targetILNS1_3genE0ELNS1_11target_archE4294967295ELNS1_3gpuE0ELNS1_3repE0EEENS1_30default_config_static_selectorELNS0_4arch9wavefront6targetE1EEEvSM_, .Lfunc_end18-_ZN7rocprim17ROCPRIM_400000_NS6detail17trampoline_kernelINS0_14default_configENS1_22reduce_config_selectorIbEEZNS1_11reduce_implILb1ES3_N6hipcub16HIPCUB_304000_NS22TransformInputIteratorIb7NonZeroIaEPalEEPllNS8_6detail34convert_binary_result_type_wrapperINS8_3SumESD_lEEEE10hipError_tPvRmT1_T2_T3_mT4_P12ihipStream_tbEUlT_E0_NS1_11comp_targetILNS1_3genE0ELNS1_11target_archE4294967295ELNS1_3gpuE0ELNS1_3repE0EEENS1_30default_config_static_selectorELNS0_4arch9wavefront6targetE1EEEvSM_
                                        ; -- End function
	.set _ZN7rocprim17ROCPRIM_400000_NS6detail17trampoline_kernelINS0_14default_configENS1_22reduce_config_selectorIbEEZNS1_11reduce_implILb1ES3_N6hipcub16HIPCUB_304000_NS22TransformInputIteratorIb7NonZeroIaEPalEEPllNS8_6detail34convert_binary_result_type_wrapperINS8_3SumESD_lEEEE10hipError_tPvRmT1_T2_T3_mT4_P12ihipStream_tbEUlT_E0_NS1_11comp_targetILNS1_3genE0ELNS1_11target_archE4294967295ELNS1_3gpuE0ELNS1_3repE0EEENS1_30default_config_static_selectorELNS0_4arch9wavefront6targetE1EEEvSM_.num_vgpr, 43
	.set _ZN7rocprim17ROCPRIM_400000_NS6detail17trampoline_kernelINS0_14default_configENS1_22reduce_config_selectorIbEEZNS1_11reduce_implILb1ES3_N6hipcub16HIPCUB_304000_NS22TransformInputIteratorIb7NonZeroIaEPalEEPllNS8_6detail34convert_binary_result_type_wrapperINS8_3SumESD_lEEEE10hipError_tPvRmT1_T2_T3_mT4_P12ihipStream_tbEUlT_E0_NS1_11comp_targetILNS1_3genE0ELNS1_11target_archE4294967295ELNS1_3gpuE0ELNS1_3repE0EEENS1_30default_config_static_selectorELNS0_4arch9wavefront6targetE1EEEvSM_.num_agpr, 0
	.set _ZN7rocprim17ROCPRIM_400000_NS6detail17trampoline_kernelINS0_14default_configENS1_22reduce_config_selectorIbEEZNS1_11reduce_implILb1ES3_N6hipcub16HIPCUB_304000_NS22TransformInputIteratorIb7NonZeroIaEPalEEPllNS8_6detail34convert_binary_result_type_wrapperINS8_3SumESD_lEEEE10hipError_tPvRmT1_T2_T3_mT4_P12ihipStream_tbEUlT_E0_NS1_11comp_targetILNS1_3genE0ELNS1_11target_archE4294967295ELNS1_3gpuE0ELNS1_3repE0EEENS1_30default_config_static_selectorELNS0_4arch9wavefront6targetE1EEEvSM_.numbered_sgpr, 48
	.set _ZN7rocprim17ROCPRIM_400000_NS6detail17trampoline_kernelINS0_14default_configENS1_22reduce_config_selectorIbEEZNS1_11reduce_implILb1ES3_N6hipcub16HIPCUB_304000_NS22TransformInputIteratorIb7NonZeroIaEPalEEPllNS8_6detail34convert_binary_result_type_wrapperINS8_3SumESD_lEEEE10hipError_tPvRmT1_T2_T3_mT4_P12ihipStream_tbEUlT_E0_NS1_11comp_targetILNS1_3genE0ELNS1_11target_archE4294967295ELNS1_3gpuE0ELNS1_3repE0EEENS1_30default_config_static_selectorELNS0_4arch9wavefront6targetE1EEEvSM_.num_named_barrier, 0
	.set _ZN7rocprim17ROCPRIM_400000_NS6detail17trampoline_kernelINS0_14default_configENS1_22reduce_config_selectorIbEEZNS1_11reduce_implILb1ES3_N6hipcub16HIPCUB_304000_NS22TransformInputIteratorIb7NonZeroIaEPalEEPllNS8_6detail34convert_binary_result_type_wrapperINS8_3SumESD_lEEEE10hipError_tPvRmT1_T2_T3_mT4_P12ihipStream_tbEUlT_E0_NS1_11comp_targetILNS1_3genE0ELNS1_11target_archE4294967295ELNS1_3gpuE0ELNS1_3repE0EEENS1_30default_config_static_selectorELNS0_4arch9wavefront6targetE1EEEvSM_.private_seg_size, 0
	.set _ZN7rocprim17ROCPRIM_400000_NS6detail17trampoline_kernelINS0_14default_configENS1_22reduce_config_selectorIbEEZNS1_11reduce_implILb1ES3_N6hipcub16HIPCUB_304000_NS22TransformInputIteratorIb7NonZeroIaEPalEEPllNS8_6detail34convert_binary_result_type_wrapperINS8_3SumESD_lEEEE10hipError_tPvRmT1_T2_T3_mT4_P12ihipStream_tbEUlT_E0_NS1_11comp_targetILNS1_3genE0ELNS1_11target_archE4294967295ELNS1_3gpuE0ELNS1_3repE0EEENS1_30default_config_static_selectorELNS0_4arch9wavefront6targetE1EEEvSM_.uses_vcc, 1
	.set _ZN7rocprim17ROCPRIM_400000_NS6detail17trampoline_kernelINS0_14default_configENS1_22reduce_config_selectorIbEEZNS1_11reduce_implILb1ES3_N6hipcub16HIPCUB_304000_NS22TransformInputIteratorIb7NonZeroIaEPalEEPllNS8_6detail34convert_binary_result_type_wrapperINS8_3SumESD_lEEEE10hipError_tPvRmT1_T2_T3_mT4_P12ihipStream_tbEUlT_E0_NS1_11comp_targetILNS1_3genE0ELNS1_11target_archE4294967295ELNS1_3gpuE0ELNS1_3repE0EEENS1_30default_config_static_selectorELNS0_4arch9wavefront6targetE1EEEvSM_.uses_flat_scratch, 0
	.set _ZN7rocprim17ROCPRIM_400000_NS6detail17trampoline_kernelINS0_14default_configENS1_22reduce_config_selectorIbEEZNS1_11reduce_implILb1ES3_N6hipcub16HIPCUB_304000_NS22TransformInputIteratorIb7NonZeroIaEPalEEPllNS8_6detail34convert_binary_result_type_wrapperINS8_3SumESD_lEEEE10hipError_tPvRmT1_T2_T3_mT4_P12ihipStream_tbEUlT_E0_NS1_11comp_targetILNS1_3genE0ELNS1_11target_archE4294967295ELNS1_3gpuE0ELNS1_3repE0EEENS1_30default_config_static_selectorELNS0_4arch9wavefront6targetE1EEEvSM_.has_dyn_sized_stack, 0
	.set _ZN7rocprim17ROCPRIM_400000_NS6detail17trampoline_kernelINS0_14default_configENS1_22reduce_config_selectorIbEEZNS1_11reduce_implILb1ES3_N6hipcub16HIPCUB_304000_NS22TransformInputIteratorIb7NonZeroIaEPalEEPllNS8_6detail34convert_binary_result_type_wrapperINS8_3SumESD_lEEEE10hipError_tPvRmT1_T2_T3_mT4_P12ihipStream_tbEUlT_E0_NS1_11comp_targetILNS1_3genE0ELNS1_11target_archE4294967295ELNS1_3gpuE0ELNS1_3repE0EEENS1_30default_config_static_selectorELNS0_4arch9wavefront6targetE1EEEvSM_.has_recursion, 0
	.set _ZN7rocprim17ROCPRIM_400000_NS6detail17trampoline_kernelINS0_14default_configENS1_22reduce_config_selectorIbEEZNS1_11reduce_implILb1ES3_N6hipcub16HIPCUB_304000_NS22TransformInputIteratorIb7NonZeroIaEPalEEPllNS8_6detail34convert_binary_result_type_wrapperINS8_3SumESD_lEEEE10hipError_tPvRmT1_T2_T3_mT4_P12ihipStream_tbEUlT_E0_NS1_11comp_targetILNS1_3genE0ELNS1_11target_archE4294967295ELNS1_3gpuE0ELNS1_3repE0EEENS1_30default_config_static_selectorELNS0_4arch9wavefront6targetE1EEEvSM_.has_indirect_call, 0
	.section	.AMDGPU.csdata,"",@progbits
; Kernel info:
; codeLenInByte = 3636
; TotalNumSgprs: 54
; NumVgprs: 43
; NumAgprs: 0
; TotalNumVgprs: 43
; ScratchSize: 0
; MemoryBound: 0
; FloatMode: 240
; IeeeMode: 1
; LDSByteSize: 64 bytes/workgroup (compile time only)
; SGPRBlocks: 6
; VGPRBlocks: 5
; NumSGPRsForWavesPerEU: 54
; NumVGPRsForWavesPerEU: 43
; AccumOffset: 44
; Occupancy: 8
; WaveLimiterHint : 1
; COMPUTE_PGM_RSRC2:SCRATCH_EN: 0
; COMPUTE_PGM_RSRC2:USER_SGPR: 2
; COMPUTE_PGM_RSRC2:TRAP_HANDLER: 0
; COMPUTE_PGM_RSRC2:TGID_X_EN: 1
; COMPUTE_PGM_RSRC2:TGID_Y_EN: 0
; COMPUTE_PGM_RSRC2:TGID_Z_EN: 0
; COMPUTE_PGM_RSRC2:TIDIG_COMP_CNT: 0
; COMPUTE_PGM_RSRC3_GFX90A:ACCUM_OFFSET: 10
; COMPUTE_PGM_RSRC3_GFX90A:TG_SPLIT: 0
	.section	.text._ZN7rocprim17ROCPRIM_400000_NS6detail17trampoline_kernelINS0_14default_configENS1_22reduce_config_selectorIbEEZNS1_11reduce_implILb1ES3_N6hipcub16HIPCUB_304000_NS22TransformInputIteratorIb7NonZeroIaEPalEEPllNS8_6detail34convert_binary_result_type_wrapperINS8_3SumESD_lEEEE10hipError_tPvRmT1_T2_T3_mT4_P12ihipStream_tbEUlT_E0_NS1_11comp_targetILNS1_3genE5ELNS1_11target_archE942ELNS1_3gpuE9ELNS1_3repE0EEENS1_30default_config_static_selectorELNS0_4arch9wavefront6targetE1EEEvSM_,"axG",@progbits,_ZN7rocprim17ROCPRIM_400000_NS6detail17trampoline_kernelINS0_14default_configENS1_22reduce_config_selectorIbEEZNS1_11reduce_implILb1ES3_N6hipcub16HIPCUB_304000_NS22TransformInputIteratorIb7NonZeroIaEPalEEPllNS8_6detail34convert_binary_result_type_wrapperINS8_3SumESD_lEEEE10hipError_tPvRmT1_T2_T3_mT4_P12ihipStream_tbEUlT_E0_NS1_11comp_targetILNS1_3genE5ELNS1_11target_archE942ELNS1_3gpuE9ELNS1_3repE0EEENS1_30default_config_static_selectorELNS0_4arch9wavefront6targetE1EEEvSM_,comdat
	.protected	_ZN7rocprim17ROCPRIM_400000_NS6detail17trampoline_kernelINS0_14default_configENS1_22reduce_config_selectorIbEEZNS1_11reduce_implILb1ES3_N6hipcub16HIPCUB_304000_NS22TransformInputIteratorIb7NonZeroIaEPalEEPllNS8_6detail34convert_binary_result_type_wrapperINS8_3SumESD_lEEEE10hipError_tPvRmT1_T2_T3_mT4_P12ihipStream_tbEUlT_E0_NS1_11comp_targetILNS1_3genE5ELNS1_11target_archE942ELNS1_3gpuE9ELNS1_3repE0EEENS1_30default_config_static_selectorELNS0_4arch9wavefront6targetE1EEEvSM_ ; -- Begin function _ZN7rocprim17ROCPRIM_400000_NS6detail17trampoline_kernelINS0_14default_configENS1_22reduce_config_selectorIbEEZNS1_11reduce_implILb1ES3_N6hipcub16HIPCUB_304000_NS22TransformInputIteratorIb7NonZeroIaEPalEEPllNS8_6detail34convert_binary_result_type_wrapperINS8_3SumESD_lEEEE10hipError_tPvRmT1_T2_T3_mT4_P12ihipStream_tbEUlT_E0_NS1_11comp_targetILNS1_3genE5ELNS1_11target_archE942ELNS1_3gpuE9ELNS1_3repE0EEENS1_30default_config_static_selectorELNS0_4arch9wavefront6targetE1EEEvSM_
	.globl	_ZN7rocprim17ROCPRIM_400000_NS6detail17trampoline_kernelINS0_14default_configENS1_22reduce_config_selectorIbEEZNS1_11reduce_implILb1ES3_N6hipcub16HIPCUB_304000_NS22TransformInputIteratorIb7NonZeroIaEPalEEPllNS8_6detail34convert_binary_result_type_wrapperINS8_3SumESD_lEEEE10hipError_tPvRmT1_T2_T3_mT4_P12ihipStream_tbEUlT_E0_NS1_11comp_targetILNS1_3genE5ELNS1_11target_archE942ELNS1_3gpuE9ELNS1_3repE0EEENS1_30default_config_static_selectorELNS0_4arch9wavefront6targetE1EEEvSM_
	.p2align	8
	.type	_ZN7rocprim17ROCPRIM_400000_NS6detail17trampoline_kernelINS0_14default_configENS1_22reduce_config_selectorIbEEZNS1_11reduce_implILb1ES3_N6hipcub16HIPCUB_304000_NS22TransformInputIteratorIb7NonZeroIaEPalEEPllNS8_6detail34convert_binary_result_type_wrapperINS8_3SumESD_lEEEE10hipError_tPvRmT1_T2_T3_mT4_P12ihipStream_tbEUlT_E0_NS1_11comp_targetILNS1_3genE5ELNS1_11target_archE942ELNS1_3gpuE9ELNS1_3repE0EEENS1_30default_config_static_selectorELNS0_4arch9wavefront6targetE1EEEvSM_,@function
_ZN7rocprim17ROCPRIM_400000_NS6detail17trampoline_kernelINS0_14default_configENS1_22reduce_config_selectorIbEEZNS1_11reduce_implILb1ES3_N6hipcub16HIPCUB_304000_NS22TransformInputIteratorIb7NonZeroIaEPalEEPllNS8_6detail34convert_binary_result_type_wrapperINS8_3SumESD_lEEEE10hipError_tPvRmT1_T2_T3_mT4_P12ihipStream_tbEUlT_E0_NS1_11comp_targetILNS1_3genE5ELNS1_11target_archE942ELNS1_3gpuE9ELNS1_3repE0EEENS1_30default_config_static_selectorELNS0_4arch9wavefront6targetE1EEEvSM_: ; @_ZN7rocprim17ROCPRIM_400000_NS6detail17trampoline_kernelINS0_14default_configENS1_22reduce_config_selectorIbEEZNS1_11reduce_implILb1ES3_N6hipcub16HIPCUB_304000_NS22TransformInputIteratorIb7NonZeroIaEPalEEPllNS8_6detail34convert_binary_result_type_wrapperINS8_3SumESD_lEEEE10hipError_tPvRmT1_T2_T3_mT4_P12ihipStream_tbEUlT_E0_NS1_11comp_targetILNS1_3genE5ELNS1_11target_archE942ELNS1_3gpuE9ELNS1_3repE0EEENS1_30default_config_static_selectorELNS0_4arch9wavefront6targetE1EEEvSM_
; %bb.0:
	.section	.rodata,"a",@progbits
	.p2align	6, 0x0
	.amdhsa_kernel _ZN7rocprim17ROCPRIM_400000_NS6detail17trampoline_kernelINS0_14default_configENS1_22reduce_config_selectorIbEEZNS1_11reduce_implILb1ES3_N6hipcub16HIPCUB_304000_NS22TransformInputIteratorIb7NonZeroIaEPalEEPllNS8_6detail34convert_binary_result_type_wrapperINS8_3SumESD_lEEEE10hipError_tPvRmT1_T2_T3_mT4_P12ihipStream_tbEUlT_E0_NS1_11comp_targetILNS1_3genE5ELNS1_11target_archE942ELNS1_3gpuE9ELNS1_3repE0EEENS1_30default_config_static_selectorELNS0_4arch9wavefront6targetE1EEEvSM_
		.amdhsa_group_segment_fixed_size 0
		.amdhsa_private_segment_fixed_size 0
		.amdhsa_kernarg_size 72
		.amdhsa_user_sgpr_count 2
		.amdhsa_user_sgpr_dispatch_ptr 0
		.amdhsa_user_sgpr_queue_ptr 0
		.amdhsa_user_sgpr_kernarg_segment_ptr 1
		.amdhsa_user_sgpr_dispatch_id 0
		.amdhsa_user_sgpr_kernarg_preload_length 0
		.amdhsa_user_sgpr_kernarg_preload_offset 0
		.amdhsa_user_sgpr_private_segment_size 0
		.amdhsa_uses_dynamic_stack 0
		.amdhsa_enable_private_segment 0
		.amdhsa_system_sgpr_workgroup_id_x 1
		.amdhsa_system_sgpr_workgroup_id_y 0
		.amdhsa_system_sgpr_workgroup_id_z 0
		.amdhsa_system_sgpr_workgroup_info 0
		.amdhsa_system_vgpr_workitem_id 0
		.amdhsa_next_free_vgpr 1
		.amdhsa_next_free_sgpr 0
		.amdhsa_accum_offset 4
		.amdhsa_reserve_vcc 0
		.amdhsa_float_round_mode_32 0
		.amdhsa_float_round_mode_16_64 0
		.amdhsa_float_denorm_mode_32 3
		.amdhsa_float_denorm_mode_16_64 3
		.amdhsa_dx10_clamp 1
		.amdhsa_ieee_mode 1
		.amdhsa_fp16_overflow 0
		.amdhsa_tg_split 0
		.amdhsa_exception_fp_ieee_invalid_op 0
		.amdhsa_exception_fp_denorm_src 0
		.amdhsa_exception_fp_ieee_div_zero 0
		.amdhsa_exception_fp_ieee_overflow 0
		.amdhsa_exception_fp_ieee_underflow 0
		.amdhsa_exception_fp_ieee_inexact 0
		.amdhsa_exception_int_div_zero 0
	.end_amdhsa_kernel
	.section	.text._ZN7rocprim17ROCPRIM_400000_NS6detail17trampoline_kernelINS0_14default_configENS1_22reduce_config_selectorIbEEZNS1_11reduce_implILb1ES3_N6hipcub16HIPCUB_304000_NS22TransformInputIteratorIb7NonZeroIaEPalEEPllNS8_6detail34convert_binary_result_type_wrapperINS8_3SumESD_lEEEE10hipError_tPvRmT1_T2_T3_mT4_P12ihipStream_tbEUlT_E0_NS1_11comp_targetILNS1_3genE5ELNS1_11target_archE942ELNS1_3gpuE9ELNS1_3repE0EEENS1_30default_config_static_selectorELNS0_4arch9wavefront6targetE1EEEvSM_,"axG",@progbits,_ZN7rocprim17ROCPRIM_400000_NS6detail17trampoline_kernelINS0_14default_configENS1_22reduce_config_selectorIbEEZNS1_11reduce_implILb1ES3_N6hipcub16HIPCUB_304000_NS22TransformInputIteratorIb7NonZeroIaEPalEEPllNS8_6detail34convert_binary_result_type_wrapperINS8_3SumESD_lEEEE10hipError_tPvRmT1_T2_T3_mT4_P12ihipStream_tbEUlT_E0_NS1_11comp_targetILNS1_3genE5ELNS1_11target_archE942ELNS1_3gpuE9ELNS1_3repE0EEENS1_30default_config_static_selectorELNS0_4arch9wavefront6targetE1EEEvSM_,comdat
.Lfunc_end19:
	.size	_ZN7rocprim17ROCPRIM_400000_NS6detail17trampoline_kernelINS0_14default_configENS1_22reduce_config_selectorIbEEZNS1_11reduce_implILb1ES3_N6hipcub16HIPCUB_304000_NS22TransformInputIteratorIb7NonZeroIaEPalEEPllNS8_6detail34convert_binary_result_type_wrapperINS8_3SumESD_lEEEE10hipError_tPvRmT1_T2_T3_mT4_P12ihipStream_tbEUlT_E0_NS1_11comp_targetILNS1_3genE5ELNS1_11target_archE942ELNS1_3gpuE9ELNS1_3repE0EEENS1_30default_config_static_selectorELNS0_4arch9wavefront6targetE1EEEvSM_, .Lfunc_end19-_ZN7rocprim17ROCPRIM_400000_NS6detail17trampoline_kernelINS0_14default_configENS1_22reduce_config_selectorIbEEZNS1_11reduce_implILb1ES3_N6hipcub16HIPCUB_304000_NS22TransformInputIteratorIb7NonZeroIaEPalEEPllNS8_6detail34convert_binary_result_type_wrapperINS8_3SumESD_lEEEE10hipError_tPvRmT1_T2_T3_mT4_P12ihipStream_tbEUlT_E0_NS1_11comp_targetILNS1_3genE5ELNS1_11target_archE942ELNS1_3gpuE9ELNS1_3repE0EEENS1_30default_config_static_selectorELNS0_4arch9wavefront6targetE1EEEvSM_
                                        ; -- End function
	.set _ZN7rocprim17ROCPRIM_400000_NS6detail17trampoline_kernelINS0_14default_configENS1_22reduce_config_selectorIbEEZNS1_11reduce_implILb1ES3_N6hipcub16HIPCUB_304000_NS22TransformInputIteratorIb7NonZeroIaEPalEEPllNS8_6detail34convert_binary_result_type_wrapperINS8_3SumESD_lEEEE10hipError_tPvRmT1_T2_T3_mT4_P12ihipStream_tbEUlT_E0_NS1_11comp_targetILNS1_3genE5ELNS1_11target_archE942ELNS1_3gpuE9ELNS1_3repE0EEENS1_30default_config_static_selectorELNS0_4arch9wavefront6targetE1EEEvSM_.num_vgpr, 0
	.set _ZN7rocprim17ROCPRIM_400000_NS6detail17trampoline_kernelINS0_14default_configENS1_22reduce_config_selectorIbEEZNS1_11reduce_implILb1ES3_N6hipcub16HIPCUB_304000_NS22TransformInputIteratorIb7NonZeroIaEPalEEPllNS8_6detail34convert_binary_result_type_wrapperINS8_3SumESD_lEEEE10hipError_tPvRmT1_T2_T3_mT4_P12ihipStream_tbEUlT_E0_NS1_11comp_targetILNS1_3genE5ELNS1_11target_archE942ELNS1_3gpuE9ELNS1_3repE0EEENS1_30default_config_static_selectorELNS0_4arch9wavefront6targetE1EEEvSM_.num_agpr, 0
	.set _ZN7rocprim17ROCPRIM_400000_NS6detail17trampoline_kernelINS0_14default_configENS1_22reduce_config_selectorIbEEZNS1_11reduce_implILb1ES3_N6hipcub16HIPCUB_304000_NS22TransformInputIteratorIb7NonZeroIaEPalEEPllNS8_6detail34convert_binary_result_type_wrapperINS8_3SumESD_lEEEE10hipError_tPvRmT1_T2_T3_mT4_P12ihipStream_tbEUlT_E0_NS1_11comp_targetILNS1_3genE5ELNS1_11target_archE942ELNS1_3gpuE9ELNS1_3repE0EEENS1_30default_config_static_selectorELNS0_4arch9wavefront6targetE1EEEvSM_.numbered_sgpr, 0
	.set _ZN7rocprim17ROCPRIM_400000_NS6detail17trampoline_kernelINS0_14default_configENS1_22reduce_config_selectorIbEEZNS1_11reduce_implILb1ES3_N6hipcub16HIPCUB_304000_NS22TransformInputIteratorIb7NonZeroIaEPalEEPllNS8_6detail34convert_binary_result_type_wrapperINS8_3SumESD_lEEEE10hipError_tPvRmT1_T2_T3_mT4_P12ihipStream_tbEUlT_E0_NS1_11comp_targetILNS1_3genE5ELNS1_11target_archE942ELNS1_3gpuE9ELNS1_3repE0EEENS1_30default_config_static_selectorELNS0_4arch9wavefront6targetE1EEEvSM_.num_named_barrier, 0
	.set _ZN7rocprim17ROCPRIM_400000_NS6detail17trampoline_kernelINS0_14default_configENS1_22reduce_config_selectorIbEEZNS1_11reduce_implILb1ES3_N6hipcub16HIPCUB_304000_NS22TransformInputIteratorIb7NonZeroIaEPalEEPllNS8_6detail34convert_binary_result_type_wrapperINS8_3SumESD_lEEEE10hipError_tPvRmT1_T2_T3_mT4_P12ihipStream_tbEUlT_E0_NS1_11comp_targetILNS1_3genE5ELNS1_11target_archE942ELNS1_3gpuE9ELNS1_3repE0EEENS1_30default_config_static_selectorELNS0_4arch9wavefront6targetE1EEEvSM_.private_seg_size, 0
	.set _ZN7rocprim17ROCPRIM_400000_NS6detail17trampoline_kernelINS0_14default_configENS1_22reduce_config_selectorIbEEZNS1_11reduce_implILb1ES3_N6hipcub16HIPCUB_304000_NS22TransformInputIteratorIb7NonZeroIaEPalEEPllNS8_6detail34convert_binary_result_type_wrapperINS8_3SumESD_lEEEE10hipError_tPvRmT1_T2_T3_mT4_P12ihipStream_tbEUlT_E0_NS1_11comp_targetILNS1_3genE5ELNS1_11target_archE942ELNS1_3gpuE9ELNS1_3repE0EEENS1_30default_config_static_selectorELNS0_4arch9wavefront6targetE1EEEvSM_.uses_vcc, 0
	.set _ZN7rocprim17ROCPRIM_400000_NS6detail17trampoline_kernelINS0_14default_configENS1_22reduce_config_selectorIbEEZNS1_11reduce_implILb1ES3_N6hipcub16HIPCUB_304000_NS22TransformInputIteratorIb7NonZeroIaEPalEEPllNS8_6detail34convert_binary_result_type_wrapperINS8_3SumESD_lEEEE10hipError_tPvRmT1_T2_T3_mT4_P12ihipStream_tbEUlT_E0_NS1_11comp_targetILNS1_3genE5ELNS1_11target_archE942ELNS1_3gpuE9ELNS1_3repE0EEENS1_30default_config_static_selectorELNS0_4arch9wavefront6targetE1EEEvSM_.uses_flat_scratch, 0
	.set _ZN7rocprim17ROCPRIM_400000_NS6detail17trampoline_kernelINS0_14default_configENS1_22reduce_config_selectorIbEEZNS1_11reduce_implILb1ES3_N6hipcub16HIPCUB_304000_NS22TransformInputIteratorIb7NonZeroIaEPalEEPllNS8_6detail34convert_binary_result_type_wrapperINS8_3SumESD_lEEEE10hipError_tPvRmT1_T2_T3_mT4_P12ihipStream_tbEUlT_E0_NS1_11comp_targetILNS1_3genE5ELNS1_11target_archE942ELNS1_3gpuE9ELNS1_3repE0EEENS1_30default_config_static_selectorELNS0_4arch9wavefront6targetE1EEEvSM_.has_dyn_sized_stack, 0
	.set _ZN7rocprim17ROCPRIM_400000_NS6detail17trampoline_kernelINS0_14default_configENS1_22reduce_config_selectorIbEEZNS1_11reduce_implILb1ES3_N6hipcub16HIPCUB_304000_NS22TransformInputIteratorIb7NonZeroIaEPalEEPllNS8_6detail34convert_binary_result_type_wrapperINS8_3SumESD_lEEEE10hipError_tPvRmT1_T2_T3_mT4_P12ihipStream_tbEUlT_E0_NS1_11comp_targetILNS1_3genE5ELNS1_11target_archE942ELNS1_3gpuE9ELNS1_3repE0EEENS1_30default_config_static_selectorELNS0_4arch9wavefront6targetE1EEEvSM_.has_recursion, 0
	.set _ZN7rocprim17ROCPRIM_400000_NS6detail17trampoline_kernelINS0_14default_configENS1_22reduce_config_selectorIbEEZNS1_11reduce_implILb1ES3_N6hipcub16HIPCUB_304000_NS22TransformInputIteratorIb7NonZeroIaEPalEEPllNS8_6detail34convert_binary_result_type_wrapperINS8_3SumESD_lEEEE10hipError_tPvRmT1_T2_T3_mT4_P12ihipStream_tbEUlT_E0_NS1_11comp_targetILNS1_3genE5ELNS1_11target_archE942ELNS1_3gpuE9ELNS1_3repE0EEENS1_30default_config_static_selectorELNS0_4arch9wavefront6targetE1EEEvSM_.has_indirect_call, 0
	.section	.AMDGPU.csdata,"",@progbits
; Kernel info:
; codeLenInByte = 0
; TotalNumSgprs: 6
; NumVgprs: 0
; NumAgprs: 0
; TotalNumVgprs: 0
; ScratchSize: 0
; MemoryBound: 0
; FloatMode: 240
; IeeeMode: 1
; LDSByteSize: 0 bytes/workgroup (compile time only)
; SGPRBlocks: 0
; VGPRBlocks: 0
; NumSGPRsForWavesPerEU: 6
; NumVGPRsForWavesPerEU: 1
; AccumOffset: 4
; Occupancy: 8
; WaveLimiterHint : 0
; COMPUTE_PGM_RSRC2:SCRATCH_EN: 0
; COMPUTE_PGM_RSRC2:USER_SGPR: 2
; COMPUTE_PGM_RSRC2:TRAP_HANDLER: 0
; COMPUTE_PGM_RSRC2:TGID_X_EN: 1
; COMPUTE_PGM_RSRC2:TGID_Y_EN: 0
; COMPUTE_PGM_RSRC2:TGID_Z_EN: 0
; COMPUTE_PGM_RSRC2:TIDIG_COMP_CNT: 0
; COMPUTE_PGM_RSRC3_GFX90A:ACCUM_OFFSET: 0
; COMPUTE_PGM_RSRC3_GFX90A:TG_SPLIT: 0
	.section	.text._ZN7rocprim17ROCPRIM_400000_NS6detail17trampoline_kernelINS0_14default_configENS1_22reduce_config_selectorIbEEZNS1_11reduce_implILb1ES3_N6hipcub16HIPCUB_304000_NS22TransformInputIteratorIb7NonZeroIaEPalEEPllNS8_6detail34convert_binary_result_type_wrapperINS8_3SumESD_lEEEE10hipError_tPvRmT1_T2_T3_mT4_P12ihipStream_tbEUlT_E0_NS1_11comp_targetILNS1_3genE4ELNS1_11target_archE910ELNS1_3gpuE8ELNS1_3repE0EEENS1_30default_config_static_selectorELNS0_4arch9wavefront6targetE1EEEvSM_,"axG",@progbits,_ZN7rocprim17ROCPRIM_400000_NS6detail17trampoline_kernelINS0_14default_configENS1_22reduce_config_selectorIbEEZNS1_11reduce_implILb1ES3_N6hipcub16HIPCUB_304000_NS22TransformInputIteratorIb7NonZeroIaEPalEEPllNS8_6detail34convert_binary_result_type_wrapperINS8_3SumESD_lEEEE10hipError_tPvRmT1_T2_T3_mT4_P12ihipStream_tbEUlT_E0_NS1_11comp_targetILNS1_3genE4ELNS1_11target_archE910ELNS1_3gpuE8ELNS1_3repE0EEENS1_30default_config_static_selectorELNS0_4arch9wavefront6targetE1EEEvSM_,comdat
	.protected	_ZN7rocprim17ROCPRIM_400000_NS6detail17trampoline_kernelINS0_14default_configENS1_22reduce_config_selectorIbEEZNS1_11reduce_implILb1ES3_N6hipcub16HIPCUB_304000_NS22TransformInputIteratorIb7NonZeroIaEPalEEPllNS8_6detail34convert_binary_result_type_wrapperINS8_3SumESD_lEEEE10hipError_tPvRmT1_T2_T3_mT4_P12ihipStream_tbEUlT_E0_NS1_11comp_targetILNS1_3genE4ELNS1_11target_archE910ELNS1_3gpuE8ELNS1_3repE0EEENS1_30default_config_static_selectorELNS0_4arch9wavefront6targetE1EEEvSM_ ; -- Begin function _ZN7rocprim17ROCPRIM_400000_NS6detail17trampoline_kernelINS0_14default_configENS1_22reduce_config_selectorIbEEZNS1_11reduce_implILb1ES3_N6hipcub16HIPCUB_304000_NS22TransformInputIteratorIb7NonZeroIaEPalEEPllNS8_6detail34convert_binary_result_type_wrapperINS8_3SumESD_lEEEE10hipError_tPvRmT1_T2_T3_mT4_P12ihipStream_tbEUlT_E0_NS1_11comp_targetILNS1_3genE4ELNS1_11target_archE910ELNS1_3gpuE8ELNS1_3repE0EEENS1_30default_config_static_selectorELNS0_4arch9wavefront6targetE1EEEvSM_
	.globl	_ZN7rocprim17ROCPRIM_400000_NS6detail17trampoline_kernelINS0_14default_configENS1_22reduce_config_selectorIbEEZNS1_11reduce_implILb1ES3_N6hipcub16HIPCUB_304000_NS22TransformInputIteratorIb7NonZeroIaEPalEEPllNS8_6detail34convert_binary_result_type_wrapperINS8_3SumESD_lEEEE10hipError_tPvRmT1_T2_T3_mT4_P12ihipStream_tbEUlT_E0_NS1_11comp_targetILNS1_3genE4ELNS1_11target_archE910ELNS1_3gpuE8ELNS1_3repE0EEENS1_30default_config_static_selectorELNS0_4arch9wavefront6targetE1EEEvSM_
	.p2align	8
	.type	_ZN7rocprim17ROCPRIM_400000_NS6detail17trampoline_kernelINS0_14default_configENS1_22reduce_config_selectorIbEEZNS1_11reduce_implILb1ES3_N6hipcub16HIPCUB_304000_NS22TransformInputIteratorIb7NonZeroIaEPalEEPllNS8_6detail34convert_binary_result_type_wrapperINS8_3SumESD_lEEEE10hipError_tPvRmT1_T2_T3_mT4_P12ihipStream_tbEUlT_E0_NS1_11comp_targetILNS1_3genE4ELNS1_11target_archE910ELNS1_3gpuE8ELNS1_3repE0EEENS1_30default_config_static_selectorELNS0_4arch9wavefront6targetE1EEEvSM_,@function
_ZN7rocprim17ROCPRIM_400000_NS6detail17trampoline_kernelINS0_14default_configENS1_22reduce_config_selectorIbEEZNS1_11reduce_implILb1ES3_N6hipcub16HIPCUB_304000_NS22TransformInputIteratorIb7NonZeroIaEPalEEPllNS8_6detail34convert_binary_result_type_wrapperINS8_3SumESD_lEEEE10hipError_tPvRmT1_T2_T3_mT4_P12ihipStream_tbEUlT_E0_NS1_11comp_targetILNS1_3genE4ELNS1_11target_archE910ELNS1_3gpuE8ELNS1_3repE0EEENS1_30default_config_static_selectorELNS0_4arch9wavefront6targetE1EEEvSM_: ; @_ZN7rocprim17ROCPRIM_400000_NS6detail17trampoline_kernelINS0_14default_configENS1_22reduce_config_selectorIbEEZNS1_11reduce_implILb1ES3_N6hipcub16HIPCUB_304000_NS22TransformInputIteratorIb7NonZeroIaEPalEEPllNS8_6detail34convert_binary_result_type_wrapperINS8_3SumESD_lEEEE10hipError_tPvRmT1_T2_T3_mT4_P12ihipStream_tbEUlT_E0_NS1_11comp_targetILNS1_3genE4ELNS1_11target_archE910ELNS1_3gpuE8ELNS1_3repE0EEENS1_30default_config_static_selectorELNS0_4arch9wavefront6targetE1EEEvSM_
; %bb.0:
	.section	.rodata,"a",@progbits
	.p2align	6, 0x0
	.amdhsa_kernel _ZN7rocprim17ROCPRIM_400000_NS6detail17trampoline_kernelINS0_14default_configENS1_22reduce_config_selectorIbEEZNS1_11reduce_implILb1ES3_N6hipcub16HIPCUB_304000_NS22TransformInputIteratorIb7NonZeroIaEPalEEPllNS8_6detail34convert_binary_result_type_wrapperINS8_3SumESD_lEEEE10hipError_tPvRmT1_T2_T3_mT4_P12ihipStream_tbEUlT_E0_NS1_11comp_targetILNS1_3genE4ELNS1_11target_archE910ELNS1_3gpuE8ELNS1_3repE0EEENS1_30default_config_static_selectorELNS0_4arch9wavefront6targetE1EEEvSM_
		.amdhsa_group_segment_fixed_size 0
		.amdhsa_private_segment_fixed_size 0
		.amdhsa_kernarg_size 72
		.amdhsa_user_sgpr_count 2
		.amdhsa_user_sgpr_dispatch_ptr 0
		.amdhsa_user_sgpr_queue_ptr 0
		.amdhsa_user_sgpr_kernarg_segment_ptr 1
		.amdhsa_user_sgpr_dispatch_id 0
		.amdhsa_user_sgpr_kernarg_preload_length 0
		.amdhsa_user_sgpr_kernarg_preload_offset 0
		.amdhsa_user_sgpr_private_segment_size 0
		.amdhsa_uses_dynamic_stack 0
		.amdhsa_enable_private_segment 0
		.amdhsa_system_sgpr_workgroup_id_x 1
		.amdhsa_system_sgpr_workgroup_id_y 0
		.amdhsa_system_sgpr_workgroup_id_z 0
		.amdhsa_system_sgpr_workgroup_info 0
		.amdhsa_system_vgpr_workitem_id 0
		.amdhsa_next_free_vgpr 1
		.amdhsa_next_free_sgpr 0
		.amdhsa_accum_offset 4
		.amdhsa_reserve_vcc 0
		.amdhsa_float_round_mode_32 0
		.amdhsa_float_round_mode_16_64 0
		.amdhsa_float_denorm_mode_32 3
		.amdhsa_float_denorm_mode_16_64 3
		.amdhsa_dx10_clamp 1
		.amdhsa_ieee_mode 1
		.amdhsa_fp16_overflow 0
		.amdhsa_tg_split 0
		.amdhsa_exception_fp_ieee_invalid_op 0
		.amdhsa_exception_fp_denorm_src 0
		.amdhsa_exception_fp_ieee_div_zero 0
		.amdhsa_exception_fp_ieee_overflow 0
		.amdhsa_exception_fp_ieee_underflow 0
		.amdhsa_exception_fp_ieee_inexact 0
		.amdhsa_exception_int_div_zero 0
	.end_amdhsa_kernel
	.section	.text._ZN7rocprim17ROCPRIM_400000_NS6detail17trampoline_kernelINS0_14default_configENS1_22reduce_config_selectorIbEEZNS1_11reduce_implILb1ES3_N6hipcub16HIPCUB_304000_NS22TransformInputIteratorIb7NonZeroIaEPalEEPllNS8_6detail34convert_binary_result_type_wrapperINS8_3SumESD_lEEEE10hipError_tPvRmT1_T2_T3_mT4_P12ihipStream_tbEUlT_E0_NS1_11comp_targetILNS1_3genE4ELNS1_11target_archE910ELNS1_3gpuE8ELNS1_3repE0EEENS1_30default_config_static_selectorELNS0_4arch9wavefront6targetE1EEEvSM_,"axG",@progbits,_ZN7rocprim17ROCPRIM_400000_NS6detail17trampoline_kernelINS0_14default_configENS1_22reduce_config_selectorIbEEZNS1_11reduce_implILb1ES3_N6hipcub16HIPCUB_304000_NS22TransformInputIteratorIb7NonZeroIaEPalEEPllNS8_6detail34convert_binary_result_type_wrapperINS8_3SumESD_lEEEE10hipError_tPvRmT1_T2_T3_mT4_P12ihipStream_tbEUlT_E0_NS1_11comp_targetILNS1_3genE4ELNS1_11target_archE910ELNS1_3gpuE8ELNS1_3repE0EEENS1_30default_config_static_selectorELNS0_4arch9wavefront6targetE1EEEvSM_,comdat
.Lfunc_end20:
	.size	_ZN7rocprim17ROCPRIM_400000_NS6detail17trampoline_kernelINS0_14default_configENS1_22reduce_config_selectorIbEEZNS1_11reduce_implILb1ES3_N6hipcub16HIPCUB_304000_NS22TransformInputIteratorIb7NonZeroIaEPalEEPllNS8_6detail34convert_binary_result_type_wrapperINS8_3SumESD_lEEEE10hipError_tPvRmT1_T2_T3_mT4_P12ihipStream_tbEUlT_E0_NS1_11comp_targetILNS1_3genE4ELNS1_11target_archE910ELNS1_3gpuE8ELNS1_3repE0EEENS1_30default_config_static_selectorELNS0_4arch9wavefront6targetE1EEEvSM_, .Lfunc_end20-_ZN7rocprim17ROCPRIM_400000_NS6detail17trampoline_kernelINS0_14default_configENS1_22reduce_config_selectorIbEEZNS1_11reduce_implILb1ES3_N6hipcub16HIPCUB_304000_NS22TransformInputIteratorIb7NonZeroIaEPalEEPllNS8_6detail34convert_binary_result_type_wrapperINS8_3SumESD_lEEEE10hipError_tPvRmT1_T2_T3_mT4_P12ihipStream_tbEUlT_E0_NS1_11comp_targetILNS1_3genE4ELNS1_11target_archE910ELNS1_3gpuE8ELNS1_3repE0EEENS1_30default_config_static_selectorELNS0_4arch9wavefront6targetE1EEEvSM_
                                        ; -- End function
	.set _ZN7rocprim17ROCPRIM_400000_NS6detail17trampoline_kernelINS0_14default_configENS1_22reduce_config_selectorIbEEZNS1_11reduce_implILb1ES3_N6hipcub16HIPCUB_304000_NS22TransformInputIteratorIb7NonZeroIaEPalEEPllNS8_6detail34convert_binary_result_type_wrapperINS8_3SumESD_lEEEE10hipError_tPvRmT1_T2_T3_mT4_P12ihipStream_tbEUlT_E0_NS1_11comp_targetILNS1_3genE4ELNS1_11target_archE910ELNS1_3gpuE8ELNS1_3repE0EEENS1_30default_config_static_selectorELNS0_4arch9wavefront6targetE1EEEvSM_.num_vgpr, 0
	.set _ZN7rocprim17ROCPRIM_400000_NS6detail17trampoline_kernelINS0_14default_configENS1_22reduce_config_selectorIbEEZNS1_11reduce_implILb1ES3_N6hipcub16HIPCUB_304000_NS22TransformInputIteratorIb7NonZeroIaEPalEEPllNS8_6detail34convert_binary_result_type_wrapperINS8_3SumESD_lEEEE10hipError_tPvRmT1_T2_T3_mT4_P12ihipStream_tbEUlT_E0_NS1_11comp_targetILNS1_3genE4ELNS1_11target_archE910ELNS1_3gpuE8ELNS1_3repE0EEENS1_30default_config_static_selectorELNS0_4arch9wavefront6targetE1EEEvSM_.num_agpr, 0
	.set _ZN7rocprim17ROCPRIM_400000_NS6detail17trampoline_kernelINS0_14default_configENS1_22reduce_config_selectorIbEEZNS1_11reduce_implILb1ES3_N6hipcub16HIPCUB_304000_NS22TransformInputIteratorIb7NonZeroIaEPalEEPllNS8_6detail34convert_binary_result_type_wrapperINS8_3SumESD_lEEEE10hipError_tPvRmT1_T2_T3_mT4_P12ihipStream_tbEUlT_E0_NS1_11comp_targetILNS1_3genE4ELNS1_11target_archE910ELNS1_3gpuE8ELNS1_3repE0EEENS1_30default_config_static_selectorELNS0_4arch9wavefront6targetE1EEEvSM_.numbered_sgpr, 0
	.set _ZN7rocprim17ROCPRIM_400000_NS6detail17trampoline_kernelINS0_14default_configENS1_22reduce_config_selectorIbEEZNS1_11reduce_implILb1ES3_N6hipcub16HIPCUB_304000_NS22TransformInputIteratorIb7NonZeroIaEPalEEPllNS8_6detail34convert_binary_result_type_wrapperINS8_3SumESD_lEEEE10hipError_tPvRmT1_T2_T3_mT4_P12ihipStream_tbEUlT_E0_NS1_11comp_targetILNS1_3genE4ELNS1_11target_archE910ELNS1_3gpuE8ELNS1_3repE0EEENS1_30default_config_static_selectorELNS0_4arch9wavefront6targetE1EEEvSM_.num_named_barrier, 0
	.set _ZN7rocprim17ROCPRIM_400000_NS6detail17trampoline_kernelINS0_14default_configENS1_22reduce_config_selectorIbEEZNS1_11reduce_implILb1ES3_N6hipcub16HIPCUB_304000_NS22TransformInputIteratorIb7NonZeroIaEPalEEPllNS8_6detail34convert_binary_result_type_wrapperINS8_3SumESD_lEEEE10hipError_tPvRmT1_T2_T3_mT4_P12ihipStream_tbEUlT_E0_NS1_11comp_targetILNS1_3genE4ELNS1_11target_archE910ELNS1_3gpuE8ELNS1_3repE0EEENS1_30default_config_static_selectorELNS0_4arch9wavefront6targetE1EEEvSM_.private_seg_size, 0
	.set _ZN7rocprim17ROCPRIM_400000_NS6detail17trampoline_kernelINS0_14default_configENS1_22reduce_config_selectorIbEEZNS1_11reduce_implILb1ES3_N6hipcub16HIPCUB_304000_NS22TransformInputIteratorIb7NonZeroIaEPalEEPllNS8_6detail34convert_binary_result_type_wrapperINS8_3SumESD_lEEEE10hipError_tPvRmT1_T2_T3_mT4_P12ihipStream_tbEUlT_E0_NS1_11comp_targetILNS1_3genE4ELNS1_11target_archE910ELNS1_3gpuE8ELNS1_3repE0EEENS1_30default_config_static_selectorELNS0_4arch9wavefront6targetE1EEEvSM_.uses_vcc, 0
	.set _ZN7rocprim17ROCPRIM_400000_NS6detail17trampoline_kernelINS0_14default_configENS1_22reduce_config_selectorIbEEZNS1_11reduce_implILb1ES3_N6hipcub16HIPCUB_304000_NS22TransformInputIteratorIb7NonZeroIaEPalEEPllNS8_6detail34convert_binary_result_type_wrapperINS8_3SumESD_lEEEE10hipError_tPvRmT1_T2_T3_mT4_P12ihipStream_tbEUlT_E0_NS1_11comp_targetILNS1_3genE4ELNS1_11target_archE910ELNS1_3gpuE8ELNS1_3repE0EEENS1_30default_config_static_selectorELNS0_4arch9wavefront6targetE1EEEvSM_.uses_flat_scratch, 0
	.set _ZN7rocprim17ROCPRIM_400000_NS6detail17trampoline_kernelINS0_14default_configENS1_22reduce_config_selectorIbEEZNS1_11reduce_implILb1ES3_N6hipcub16HIPCUB_304000_NS22TransformInputIteratorIb7NonZeroIaEPalEEPllNS8_6detail34convert_binary_result_type_wrapperINS8_3SumESD_lEEEE10hipError_tPvRmT1_T2_T3_mT4_P12ihipStream_tbEUlT_E0_NS1_11comp_targetILNS1_3genE4ELNS1_11target_archE910ELNS1_3gpuE8ELNS1_3repE0EEENS1_30default_config_static_selectorELNS0_4arch9wavefront6targetE1EEEvSM_.has_dyn_sized_stack, 0
	.set _ZN7rocprim17ROCPRIM_400000_NS6detail17trampoline_kernelINS0_14default_configENS1_22reduce_config_selectorIbEEZNS1_11reduce_implILb1ES3_N6hipcub16HIPCUB_304000_NS22TransformInputIteratorIb7NonZeroIaEPalEEPllNS8_6detail34convert_binary_result_type_wrapperINS8_3SumESD_lEEEE10hipError_tPvRmT1_T2_T3_mT4_P12ihipStream_tbEUlT_E0_NS1_11comp_targetILNS1_3genE4ELNS1_11target_archE910ELNS1_3gpuE8ELNS1_3repE0EEENS1_30default_config_static_selectorELNS0_4arch9wavefront6targetE1EEEvSM_.has_recursion, 0
	.set _ZN7rocprim17ROCPRIM_400000_NS6detail17trampoline_kernelINS0_14default_configENS1_22reduce_config_selectorIbEEZNS1_11reduce_implILb1ES3_N6hipcub16HIPCUB_304000_NS22TransformInputIteratorIb7NonZeroIaEPalEEPllNS8_6detail34convert_binary_result_type_wrapperINS8_3SumESD_lEEEE10hipError_tPvRmT1_T2_T3_mT4_P12ihipStream_tbEUlT_E0_NS1_11comp_targetILNS1_3genE4ELNS1_11target_archE910ELNS1_3gpuE8ELNS1_3repE0EEENS1_30default_config_static_selectorELNS0_4arch9wavefront6targetE1EEEvSM_.has_indirect_call, 0
	.section	.AMDGPU.csdata,"",@progbits
; Kernel info:
; codeLenInByte = 0
; TotalNumSgprs: 6
; NumVgprs: 0
; NumAgprs: 0
; TotalNumVgprs: 0
; ScratchSize: 0
; MemoryBound: 0
; FloatMode: 240
; IeeeMode: 1
; LDSByteSize: 0 bytes/workgroup (compile time only)
; SGPRBlocks: 0
; VGPRBlocks: 0
; NumSGPRsForWavesPerEU: 6
; NumVGPRsForWavesPerEU: 1
; AccumOffset: 4
; Occupancy: 8
; WaveLimiterHint : 0
; COMPUTE_PGM_RSRC2:SCRATCH_EN: 0
; COMPUTE_PGM_RSRC2:USER_SGPR: 2
; COMPUTE_PGM_RSRC2:TRAP_HANDLER: 0
; COMPUTE_PGM_RSRC2:TGID_X_EN: 1
; COMPUTE_PGM_RSRC2:TGID_Y_EN: 0
; COMPUTE_PGM_RSRC2:TGID_Z_EN: 0
; COMPUTE_PGM_RSRC2:TIDIG_COMP_CNT: 0
; COMPUTE_PGM_RSRC3_GFX90A:ACCUM_OFFSET: 0
; COMPUTE_PGM_RSRC3_GFX90A:TG_SPLIT: 0
	.section	.text._ZN7rocprim17ROCPRIM_400000_NS6detail17trampoline_kernelINS0_14default_configENS1_22reduce_config_selectorIbEEZNS1_11reduce_implILb1ES3_N6hipcub16HIPCUB_304000_NS22TransformInputIteratorIb7NonZeroIaEPalEEPllNS8_6detail34convert_binary_result_type_wrapperINS8_3SumESD_lEEEE10hipError_tPvRmT1_T2_T3_mT4_P12ihipStream_tbEUlT_E0_NS1_11comp_targetILNS1_3genE3ELNS1_11target_archE908ELNS1_3gpuE7ELNS1_3repE0EEENS1_30default_config_static_selectorELNS0_4arch9wavefront6targetE1EEEvSM_,"axG",@progbits,_ZN7rocprim17ROCPRIM_400000_NS6detail17trampoline_kernelINS0_14default_configENS1_22reduce_config_selectorIbEEZNS1_11reduce_implILb1ES3_N6hipcub16HIPCUB_304000_NS22TransformInputIteratorIb7NonZeroIaEPalEEPllNS8_6detail34convert_binary_result_type_wrapperINS8_3SumESD_lEEEE10hipError_tPvRmT1_T2_T3_mT4_P12ihipStream_tbEUlT_E0_NS1_11comp_targetILNS1_3genE3ELNS1_11target_archE908ELNS1_3gpuE7ELNS1_3repE0EEENS1_30default_config_static_selectorELNS0_4arch9wavefront6targetE1EEEvSM_,comdat
	.protected	_ZN7rocprim17ROCPRIM_400000_NS6detail17trampoline_kernelINS0_14default_configENS1_22reduce_config_selectorIbEEZNS1_11reduce_implILb1ES3_N6hipcub16HIPCUB_304000_NS22TransformInputIteratorIb7NonZeroIaEPalEEPllNS8_6detail34convert_binary_result_type_wrapperINS8_3SumESD_lEEEE10hipError_tPvRmT1_T2_T3_mT4_P12ihipStream_tbEUlT_E0_NS1_11comp_targetILNS1_3genE3ELNS1_11target_archE908ELNS1_3gpuE7ELNS1_3repE0EEENS1_30default_config_static_selectorELNS0_4arch9wavefront6targetE1EEEvSM_ ; -- Begin function _ZN7rocprim17ROCPRIM_400000_NS6detail17trampoline_kernelINS0_14default_configENS1_22reduce_config_selectorIbEEZNS1_11reduce_implILb1ES3_N6hipcub16HIPCUB_304000_NS22TransformInputIteratorIb7NonZeroIaEPalEEPllNS8_6detail34convert_binary_result_type_wrapperINS8_3SumESD_lEEEE10hipError_tPvRmT1_T2_T3_mT4_P12ihipStream_tbEUlT_E0_NS1_11comp_targetILNS1_3genE3ELNS1_11target_archE908ELNS1_3gpuE7ELNS1_3repE0EEENS1_30default_config_static_selectorELNS0_4arch9wavefront6targetE1EEEvSM_
	.globl	_ZN7rocprim17ROCPRIM_400000_NS6detail17trampoline_kernelINS0_14default_configENS1_22reduce_config_selectorIbEEZNS1_11reduce_implILb1ES3_N6hipcub16HIPCUB_304000_NS22TransformInputIteratorIb7NonZeroIaEPalEEPllNS8_6detail34convert_binary_result_type_wrapperINS8_3SumESD_lEEEE10hipError_tPvRmT1_T2_T3_mT4_P12ihipStream_tbEUlT_E0_NS1_11comp_targetILNS1_3genE3ELNS1_11target_archE908ELNS1_3gpuE7ELNS1_3repE0EEENS1_30default_config_static_selectorELNS0_4arch9wavefront6targetE1EEEvSM_
	.p2align	8
	.type	_ZN7rocprim17ROCPRIM_400000_NS6detail17trampoline_kernelINS0_14default_configENS1_22reduce_config_selectorIbEEZNS1_11reduce_implILb1ES3_N6hipcub16HIPCUB_304000_NS22TransformInputIteratorIb7NonZeroIaEPalEEPllNS8_6detail34convert_binary_result_type_wrapperINS8_3SumESD_lEEEE10hipError_tPvRmT1_T2_T3_mT4_P12ihipStream_tbEUlT_E0_NS1_11comp_targetILNS1_3genE3ELNS1_11target_archE908ELNS1_3gpuE7ELNS1_3repE0EEENS1_30default_config_static_selectorELNS0_4arch9wavefront6targetE1EEEvSM_,@function
_ZN7rocprim17ROCPRIM_400000_NS6detail17trampoline_kernelINS0_14default_configENS1_22reduce_config_selectorIbEEZNS1_11reduce_implILb1ES3_N6hipcub16HIPCUB_304000_NS22TransformInputIteratorIb7NonZeroIaEPalEEPllNS8_6detail34convert_binary_result_type_wrapperINS8_3SumESD_lEEEE10hipError_tPvRmT1_T2_T3_mT4_P12ihipStream_tbEUlT_E0_NS1_11comp_targetILNS1_3genE3ELNS1_11target_archE908ELNS1_3gpuE7ELNS1_3repE0EEENS1_30default_config_static_selectorELNS0_4arch9wavefront6targetE1EEEvSM_: ; @_ZN7rocprim17ROCPRIM_400000_NS6detail17trampoline_kernelINS0_14default_configENS1_22reduce_config_selectorIbEEZNS1_11reduce_implILb1ES3_N6hipcub16HIPCUB_304000_NS22TransformInputIteratorIb7NonZeroIaEPalEEPllNS8_6detail34convert_binary_result_type_wrapperINS8_3SumESD_lEEEE10hipError_tPvRmT1_T2_T3_mT4_P12ihipStream_tbEUlT_E0_NS1_11comp_targetILNS1_3genE3ELNS1_11target_archE908ELNS1_3gpuE7ELNS1_3repE0EEENS1_30default_config_static_selectorELNS0_4arch9wavefront6targetE1EEEvSM_
; %bb.0:
	.section	.rodata,"a",@progbits
	.p2align	6, 0x0
	.amdhsa_kernel _ZN7rocprim17ROCPRIM_400000_NS6detail17trampoline_kernelINS0_14default_configENS1_22reduce_config_selectorIbEEZNS1_11reduce_implILb1ES3_N6hipcub16HIPCUB_304000_NS22TransformInputIteratorIb7NonZeroIaEPalEEPllNS8_6detail34convert_binary_result_type_wrapperINS8_3SumESD_lEEEE10hipError_tPvRmT1_T2_T3_mT4_P12ihipStream_tbEUlT_E0_NS1_11comp_targetILNS1_3genE3ELNS1_11target_archE908ELNS1_3gpuE7ELNS1_3repE0EEENS1_30default_config_static_selectorELNS0_4arch9wavefront6targetE1EEEvSM_
		.amdhsa_group_segment_fixed_size 0
		.amdhsa_private_segment_fixed_size 0
		.amdhsa_kernarg_size 72
		.amdhsa_user_sgpr_count 2
		.amdhsa_user_sgpr_dispatch_ptr 0
		.amdhsa_user_sgpr_queue_ptr 0
		.amdhsa_user_sgpr_kernarg_segment_ptr 1
		.amdhsa_user_sgpr_dispatch_id 0
		.amdhsa_user_sgpr_kernarg_preload_length 0
		.amdhsa_user_sgpr_kernarg_preload_offset 0
		.amdhsa_user_sgpr_private_segment_size 0
		.amdhsa_uses_dynamic_stack 0
		.amdhsa_enable_private_segment 0
		.amdhsa_system_sgpr_workgroup_id_x 1
		.amdhsa_system_sgpr_workgroup_id_y 0
		.amdhsa_system_sgpr_workgroup_id_z 0
		.amdhsa_system_sgpr_workgroup_info 0
		.amdhsa_system_vgpr_workitem_id 0
		.amdhsa_next_free_vgpr 1
		.amdhsa_next_free_sgpr 0
		.amdhsa_accum_offset 4
		.amdhsa_reserve_vcc 0
		.amdhsa_float_round_mode_32 0
		.amdhsa_float_round_mode_16_64 0
		.amdhsa_float_denorm_mode_32 3
		.amdhsa_float_denorm_mode_16_64 3
		.amdhsa_dx10_clamp 1
		.amdhsa_ieee_mode 1
		.amdhsa_fp16_overflow 0
		.amdhsa_tg_split 0
		.amdhsa_exception_fp_ieee_invalid_op 0
		.amdhsa_exception_fp_denorm_src 0
		.amdhsa_exception_fp_ieee_div_zero 0
		.amdhsa_exception_fp_ieee_overflow 0
		.amdhsa_exception_fp_ieee_underflow 0
		.amdhsa_exception_fp_ieee_inexact 0
		.amdhsa_exception_int_div_zero 0
	.end_amdhsa_kernel
	.section	.text._ZN7rocprim17ROCPRIM_400000_NS6detail17trampoline_kernelINS0_14default_configENS1_22reduce_config_selectorIbEEZNS1_11reduce_implILb1ES3_N6hipcub16HIPCUB_304000_NS22TransformInputIteratorIb7NonZeroIaEPalEEPllNS8_6detail34convert_binary_result_type_wrapperINS8_3SumESD_lEEEE10hipError_tPvRmT1_T2_T3_mT4_P12ihipStream_tbEUlT_E0_NS1_11comp_targetILNS1_3genE3ELNS1_11target_archE908ELNS1_3gpuE7ELNS1_3repE0EEENS1_30default_config_static_selectorELNS0_4arch9wavefront6targetE1EEEvSM_,"axG",@progbits,_ZN7rocprim17ROCPRIM_400000_NS6detail17trampoline_kernelINS0_14default_configENS1_22reduce_config_selectorIbEEZNS1_11reduce_implILb1ES3_N6hipcub16HIPCUB_304000_NS22TransformInputIteratorIb7NonZeroIaEPalEEPllNS8_6detail34convert_binary_result_type_wrapperINS8_3SumESD_lEEEE10hipError_tPvRmT1_T2_T3_mT4_P12ihipStream_tbEUlT_E0_NS1_11comp_targetILNS1_3genE3ELNS1_11target_archE908ELNS1_3gpuE7ELNS1_3repE0EEENS1_30default_config_static_selectorELNS0_4arch9wavefront6targetE1EEEvSM_,comdat
.Lfunc_end21:
	.size	_ZN7rocprim17ROCPRIM_400000_NS6detail17trampoline_kernelINS0_14default_configENS1_22reduce_config_selectorIbEEZNS1_11reduce_implILb1ES3_N6hipcub16HIPCUB_304000_NS22TransformInputIteratorIb7NonZeroIaEPalEEPllNS8_6detail34convert_binary_result_type_wrapperINS8_3SumESD_lEEEE10hipError_tPvRmT1_T2_T3_mT4_P12ihipStream_tbEUlT_E0_NS1_11comp_targetILNS1_3genE3ELNS1_11target_archE908ELNS1_3gpuE7ELNS1_3repE0EEENS1_30default_config_static_selectorELNS0_4arch9wavefront6targetE1EEEvSM_, .Lfunc_end21-_ZN7rocprim17ROCPRIM_400000_NS6detail17trampoline_kernelINS0_14default_configENS1_22reduce_config_selectorIbEEZNS1_11reduce_implILb1ES3_N6hipcub16HIPCUB_304000_NS22TransformInputIteratorIb7NonZeroIaEPalEEPllNS8_6detail34convert_binary_result_type_wrapperINS8_3SumESD_lEEEE10hipError_tPvRmT1_T2_T3_mT4_P12ihipStream_tbEUlT_E0_NS1_11comp_targetILNS1_3genE3ELNS1_11target_archE908ELNS1_3gpuE7ELNS1_3repE0EEENS1_30default_config_static_selectorELNS0_4arch9wavefront6targetE1EEEvSM_
                                        ; -- End function
	.set _ZN7rocprim17ROCPRIM_400000_NS6detail17trampoline_kernelINS0_14default_configENS1_22reduce_config_selectorIbEEZNS1_11reduce_implILb1ES3_N6hipcub16HIPCUB_304000_NS22TransformInputIteratorIb7NonZeroIaEPalEEPllNS8_6detail34convert_binary_result_type_wrapperINS8_3SumESD_lEEEE10hipError_tPvRmT1_T2_T3_mT4_P12ihipStream_tbEUlT_E0_NS1_11comp_targetILNS1_3genE3ELNS1_11target_archE908ELNS1_3gpuE7ELNS1_3repE0EEENS1_30default_config_static_selectorELNS0_4arch9wavefront6targetE1EEEvSM_.num_vgpr, 0
	.set _ZN7rocprim17ROCPRIM_400000_NS6detail17trampoline_kernelINS0_14default_configENS1_22reduce_config_selectorIbEEZNS1_11reduce_implILb1ES3_N6hipcub16HIPCUB_304000_NS22TransformInputIteratorIb7NonZeroIaEPalEEPllNS8_6detail34convert_binary_result_type_wrapperINS8_3SumESD_lEEEE10hipError_tPvRmT1_T2_T3_mT4_P12ihipStream_tbEUlT_E0_NS1_11comp_targetILNS1_3genE3ELNS1_11target_archE908ELNS1_3gpuE7ELNS1_3repE0EEENS1_30default_config_static_selectorELNS0_4arch9wavefront6targetE1EEEvSM_.num_agpr, 0
	.set _ZN7rocprim17ROCPRIM_400000_NS6detail17trampoline_kernelINS0_14default_configENS1_22reduce_config_selectorIbEEZNS1_11reduce_implILb1ES3_N6hipcub16HIPCUB_304000_NS22TransformInputIteratorIb7NonZeroIaEPalEEPllNS8_6detail34convert_binary_result_type_wrapperINS8_3SumESD_lEEEE10hipError_tPvRmT1_T2_T3_mT4_P12ihipStream_tbEUlT_E0_NS1_11comp_targetILNS1_3genE3ELNS1_11target_archE908ELNS1_3gpuE7ELNS1_3repE0EEENS1_30default_config_static_selectorELNS0_4arch9wavefront6targetE1EEEvSM_.numbered_sgpr, 0
	.set _ZN7rocprim17ROCPRIM_400000_NS6detail17trampoline_kernelINS0_14default_configENS1_22reduce_config_selectorIbEEZNS1_11reduce_implILb1ES3_N6hipcub16HIPCUB_304000_NS22TransformInputIteratorIb7NonZeroIaEPalEEPllNS8_6detail34convert_binary_result_type_wrapperINS8_3SumESD_lEEEE10hipError_tPvRmT1_T2_T3_mT4_P12ihipStream_tbEUlT_E0_NS1_11comp_targetILNS1_3genE3ELNS1_11target_archE908ELNS1_3gpuE7ELNS1_3repE0EEENS1_30default_config_static_selectorELNS0_4arch9wavefront6targetE1EEEvSM_.num_named_barrier, 0
	.set _ZN7rocprim17ROCPRIM_400000_NS6detail17trampoline_kernelINS0_14default_configENS1_22reduce_config_selectorIbEEZNS1_11reduce_implILb1ES3_N6hipcub16HIPCUB_304000_NS22TransformInputIteratorIb7NonZeroIaEPalEEPllNS8_6detail34convert_binary_result_type_wrapperINS8_3SumESD_lEEEE10hipError_tPvRmT1_T2_T3_mT4_P12ihipStream_tbEUlT_E0_NS1_11comp_targetILNS1_3genE3ELNS1_11target_archE908ELNS1_3gpuE7ELNS1_3repE0EEENS1_30default_config_static_selectorELNS0_4arch9wavefront6targetE1EEEvSM_.private_seg_size, 0
	.set _ZN7rocprim17ROCPRIM_400000_NS6detail17trampoline_kernelINS0_14default_configENS1_22reduce_config_selectorIbEEZNS1_11reduce_implILb1ES3_N6hipcub16HIPCUB_304000_NS22TransformInputIteratorIb7NonZeroIaEPalEEPllNS8_6detail34convert_binary_result_type_wrapperINS8_3SumESD_lEEEE10hipError_tPvRmT1_T2_T3_mT4_P12ihipStream_tbEUlT_E0_NS1_11comp_targetILNS1_3genE3ELNS1_11target_archE908ELNS1_3gpuE7ELNS1_3repE0EEENS1_30default_config_static_selectorELNS0_4arch9wavefront6targetE1EEEvSM_.uses_vcc, 0
	.set _ZN7rocprim17ROCPRIM_400000_NS6detail17trampoline_kernelINS0_14default_configENS1_22reduce_config_selectorIbEEZNS1_11reduce_implILb1ES3_N6hipcub16HIPCUB_304000_NS22TransformInputIteratorIb7NonZeroIaEPalEEPllNS8_6detail34convert_binary_result_type_wrapperINS8_3SumESD_lEEEE10hipError_tPvRmT1_T2_T3_mT4_P12ihipStream_tbEUlT_E0_NS1_11comp_targetILNS1_3genE3ELNS1_11target_archE908ELNS1_3gpuE7ELNS1_3repE0EEENS1_30default_config_static_selectorELNS0_4arch9wavefront6targetE1EEEvSM_.uses_flat_scratch, 0
	.set _ZN7rocprim17ROCPRIM_400000_NS6detail17trampoline_kernelINS0_14default_configENS1_22reduce_config_selectorIbEEZNS1_11reduce_implILb1ES3_N6hipcub16HIPCUB_304000_NS22TransformInputIteratorIb7NonZeroIaEPalEEPllNS8_6detail34convert_binary_result_type_wrapperINS8_3SumESD_lEEEE10hipError_tPvRmT1_T2_T3_mT4_P12ihipStream_tbEUlT_E0_NS1_11comp_targetILNS1_3genE3ELNS1_11target_archE908ELNS1_3gpuE7ELNS1_3repE0EEENS1_30default_config_static_selectorELNS0_4arch9wavefront6targetE1EEEvSM_.has_dyn_sized_stack, 0
	.set _ZN7rocprim17ROCPRIM_400000_NS6detail17trampoline_kernelINS0_14default_configENS1_22reduce_config_selectorIbEEZNS1_11reduce_implILb1ES3_N6hipcub16HIPCUB_304000_NS22TransformInputIteratorIb7NonZeroIaEPalEEPllNS8_6detail34convert_binary_result_type_wrapperINS8_3SumESD_lEEEE10hipError_tPvRmT1_T2_T3_mT4_P12ihipStream_tbEUlT_E0_NS1_11comp_targetILNS1_3genE3ELNS1_11target_archE908ELNS1_3gpuE7ELNS1_3repE0EEENS1_30default_config_static_selectorELNS0_4arch9wavefront6targetE1EEEvSM_.has_recursion, 0
	.set _ZN7rocprim17ROCPRIM_400000_NS6detail17trampoline_kernelINS0_14default_configENS1_22reduce_config_selectorIbEEZNS1_11reduce_implILb1ES3_N6hipcub16HIPCUB_304000_NS22TransformInputIteratorIb7NonZeroIaEPalEEPllNS8_6detail34convert_binary_result_type_wrapperINS8_3SumESD_lEEEE10hipError_tPvRmT1_T2_T3_mT4_P12ihipStream_tbEUlT_E0_NS1_11comp_targetILNS1_3genE3ELNS1_11target_archE908ELNS1_3gpuE7ELNS1_3repE0EEENS1_30default_config_static_selectorELNS0_4arch9wavefront6targetE1EEEvSM_.has_indirect_call, 0
	.section	.AMDGPU.csdata,"",@progbits
; Kernel info:
; codeLenInByte = 0
; TotalNumSgprs: 6
; NumVgprs: 0
; NumAgprs: 0
; TotalNumVgprs: 0
; ScratchSize: 0
; MemoryBound: 0
; FloatMode: 240
; IeeeMode: 1
; LDSByteSize: 0 bytes/workgroup (compile time only)
; SGPRBlocks: 0
; VGPRBlocks: 0
; NumSGPRsForWavesPerEU: 6
; NumVGPRsForWavesPerEU: 1
; AccumOffset: 4
; Occupancy: 8
; WaveLimiterHint : 0
; COMPUTE_PGM_RSRC2:SCRATCH_EN: 0
; COMPUTE_PGM_RSRC2:USER_SGPR: 2
; COMPUTE_PGM_RSRC2:TRAP_HANDLER: 0
; COMPUTE_PGM_RSRC2:TGID_X_EN: 1
; COMPUTE_PGM_RSRC2:TGID_Y_EN: 0
; COMPUTE_PGM_RSRC2:TGID_Z_EN: 0
; COMPUTE_PGM_RSRC2:TIDIG_COMP_CNT: 0
; COMPUTE_PGM_RSRC3_GFX90A:ACCUM_OFFSET: 0
; COMPUTE_PGM_RSRC3_GFX90A:TG_SPLIT: 0
	.section	.text._ZN7rocprim17ROCPRIM_400000_NS6detail17trampoline_kernelINS0_14default_configENS1_22reduce_config_selectorIbEEZNS1_11reduce_implILb1ES3_N6hipcub16HIPCUB_304000_NS22TransformInputIteratorIb7NonZeroIaEPalEEPllNS8_6detail34convert_binary_result_type_wrapperINS8_3SumESD_lEEEE10hipError_tPvRmT1_T2_T3_mT4_P12ihipStream_tbEUlT_E0_NS1_11comp_targetILNS1_3genE2ELNS1_11target_archE906ELNS1_3gpuE6ELNS1_3repE0EEENS1_30default_config_static_selectorELNS0_4arch9wavefront6targetE1EEEvSM_,"axG",@progbits,_ZN7rocprim17ROCPRIM_400000_NS6detail17trampoline_kernelINS0_14default_configENS1_22reduce_config_selectorIbEEZNS1_11reduce_implILb1ES3_N6hipcub16HIPCUB_304000_NS22TransformInputIteratorIb7NonZeroIaEPalEEPllNS8_6detail34convert_binary_result_type_wrapperINS8_3SumESD_lEEEE10hipError_tPvRmT1_T2_T3_mT4_P12ihipStream_tbEUlT_E0_NS1_11comp_targetILNS1_3genE2ELNS1_11target_archE906ELNS1_3gpuE6ELNS1_3repE0EEENS1_30default_config_static_selectorELNS0_4arch9wavefront6targetE1EEEvSM_,comdat
	.protected	_ZN7rocprim17ROCPRIM_400000_NS6detail17trampoline_kernelINS0_14default_configENS1_22reduce_config_selectorIbEEZNS1_11reduce_implILb1ES3_N6hipcub16HIPCUB_304000_NS22TransformInputIteratorIb7NonZeroIaEPalEEPllNS8_6detail34convert_binary_result_type_wrapperINS8_3SumESD_lEEEE10hipError_tPvRmT1_T2_T3_mT4_P12ihipStream_tbEUlT_E0_NS1_11comp_targetILNS1_3genE2ELNS1_11target_archE906ELNS1_3gpuE6ELNS1_3repE0EEENS1_30default_config_static_selectorELNS0_4arch9wavefront6targetE1EEEvSM_ ; -- Begin function _ZN7rocprim17ROCPRIM_400000_NS6detail17trampoline_kernelINS0_14default_configENS1_22reduce_config_selectorIbEEZNS1_11reduce_implILb1ES3_N6hipcub16HIPCUB_304000_NS22TransformInputIteratorIb7NonZeroIaEPalEEPllNS8_6detail34convert_binary_result_type_wrapperINS8_3SumESD_lEEEE10hipError_tPvRmT1_T2_T3_mT4_P12ihipStream_tbEUlT_E0_NS1_11comp_targetILNS1_3genE2ELNS1_11target_archE906ELNS1_3gpuE6ELNS1_3repE0EEENS1_30default_config_static_selectorELNS0_4arch9wavefront6targetE1EEEvSM_
	.globl	_ZN7rocprim17ROCPRIM_400000_NS6detail17trampoline_kernelINS0_14default_configENS1_22reduce_config_selectorIbEEZNS1_11reduce_implILb1ES3_N6hipcub16HIPCUB_304000_NS22TransformInputIteratorIb7NonZeroIaEPalEEPllNS8_6detail34convert_binary_result_type_wrapperINS8_3SumESD_lEEEE10hipError_tPvRmT1_T2_T3_mT4_P12ihipStream_tbEUlT_E0_NS1_11comp_targetILNS1_3genE2ELNS1_11target_archE906ELNS1_3gpuE6ELNS1_3repE0EEENS1_30default_config_static_selectorELNS0_4arch9wavefront6targetE1EEEvSM_
	.p2align	8
	.type	_ZN7rocprim17ROCPRIM_400000_NS6detail17trampoline_kernelINS0_14default_configENS1_22reduce_config_selectorIbEEZNS1_11reduce_implILb1ES3_N6hipcub16HIPCUB_304000_NS22TransformInputIteratorIb7NonZeroIaEPalEEPllNS8_6detail34convert_binary_result_type_wrapperINS8_3SumESD_lEEEE10hipError_tPvRmT1_T2_T3_mT4_P12ihipStream_tbEUlT_E0_NS1_11comp_targetILNS1_3genE2ELNS1_11target_archE906ELNS1_3gpuE6ELNS1_3repE0EEENS1_30default_config_static_selectorELNS0_4arch9wavefront6targetE1EEEvSM_,@function
_ZN7rocprim17ROCPRIM_400000_NS6detail17trampoline_kernelINS0_14default_configENS1_22reduce_config_selectorIbEEZNS1_11reduce_implILb1ES3_N6hipcub16HIPCUB_304000_NS22TransformInputIteratorIb7NonZeroIaEPalEEPllNS8_6detail34convert_binary_result_type_wrapperINS8_3SumESD_lEEEE10hipError_tPvRmT1_T2_T3_mT4_P12ihipStream_tbEUlT_E0_NS1_11comp_targetILNS1_3genE2ELNS1_11target_archE906ELNS1_3gpuE6ELNS1_3repE0EEENS1_30default_config_static_selectorELNS0_4arch9wavefront6targetE1EEEvSM_: ; @_ZN7rocprim17ROCPRIM_400000_NS6detail17trampoline_kernelINS0_14default_configENS1_22reduce_config_selectorIbEEZNS1_11reduce_implILb1ES3_N6hipcub16HIPCUB_304000_NS22TransformInputIteratorIb7NonZeroIaEPalEEPllNS8_6detail34convert_binary_result_type_wrapperINS8_3SumESD_lEEEE10hipError_tPvRmT1_T2_T3_mT4_P12ihipStream_tbEUlT_E0_NS1_11comp_targetILNS1_3genE2ELNS1_11target_archE906ELNS1_3gpuE6ELNS1_3repE0EEENS1_30default_config_static_selectorELNS0_4arch9wavefront6targetE1EEEvSM_
; %bb.0:
	.section	.rodata,"a",@progbits
	.p2align	6, 0x0
	.amdhsa_kernel _ZN7rocprim17ROCPRIM_400000_NS6detail17trampoline_kernelINS0_14default_configENS1_22reduce_config_selectorIbEEZNS1_11reduce_implILb1ES3_N6hipcub16HIPCUB_304000_NS22TransformInputIteratorIb7NonZeroIaEPalEEPllNS8_6detail34convert_binary_result_type_wrapperINS8_3SumESD_lEEEE10hipError_tPvRmT1_T2_T3_mT4_P12ihipStream_tbEUlT_E0_NS1_11comp_targetILNS1_3genE2ELNS1_11target_archE906ELNS1_3gpuE6ELNS1_3repE0EEENS1_30default_config_static_selectorELNS0_4arch9wavefront6targetE1EEEvSM_
		.amdhsa_group_segment_fixed_size 0
		.amdhsa_private_segment_fixed_size 0
		.amdhsa_kernarg_size 72
		.amdhsa_user_sgpr_count 2
		.amdhsa_user_sgpr_dispatch_ptr 0
		.amdhsa_user_sgpr_queue_ptr 0
		.amdhsa_user_sgpr_kernarg_segment_ptr 1
		.amdhsa_user_sgpr_dispatch_id 0
		.amdhsa_user_sgpr_kernarg_preload_length 0
		.amdhsa_user_sgpr_kernarg_preload_offset 0
		.amdhsa_user_sgpr_private_segment_size 0
		.amdhsa_uses_dynamic_stack 0
		.amdhsa_enable_private_segment 0
		.amdhsa_system_sgpr_workgroup_id_x 1
		.amdhsa_system_sgpr_workgroup_id_y 0
		.amdhsa_system_sgpr_workgroup_id_z 0
		.amdhsa_system_sgpr_workgroup_info 0
		.amdhsa_system_vgpr_workitem_id 0
		.amdhsa_next_free_vgpr 1
		.amdhsa_next_free_sgpr 0
		.amdhsa_accum_offset 4
		.amdhsa_reserve_vcc 0
		.amdhsa_float_round_mode_32 0
		.amdhsa_float_round_mode_16_64 0
		.amdhsa_float_denorm_mode_32 3
		.amdhsa_float_denorm_mode_16_64 3
		.amdhsa_dx10_clamp 1
		.amdhsa_ieee_mode 1
		.amdhsa_fp16_overflow 0
		.amdhsa_tg_split 0
		.amdhsa_exception_fp_ieee_invalid_op 0
		.amdhsa_exception_fp_denorm_src 0
		.amdhsa_exception_fp_ieee_div_zero 0
		.amdhsa_exception_fp_ieee_overflow 0
		.amdhsa_exception_fp_ieee_underflow 0
		.amdhsa_exception_fp_ieee_inexact 0
		.amdhsa_exception_int_div_zero 0
	.end_amdhsa_kernel
	.section	.text._ZN7rocprim17ROCPRIM_400000_NS6detail17trampoline_kernelINS0_14default_configENS1_22reduce_config_selectorIbEEZNS1_11reduce_implILb1ES3_N6hipcub16HIPCUB_304000_NS22TransformInputIteratorIb7NonZeroIaEPalEEPllNS8_6detail34convert_binary_result_type_wrapperINS8_3SumESD_lEEEE10hipError_tPvRmT1_T2_T3_mT4_P12ihipStream_tbEUlT_E0_NS1_11comp_targetILNS1_3genE2ELNS1_11target_archE906ELNS1_3gpuE6ELNS1_3repE0EEENS1_30default_config_static_selectorELNS0_4arch9wavefront6targetE1EEEvSM_,"axG",@progbits,_ZN7rocprim17ROCPRIM_400000_NS6detail17trampoline_kernelINS0_14default_configENS1_22reduce_config_selectorIbEEZNS1_11reduce_implILb1ES3_N6hipcub16HIPCUB_304000_NS22TransformInputIteratorIb7NonZeroIaEPalEEPllNS8_6detail34convert_binary_result_type_wrapperINS8_3SumESD_lEEEE10hipError_tPvRmT1_T2_T3_mT4_P12ihipStream_tbEUlT_E0_NS1_11comp_targetILNS1_3genE2ELNS1_11target_archE906ELNS1_3gpuE6ELNS1_3repE0EEENS1_30default_config_static_selectorELNS0_4arch9wavefront6targetE1EEEvSM_,comdat
.Lfunc_end22:
	.size	_ZN7rocprim17ROCPRIM_400000_NS6detail17trampoline_kernelINS0_14default_configENS1_22reduce_config_selectorIbEEZNS1_11reduce_implILb1ES3_N6hipcub16HIPCUB_304000_NS22TransformInputIteratorIb7NonZeroIaEPalEEPllNS8_6detail34convert_binary_result_type_wrapperINS8_3SumESD_lEEEE10hipError_tPvRmT1_T2_T3_mT4_P12ihipStream_tbEUlT_E0_NS1_11comp_targetILNS1_3genE2ELNS1_11target_archE906ELNS1_3gpuE6ELNS1_3repE0EEENS1_30default_config_static_selectorELNS0_4arch9wavefront6targetE1EEEvSM_, .Lfunc_end22-_ZN7rocprim17ROCPRIM_400000_NS6detail17trampoline_kernelINS0_14default_configENS1_22reduce_config_selectorIbEEZNS1_11reduce_implILb1ES3_N6hipcub16HIPCUB_304000_NS22TransformInputIteratorIb7NonZeroIaEPalEEPllNS8_6detail34convert_binary_result_type_wrapperINS8_3SumESD_lEEEE10hipError_tPvRmT1_T2_T3_mT4_P12ihipStream_tbEUlT_E0_NS1_11comp_targetILNS1_3genE2ELNS1_11target_archE906ELNS1_3gpuE6ELNS1_3repE0EEENS1_30default_config_static_selectorELNS0_4arch9wavefront6targetE1EEEvSM_
                                        ; -- End function
	.set _ZN7rocprim17ROCPRIM_400000_NS6detail17trampoline_kernelINS0_14default_configENS1_22reduce_config_selectorIbEEZNS1_11reduce_implILb1ES3_N6hipcub16HIPCUB_304000_NS22TransformInputIteratorIb7NonZeroIaEPalEEPllNS8_6detail34convert_binary_result_type_wrapperINS8_3SumESD_lEEEE10hipError_tPvRmT1_T2_T3_mT4_P12ihipStream_tbEUlT_E0_NS1_11comp_targetILNS1_3genE2ELNS1_11target_archE906ELNS1_3gpuE6ELNS1_3repE0EEENS1_30default_config_static_selectorELNS0_4arch9wavefront6targetE1EEEvSM_.num_vgpr, 0
	.set _ZN7rocprim17ROCPRIM_400000_NS6detail17trampoline_kernelINS0_14default_configENS1_22reduce_config_selectorIbEEZNS1_11reduce_implILb1ES3_N6hipcub16HIPCUB_304000_NS22TransformInputIteratorIb7NonZeroIaEPalEEPllNS8_6detail34convert_binary_result_type_wrapperINS8_3SumESD_lEEEE10hipError_tPvRmT1_T2_T3_mT4_P12ihipStream_tbEUlT_E0_NS1_11comp_targetILNS1_3genE2ELNS1_11target_archE906ELNS1_3gpuE6ELNS1_3repE0EEENS1_30default_config_static_selectorELNS0_4arch9wavefront6targetE1EEEvSM_.num_agpr, 0
	.set _ZN7rocprim17ROCPRIM_400000_NS6detail17trampoline_kernelINS0_14default_configENS1_22reduce_config_selectorIbEEZNS1_11reduce_implILb1ES3_N6hipcub16HIPCUB_304000_NS22TransformInputIteratorIb7NonZeroIaEPalEEPllNS8_6detail34convert_binary_result_type_wrapperINS8_3SumESD_lEEEE10hipError_tPvRmT1_T2_T3_mT4_P12ihipStream_tbEUlT_E0_NS1_11comp_targetILNS1_3genE2ELNS1_11target_archE906ELNS1_3gpuE6ELNS1_3repE0EEENS1_30default_config_static_selectorELNS0_4arch9wavefront6targetE1EEEvSM_.numbered_sgpr, 0
	.set _ZN7rocprim17ROCPRIM_400000_NS6detail17trampoline_kernelINS0_14default_configENS1_22reduce_config_selectorIbEEZNS1_11reduce_implILb1ES3_N6hipcub16HIPCUB_304000_NS22TransformInputIteratorIb7NonZeroIaEPalEEPllNS8_6detail34convert_binary_result_type_wrapperINS8_3SumESD_lEEEE10hipError_tPvRmT1_T2_T3_mT4_P12ihipStream_tbEUlT_E0_NS1_11comp_targetILNS1_3genE2ELNS1_11target_archE906ELNS1_3gpuE6ELNS1_3repE0EEENS1_30default_config_static_selectorELNS0_4arch9wavefront6targetE1EEEvSM_.num_named_barrier, 0
	.set _ZN7rocprim17ROCPRIM_400000_NS6detail17trampoline_kernelINS0_14default_configENS1_22reduce_config_selectorIbEEZNS1_11reduce_implILb1ES3_N6hipcub16HIPCUB_304000_NS22TransformInputIteratorIb7NonZeroIaEPalEEPllNS8_6detail34convert_binary_result_type_wrapperINS8_3SumESD_lEEEE10hipError_tPvRmT1_T2_T3_mT4_P12ihipStream_tbEUlT_E0_NS1_11comp_targetILNS1_3genE2ELNS1_11target_archE906ELNS1_3gpuE6ELNS1_3repE0EEENS1_30default_config_static_selectorELNS0_4arch9wavefront6targetE1EEEvSM_.private_seg_size, 0
	.set _ZN7rocprim17ROCPRIM_400000_NS6detail17trampoline_kernelINS0_14default_configENS1_22reduce_config_selectorIbEEZNS1_11reduce_implILb1ES3_N6hipcub16HIPCUB_304000_NS22TransformInputIteratorIb7NonZeroIaEPalEEPllNS8_6detail34convert_binary_result_type_wrapperINS8_3SumESD_lEEEE10hipError_tPvRmT1_T2_T3_mT4_P12ihipStream_tbEUlT_E0_NS1_11comp_targetILNS1_3genE2ELNS1_11target_archE906ELNS1_3gpuE6ELNS1_3repE0EEENS1_30default_config_static_selectorELNS0_4arch9wavefront6targetE1EEEvSM_.uses_vcc, 0
	.set _ZN7rocprim17ROCPRIM_400000_NS6detail17trampoline_kernelINS0_14default_configENS1_22reduce_config_selectorIbEEZNS1_11reduce_implILb1ES3_N6hipcub16HIPCUB_304000_NS22TransformInputIteratorIb7NonZeroIaEPalEEPllNS8_6detail34convert_binary_result_type_wrapperINS8_3SumESD_lEEEE10hipError_tPvRmT1_T2_T3_mT4_P12ihipStream_tbEUlT_E0_NS1_11comp_targetILNS1_3genE2ELNS1_11target_archE906ELNS1_3gpuE6ELNS1_3repE0EEENS1_30default_config_static_selectorELNS0_4arch9wavefront6targetE1EEEvSM_.uses_flat_scratch, 0
	.set _ZN7rocprim17ROCPRIM_400000_NS6detail17trampoline_kernelINS0_14default_configENS1_22reduce_config_selectorIbEEZNS1_11reduce_implILb1ES3_N6hipcub16HIPCUB_304000_NS22TransformInputIteratorIb7NonZeroIaEPalEEPllNS8_6detail34convert_binary_result_type_wrapperINS8_3SumESD_lEEEE10hipError_tPvRmT1_T2_T3_mT4_P12ihipStream_tbEUlT_E0_NS1_11comp_targetILNS1_3genE2ELNS1_11target_archE906ELNS1_3gpuE6ELNS1_3repE0EEENS1_30default_config_static_selectorELNS0_4arch9wavefront6targetE1EEEvSM_.has_dyn_sized_stack, 0
	.set _ZN7rocprim17ROCPRIM_400000_NS6detail17trampoline_kernelINS0_14default_configENS1_22reduce_config_selectorIbEEZNS1_11reduce_implILb1ES3_N6hipcub16HIPCUB_304000_NS22TransformInputIteratorIb7NonZeroIaEPalEEPllNS8_6detail34convert_binary_result_type_wrapperINS8_3SumESD_lEEEE10hipError_tPvRmT1_T2_T3_mT4_P12ihipStream_tbEUlT_E0_NS1_11comp_targetILNS1_3genE2ELNS1_11target_archE906ELNS1_3gpuE6ELNS1_3repE0EEENS1_30default_config_static_selectorELNS0_4arch9wavefront6targetE1EEEvSM_.has_recursion, 0
	.set _ZN7rocprim17ROCPRIM_400000_NS6detail17trampoline_kernelINS0_14default_configENS1_22reduce_config_selectorIbEEZNS1_11reduce_implILb1ES3_N6hipcub16HIPCUB_304000_NS22TransformInputIteratorIb7NonZeroIaEPalEEPllNS8_6detail34convert_binary_result_type_wrapperINS8_3SumESD_lEEEE10hipError_tPvRmT1_T2_T3_mT4_P12ihipStream_tbEUlT_E0_NS1_11comp_targetILNS1_3genE2ELNS1_11target_archE906ELNS1_3gpuE6ELNS1_3repE0EEENS1_30default_config_static_selectorELNS0_4arch9wavefront6targetE1EEEvSM_.has_indirect_call, 0
	.section	.AMDGPU.csdata,"",@progbits
; Kernel info:
; codeLenInByte = 0
; TotalNumSgprs: 6
; NumVgprs: 0
; NumAgprs: 0
; TotalNumVgprs: 0
; ScratchSize: 0
; MemoryBound: 0
; FloatMode: 240
; IeeeMode: 1
; LDSByteSize: 0 bytes/workgroup (compile time only)
; SGPRBlocks: 0
; VGPRBlocks: 0
; NumSGPRsForWavesPerEU: 6
; NumVGPRsForWavesPerEU: 1
; AccumOffset: 4
; Occupancy: 8
; WaveLimiterHint : 0
; COMPUTE_PGM_RSRC2:SCRATCH_EN: 0
; COMPUTE_PGM_RSRC2:USER_SGPR: 2
; COMPUTE_PGM_RSRC2:TRAP_HANDLER: 0
; COMPUTE_PGM_RSRC2:TGID_X_EN: 1
; COMPUTE_PGM_RSRC2:TGID_Y_EN: 0
; COMPUTE_PGM_RSRC2:TGID_Z_EN: 0
; COMPUTE_PGM_RSRC2:TIDIG_COMP_CNT: 0
; COMPUTE_PGM_RSRC3_GFX90A:ACCUM_OFFSET: 0
; COMPUTE_PGM_RSRC3_GFX90A:TG_SPLIT: 0
	.section	.text._ZN7rocprim17ROCPRIM_400000_NS6detail17trampoline_kernelINS0_14default_configENS1_22reduce_config_selectorIbEEZNS1_11reduce_implILb1ES3_N6hipcub16HIPCUB_304000_NS22TransformInputIteratorIb7NonZeroIaEPalEEPllNS8_6detail34convert_binary_result_type_wrapperINS8_3SumESD_lEEEE10hipError_tPvRmT1_T2_T3_mT4_P12ihipStream_tbEUlT_E0_NS1_11comp_targetILNS1_3genE10ELNS1_11target_archE1201ELNS1_3gpuE5ELNS1_3repE0EEENS1_30default_config_static_selectorELNS0_4arch9wavefront6targetE1EEEvSM_,"axG",@progbits,_ZN7rocprim17ROCPRIM_400000_NS6detail17trampoline_kernelINS0_14default_configENS1_22reduce_config_selectorIbEEZNS1_11reduce_implILb1ES3_N6hipcub16HIPCUB_304000_NS22TransformInputIteratorIb7NonZeroIaEPalEEPllNS8_6detail34convert_binary_result_type_wrapperINS8_3SumESD_lEEEE10hipError_tPvRmT1_T2_T3_mT4_P12ihipStream_tbEUlT_E0_NS1_11comp_targetILNS1_3genE10ELNS1_11target_archE1201ELNS1_3gpuE5ELNS1_3repE0EEENS1_30default_config_static_selectorELNS0_4arch9wavefront6targetE1EEEvSM_,comdat
	.protected	_ZN7rocprim17ROCPRIM_400000_NS6detail17trampoline_kernelINS0_14default_configENS1_22reduce_config_selectorIbEEZNS1_11reduce_implILb1ES3_N6hipcub16HIPCUB_304000_NS22TransformInputIteratorIb7NonZeroIaEPalEEPllNS8_6detail34convert_binary_result_type_wrapperINS8_3SumESD_lEEEE10hipError_tPvRmT1_T2_T3_mT4_P12ihipStream_tbEUlT_E0_NS1_11comp_targetILNS1_3genE10ELNS1_11target_archE1201ELNS1_3gpuE5ELNS1_3repE0EEENS1_30default_config_static_selectorELNS0_4arch9wavefront6targetE1EEEvSM_ ; -- Begin function _ZN7rocprim17ROCPRIM_400000_NS6detail17trampoline_kernelINS0_14default_configENS1_22reduce_config_selectorIbEEZNS1_11reduce_implILb1ES3_N6hipcub16HIPCUB_304000_NS22TransformInputIteratorIb7NonZeroIaEPalEEPllNS8_6detail34convert_binary_result_type_wrapperINS8_3SumESD_lEEEE10hipError_tPvRmT1_T2_T3_mT4_P12ihipStream_tbEUlT_E0_NS1_11comp_targetILNS1_3genE10ELNS1_11target_archE1201ELNS1_3gpuE5ELNS1_3repE0EEENS1_30default_config_static_selectorELNS0_4arch9wavefront6targetE1EEEvSM_
	.globl	_ZN7rocprim17ROCPRIM_400000_NS6detail17trampoline_kernelINS0_14default_configENS1_22reduce_config_selectorIbEEZNS1_11reduce_implILb1ES3_N6hipcub16HIPCUB_304000_NS22TransformInputIteratorIb7NonZeroIaEPalEEPllNS8_6detail34convert_binary_result_type_wrapperINS8_3SumESD_lEEEE10hipError_tPvRmT1_T2_T3_mT4_P12ihipStream_tbEUlT_E0_NS1_11comp_targetILNS1_3genE10ELNS1_11target_archE1201ELNS1_3gpuE5ELNS1_3repE0EEENS1_30default_config_static_selectorELNS0_4arch9wavefront6targetE1EEEvSM_
	.p2align	8
	.type	_ZN7rocprim17ROCPRIM_400000_NS6detail17trampoline_kernelINS0_14default_configENS1_22reduce_config_selectorIbEEZNS1_11reduce_implILb1ES3_N6hipcub16HIPCUB_304000_NS22TransformInputIteratorIb7NonZeroIaEPalEEPllNS8_6detail34convert_binary_result_type_wrapperINS8_3SumESD_lEEEE10hipError_tPvRmT1_T2_T3_mT4_P12ihipStream_tbEUlT_E0_NS1_11comp_targetILNS1_3genE10ELNS1_11target_archE1201ELNS1_3gpuE5ELNS1_3repE0EEENS1_30default_config_static_selectorELNS0_4arch9wavefront6targetE1EEEvSM_,@function
_ZN7rocprim17ROCPRIM_400000_NS6detail17trampoline_kernelINS0_14default_configENS1_22reduce_config_selectorIbEEZNS1_11reduce_implILb1ES3_N6hipcub16HIPCUB_304000_NS22TransformInputIteratorIb7NonZeroIaEPalEEPllNS8_6detail34convert_binary_result_type_wrapperINS8_3SumESD_lEEEE10hipError_tPvRmT1_T2_T3_mT4_P12ihipStream_tbEUlT_E0_NS1_11comp_targetILNS1_3genE10ELNS1_11target_archE1201ELNS1_3gpuE5ELNS1_3repE0EEENS1_30default_config_static_selectorELNS0_4arch9wavefront6targetE1EEEvSM_: ; @_ZN7rocprim17ROCPRIM_400000_NS6detail17trampoline_kernelINS0_14default_configENS1_22reduce_config_selectorIbEEZNS1_11reduce_implILb1ES3_N6hipcub16HIPCUB_304000_NS22TransformInputIteratorIb7NonZeroIaEPalEEPllNS8_6detail34convert_binary_result_type_wrapperINS8_3SumESD_lEEEE10hipError_tPvRmT1_T2_T3_mT4_P12ihipStream_tbEUlT_E0_NS1_11comp_targetILNS1_3genE10ELNS1_11target_archE1201ELNS1_3gpuE5ELNS1_3repE0EEENS1_30default_config_static_selectorELNS0_4arch9wavefront6targetE1EEEvSM_
; %bb.0:
	.section	.rodata,"a",@progbits
	.p2align	6, 0x0
	.amdhsa_kernel _ZN7rocprim17ROCPRIM_400000_NS6detail17trampoline_kernelINS0_14default_configENS1_22reduce_config_selectorIbEEZNS1_11reduce_implILb1ES3_N6hipcub16HIPCUB_304000_NS22TransformInputIteratorIb7NonZeroIaEPalEEPllNS8_6detail34convert_binary_result_type_wrapperINS8_3SumESD_lEEEE10hipError_tPvRmT1_T2_T3_mT4_P12ihipStream_tbEUlT_E0_NS1_11comp_targetILNS1_3genE10ELNS1_11target_archE1201ELNS1_3gpuE5ELNS1_3repE0EEENS1_30default_config_static_selectorELNS0_4arch9wavefront6targetE1EEEvSM_
		.amdhsa_group_segment_fixed_size 0
		.amdhsa_private_segment_fixed_size 0
		.amdhsa_kernarg_size 72
		.amdhsa_user_sgpr_count 2
		.amdhsa_user_sgpr_dispatch_ptr 0
		.amdhsa_user_sgpr_queue_ptr 0
		.amdhsa_user_sgpr_kernarg_segment_ptr 1
		.amdhsa_user_sgpr_dispatch_id 0
		.amdhsa_user_sgpr_kernarg_preload_length 0
		.amdhsa_user_sgpr_kernarg_preload_offset 0
		.amdhsa_user_sgpr_private_segment_size 0
		.amdhsa_uses_dynamic_stack 0
		.amdhsa_enable_private_segment 0
		.amdhsa_system_sgpr_workgroup_id_x 1
		.amdhsa_system_sgpr_workgroup_id_y 0
		.amdhsa_system_sgpr_workgroup_id_z 0
		.amdhsa_system_sgpr_workgroup_info 0
		.amdhsa_system_vgpr_workitem_id 0
		.amdhsa_next_free_vgpr 1
		.amdhsa_next_free_sgpr 0
		.amdhsa_accum_offset 4
		.amdhsa_reserve_vcc 0
		.amdhsa_float_round_mode_32 0
		.amdhsa_float_round_mode_16_64 0
		.amdhsa_float_denorm_mode_32 3
		.amdhsa_float_denorm_mode_16_64 3
		.amdhsa_dx10_clamp 1
		.amdhsa_ieee_mode 1
		.amdhsa_fp16_overflow 0
		.amdhsa_tg_split 0
		.amdhsa_exception_fp_ieee_invalid_op 0
		.amdhsa_exception_fp_denorm_src 0
		.amdhsa_exception_fp_ieee_div_zero 0
		.amdhsa_exception_fp_ieee_overflow 0
		.amdhsa_exception_fp_ieee_underflow 0
		.amdhsa_exception_fp_ieee_inexact 0
		.amdhsa_exception_int_div_zero 0
	.end_amdhsa_kernel
	.section	.text._ZN7rocprim17ROCPRIM_400000_NS6detail17trampoline_kernelINS0_14default_configENS1_22reduce_config_selectorIbEEZNS1_11reduce_implILb1ES3_N6hipcub16HIPCUB_304000_NS22TransformInputIteratorIb7NonZeroIaEPalEEPllNS8_6detail34convert_binary_result_type_wrapperINS8_3SumESD_lEEEE10hipError_tPvRmT1_T2_T3_mT4_P12ihipStream_tbEUlT_E0_NS1_11comp_targetILNS1_3genE10ELNS1_11target_archE1201ELNS1_3gpuE5ELNS1_3repE0EEENS1_30default_config_static_selectorELNS0_4arch9wavefront6targetE1EEEvSM_,"axG",@progbits,_ZN7rocprim17ROCPRIM_400000_NS6detail17trampoline_kernelINS0_14default_configENS1_22reduce_config_selectorIbEEZNS1_11reduce_implILb1ES3_N6hipcub16HIPCUB_304000_NS22TransformInputIteratorIb7NonZeroIaEPalEEPllNS8_6detail34convert_binary_result_type_wrapperINS8_3SumESD_lEEEE10hipError_tPvRmT1_T2_T3_mT4_P12ihipStream_tbEUlT_E0_NS1_11comp_targetILNS1_3genE10ELNS1_11target_archE1201ELNS1_3gpuE5ELNS1_3repE0EEENS1_30default_config_static_selectorELNS0_4arch9wavefront6targetE1EEEvSM_,comdat
.Lfunc_end23:
	.size	_ZN7rocprim17ROCPRIM_400000_NS6detail17trampoline_kernelINS0_14default_configENS1_22reduce_config_selectorIbEEZNS1_11reduce_implILb1ES3_N6hipcub16HIPCUB_304000_NS22TransformInputIteratorIb7NonZeroIaEPalEEPllNS8_6detail34convert_binary_result_type_wrapperINS8_3SumESD_lEEEE10hipError_tPvRmT1_T2_T3_mT4_P12ihipStream_tbEUlT_E0_NS1_11comp_targetILNS1_3genE10ELNS1_11target_archE1201ELNS1_3gpuE5ELNS1_3repE0EEENS1_30default_config_static_selectorELNS0_4arch9wavefront6targetE1EEEvSM_, .Lfunc_end23-_ZN7rocprim17ROCPRIM_400000_NS6detail17trampoline_kernelINS0_14default_configENS1_22reduce_config_selectorIbEEZNS1_11reduce_implILb1ES3_N6hipcub16HIPCUB_304000_NS22TransformInputIteratorIb7NonZeroIaEPalEEPllNS8_6detail34convert_binary_result_type_wrapperINS8_3SumESD_lEEEE10hipError_tPvRmT1_T2_T3_mT4_P12ihipStream_tbEUlT_E0_NS1_11comp_targetILNS1_3genE10ELNS1_11target_archE1201ELNS1_3gpuE5ELNS1_3repE0EEENS1_30default_config_static_selectorELNS0_4arch9wavefront6targetE1EEEvSM_
                                        ; -- End function
	.set _ZN7rocprim17ROCPRIM_400000_NS6detail17trampoline_kernelINS0_14default_configENS1_22reduce_config_selectorIbEEZNS1_11reduce_implILb1ES3_N6hipcub16HIPCUB_304000_NS22TransformInputIteratorIb7NonZeroIaEPalEEPllNS8_6detail34convert_binary_result_type_wrapperINS8_3SumESD_lEEEE10hipError_tPvRmT1_T2_T3_mT4_P12ihipStream_tbEUlT_E0_NS1_11comp_targetILNS1_3genE10ELNS1_11target_archE1201ELNS1_3gpuE5ELNS1_3repE0EEENS1_30default_config_static_selectorELNS0_4arch9wavefront6targetE1EEEvSM_.num_vgpr, 0
	.set _ZN7rocprim17ROCPRIM_400000_NS6detail17trampoline_kernelINS0_14default_configENS1_22reduce_config_selectorIbEEZNS1_11reduce_implILb1ES3_N6hipcub16HIPCUB_304000_NS22TransformInputIteratorIb7NonZeroIaEPalEEPllNS8_6detail34convert_binary_result_type_wrapperINS8_3SumESD_lEEEE10hipError_tPvRmT1_T2_T3_mT4_P12ihipStream_tbEUlT_E0_NS1_11comp_targetILNS1_3genE10ELNS1_11target_archE1201ELNS1_3gpuE5ELNS1_3repE0EEENS1_30default_config_static_selectorELNS0_4arch9wavefront6targetE1EEEvSM_.num_agpr, 0
	.set _ZN7rocprim17ROCPRIM_400000_NS6detail17trampoline_kernelINS0_14default_configENS1_22reduce_config_selectorIbEEZNS1_11reduce_implILb1ES3_N6hipcub16HIPCUB_304000_NS22TransformInputIteratorIb7NonZeroIaEPalEEPllNS8_6detail34convert_binary_result_type_wrapperINS8_3SumESD_lEEEE10hipError_tPvRmT1_T2_T3_mT4_P12ihipStream_tbEUlT_E0_NS1_11comp_targetILNS1_3genE10ELNS1_11target_archE1201ELNS1_3gpuE5ELNS1_3repE0EEENS1_30default_config_static_selectorELNS0_4arch9wavefront6targetE1EEEvSM_.numbered_sgpr, 0
	.set _ZN7rocprim17ROCPRIM_400000_NS6detail17trampoline_kernelINS0_14default_configENS1_22reduce_config_selectorIbEEZNS1_11reduce_implILb1ES3_N6hipcub16HIPCUB_304000_NS22TransformInputIteratorIb7NonZeroIaEPalEEPllNS8_6detail34convert_binary_result_type_wrapperINS8_3SumESD_lEEEE10hipError_tPvRmT1_T2_T3_mT4_P12ihipStream_tbEUlT_E0_NS1_11comp_targetILNS1_3genE10ELNS1_11target_archE1201ELNS1_3gpuE5ELNS1_3repE0EEENS1_30default_config_static_selectorELNS0_4arch9wavefront6targetE1EEEvSM_.num_named_barrier, 0
	.set _ZN7rocprim17ROCPRIM_400000_NS6detail17trampoline_kernelINS0_14default_configENS1_22reduce_config_selectorIbEEZNS1_11reduce_implILb1ES3_N6hipcub16HIPCUB_304000_NS22TransformInputIteratorIb7NonZeroIaEPalEEPllNS8_6detail34convert_binary_result_type_wrapperINS8_3SumESD_lEEEE10hipError_tPvRmT1_T2_T3_mT4_P12ihipStream_tbEUlT_E0_NS1_11comp_targetILNS1_3genE10ELNS1_11target_archE1201ELNS1_3gpuE5ELNS1_3repE0EEENS1_30default_config_static_selectorELNS0_4arch9wavefront6targetE1EEEvSM_.private_seg_size, 0
	.set _ZN7rocprim17ROCPRIM_400000_NS6detail17trampoline_kernelINS0_14default_configENS1_22reduce_config_selectorIbEEZNS1_11reduce_implILb1ES3_N6hipcub16HIPCUB_304000_NS22TransformInputIteratorIb7NonZeroIaEPalEEPllNS8_6detail34convert_binary_result_type_wrapperINS8_3SumESD_lEEEE10hipError_tPvRmT1_T2_T3_mT4_P12ihipStream_tbEUlT_E0_NS1_11comp_targetILNS1_3genE10ELNS1_11target_archE1201ELNS1_3gpuE5ELNS1_3repE0EEENS1_30default_config_static_selectorELNS0_4arch9wavefront6targetE1EEEvSM_.uses_vcc, 0
	.set _ZN7rocprim17ROCPRIM_400000_NS6detail17trampoline_kernelINS0_14default_configENS1_22reduce_config_selectorIbEEZNS1_11reduce_implILb1ES3_N6hipcub16HIPCUB_304000_NS22TransformInputIteratorIb7NonZeroIaEPalEEPllNS8_6detail34convert_binary_result_type_wrapperINS8_3SumESD_lEEEE10hipError_tPvRmT1_T2_T3_mT4_P12ihipStream_tbEUlT_E0_NS1_11comp_targetILNS1_3genE10ELNS1_11target_archE1201ELNS1_3gpuE5ELNS1_3repE0EEENS1_30default_config_static_selectorELNS0_4arch9wavefront6targetE1EEEvSM_.uses_flat_scratch, 0
	.set _ZN7rocprim17ROCPRIM_400000_NS6detail17trampoline_kernelINS0_14default_configENS1_22reduce_config_selectorIbEEZNS1_11reduce_implILb1ES3_N6hipcub16HIPCUB_304000_NS22TransformInputIteratorIb7NonZeroIaEPalEEPllNS8_6detail34convert_binary_result_type_wrapperINS8_3SumESD_lEEEE10hipError_tPvRmT1_T2_T3_mT4_P12ihipStream_tbEUlT_E0_NS1_11comp_targetILNS1_3genE10ELNS1_11target_archE1201ELNS1_3gpuE5ELNS1_3repE0EEENS1_30default_config_static_selectorELNS0_4arch9wavefront6targetE1EEEvSM_.has_dyn_sized_stack, 0
	.set _ZN7rocprim17ROCPRIM_400000_NS6detail17trampoline_kernelINS0_14default_configENS1_22reduce_config_selectorIbEEZNS1_11reduce_implILb1ES3_N6hipcub16HIPCUB_304000_NS22TransformInputIteratorIb7NonZeroIaEPalEEPllNS8_6detail34convert_binary_result_type_wrapperINS8_3SumESD_lEEEE10hipError_tPvRmT1_T2_T3_mT4_P12ihipStream_tbEUlT_E0_NS1_11comp_targetILNS1_3genE10ELNS1_11target_archE1201ELNS1_3gpuE5ELNS1_3repE0EEENS1_30default_config_static_selectorELNS0_4arch9wavefront6targetE1EEEvSM_.has_recursion, 0
	.set _ZN7rocprim17ROCPRIM_400000_NS6detail17trampoline_kernelINS0_14default_configENS1_22reduce_config_selectorIbEEZNS1_11reduce_implILb1ES3_N6hipcub16HIPCUB_304000_NS22TransformInputIteratorIb7NonZeroIaEPalEEPllNS8_6detail34convert_binary_result_type_wrapperINS8_3SumESD_lEEEE10hipError_tPvRmT1_T2_T3_mT4_P12ihipStream_tbEUlT_E0_NS1_11comp_targetILNS1_3genE10ELNS1_11target_archE1201ELNS1_3gpuE5ELNS1_3repE0EEENS1_30default_config_static_selectorELNS0_4arch9wavefront6targetE1EEEvSM_.has_indirect_call, 0
	.section	.AMDGPU.csdata,"",@progbits
; Kernel info:
; codeLenInByte = 0
; TotalNumSgprs: 6
; NumVgprs: 0
; NumAgprs: 0
; TotalNumVgprs: 0
; ScratchSize: 0
; MemoryBound: 0
; FloatMode: 240
; IeeeMode: 1
; LDSByteSize: 0 bytes/workgroup (compile time only)
; SGPRBlocks: 0
; VGPRBlocks: 0
; NumSGPRsForWavesPerEU: 6
; NumVGPRsForWavesPerEU: 1
; AccumOffset: 4
; Occupancy: 8
; WaveLimiterHint : 0
; COMPUTE_PGM_RSRC2:SCRATCH_EN: 0
; COMPUTE_PGM_RSRC2:USER_SGPR: 2
; COMPUTE_PGM_RSRC2:TRAP_HANDLER: 0
; COMPUTE_PGM_RSRC2:TGID_X_EN: 1
; COMPUTE_PGM_RSRC2:TGID_Y_EN: 0
; COMPUTE_PGM_RSRC2:TGID_Z_EN: 0
; COMPUTE_PGM_RSRC2:TIDIG_COMP_CNT: 0
; COMPUTE_PGM_RSRC3_GFX90A:ACCUM_OFFSET: 0
; COMPUTE_PGM_RSRC3_GFX90A:TG_SPLIT: 0
	.section	.text._ZN7rocprim17ROCPRIM_400000_NS6detail17trampoline_kernelINS0_14default_configENS1_22reduce_config_selectorIbEEZNS1_11reduce_implILb1ES3_N6hipcub16HIPCUB_304000_NS22TransformInputIteratorIb7NonZeroIaEPalEEPllNS8_6detail34convert_binary_result_type_wrapperINS8_3SumESD_lEEEE10hipError_tPvRmT1_T2_T3_mT4_P12ihipStream_tbEUlT_E0_NS1_11comp_targetILNS1_3genE10ELNS1_11target_archE1200ELNS1_3gpuE4ELNS1_3repE0EEENS1_30default_config_static_selectorELNS0_4arch9wavefront6targetE1EEEvSM_,"axG",@progbits,_ZN7rocprim17ROCPRIM_400000_NS6detail17trampoline_kernelINS0_14default_configENS1_22reduce_config_selectorIbEEZNS1_11reduce_implILb1ES3_N6hipcub16HIPCUB_304000_NS22TransformInputIteratorIb7NonZeroIaEPalEEPllNS8_6detail34convert_binary_result_type_wrapperINS8_3SumESD_lEEEE10hipError_tPvRmT1_T2_T3_mT4_P12ihipStream_tbEUlT_E0_NS1_11comp_targetILNS1_3genE10ELNS1_11target_archE1200ELNS1_3gpuE4ELNS1_3repE0EEENS1_30default_config_static_selectorELNS0_4arch9wavefront6targetE1EEEvSM_,comdat
	.protected	_ZN7rocprim17ROCPRIM_400000_NS6detail17trampoline_kernelINS0_14default_configENS1_22reduce_config_selectorIbEEZNS1_11reduce_implILb1ES3_N6hipcub16HIPCUB_304000_NS22TransformInputIteratorIb7NonZeroIaEPalEEPllNS8_6detail34convert_binary_result_type_wrapperINS8_3SumESD_lEEEE10hipError_tPvRmT1_T2_T3_mT4_P12ihipStream_tbEUlT_E0_NS1_11comp_targetILNS1_3genE10ELNS1_11target_archE1200ELNS1_3gpuE4ELNS1_3repE0EEENS1_30default_config_static_selectorELNS0_4arch9wavefront6targetE1EEEvSM_ ; -- Begin function _ZN7rocprim17ROCPRIM_400000_NS6detail17trampoline_kernelINS0_14default_configENS1_22reduce_config_selectorIbEEZNS1_11reduce_implILb1ES3_N6hipcub16HIPCUB_304000_NS22TransformInputIteratorIb7NonZeroIaEPalEEPllNS8_6detail34convert_binary_result_type_wrapperINS8_3SumESD_lEEEE10hipError_tPvRmT1_T2_T3_mT4_P12ihipStream_tbEUlT_E0_NS1_11comp_targetILNS1_3genE10ELNS1_11target_archE1200ELNS1_3gpuE4ELNS1_3repE0EEENS1_30default_config_static_selectorELNS0_4arch9wavefront6targetE1EEEvSM_
	.globl	_ZN7rocprim17ROCPRIM_400000_NS6detail17trampoline_kernelINS0_14default_configENS1_22reduce_config_selectorIbEEZNS1_11reduce_implILb1ES3_N6hipcub16HIPCUB_304000_NS22TransformInputIteratorIb7NonZeroIaEPalEEPllNS8_6detail34convert_binary_result_type_wrapperINS8_3SumESD_lEEEE10hipError_tPvRmT1_T2_T3_mT4_P12ihipStream_tbEUlT_E0_NS1_11comp_targetILNS1_3genE10ELNS1_11target_archE1200ELNS1_3gpuE4ELNS1_3repE0EEENS1_30default_config_static_selectorELNS0_4arch9wavefront6targetE1EEEvSM_
	.p2align	8
	.type	_ZN7rocprim17ROCPRIM_400000_NS6detail17trampoline_kernelINS0_14default_configENS1_22reduce_config_selectorIbEEZNS1_11reduce_implILb1ES3_N6hipcub16HIPCUB_304000_NS22TransformInputIteratorIb7NonZeroIaEPalEEPllNS8_6detail34convert_binary_result_type_wrapperINS8_3SumESD_lEEEE10hipError_tPvRmT1_T2_T3_mT4_P12ihipStream_tbEUlT_E0_NS1_11comp_targetILNS1_3genE10ELNS1_11target_archE1200ELNS1_3gpuE4ELNS1_3repE0EEENS1_30default_config_static_selectorELNS0_4arch9wavefront6targetE1EEEvSM_,@function
_ZN7rocprim17ROCPRIM_400000_NS6detail17trampoline_kernelINS0_14default_configENS1_22reduce_config_selectorIbEEZNS1_11reduce_implILb1ES3_N6hipcub16HIPCUB_304000_NS22TransformInputIteratorIb7NonZeroIaEPalEEPllNS8_6detail34convert_binary_result_type_wrapperINS8_3SumESD_lEEEE10hipError_tPvRmT1_T2_T3_mT4_P12ihipStream_tbEUlT_E0_NS1_11comp_targetILNS1_3genE10ELNS1_11target_archE1200ELNS1_3gpuE4ELNS1_3repE0EEENS1_30default_config_static_selectorELNS0_4arch9wavefront6targetE1EEEvSM_: ; @_ZN7rocprim17ROCPRIM_400000_NS6detail17trampoline_kernelINS0_14default_configENS1_22reduce_config_selectorIbEEZNS1_11reduce_implILb1ES3_N6hipcub16HIPCUB_304000_NS22TransformInputIteratorIb7NonZeroIaEPalEEPllNS8_6detail34convert_binary_result_type_wrapperINS8_3SumESD_lEEEE10hipError_tPvRmT1_T2_T3_mT4_P12ihipStream_tbEUlT_E0_NS1_11comp_targetILNS1_3genE10ELNS1_11target_archE1200ELNS1_3gpuE4ELNS1_3repE0EEENS1_30default_config_static_selectorELNS0_4arch9wavefront6targetE1EEEvSM_
; %bb.0:
	.section	.rodata,"a",@progbits
	.p2align	6, 0x0
	.amdhsa_kernel _ZN7rocprim17ROCPRIM_400000_NS6detail17trampoline_kernelINS0_14default_configENS1_22reduce_config_selectorIbEEZNS1_11reduce_implILb1ES3_N6hipcub16HIPCUB_304000_NS22TransformInputIteratorIb7NonZeroIaEPalEEPllNS8_6detail34convert_binary_result_type_wrapperINS8_3SumESD_lEEEE10hipError_tPvRmT1_T2_T3_mT4_P12ihipStream_tbEUlT_E0_NS1_11comp_targetILNS1_3genE10ELNS1_11target_archE1200ELNS1_3gpuE4ELNS1_3repE0EEENS1_30default_config_static_selectorELNS0_4arch9wavefront6targetE1EEEvSM_
		.amdhsa_group_segment_fixed_size 0
		.amdhsa_private_segment_fixed_size 0
		.amdhsa_kernarg_size 72
		.amdhsa_user_sgpr_count 2
		.amdhsa_user_sgpr_dispatch_ptr 0
		.amdhsa_user_sgpr_queue_ptr 0
		.amdhsa_user_sgpr_kernarg_segment_ptr 1
		.amdhsa_user_sgpr_dispatch_id 0
		.amdhsa_user_sgpr_kernarg_preload_length 0
		.amdhsa_user_sgpr_kernarg_preload_offset 0
		.amdhsa_user_sgpr_private_segment_size 0
		.amdhsa_uses_dynamic_stack 0
		.amdhsa_enable_private_segment 0
		.amdhsa_system_sgpr_workgroup_id_x 1
		.amdhsa_system_sgpr_workgroup_id_y 0
		.amdhsa_system_sgpr_workgroup_id_z 0
		.amdhsa_system_sgpr_workgroup_info 0
		.amdhsa_system_vgpr_workitem_id 0
		.amdhsa_next_free_vgpr 1
		.amdhsa_next_free_sgpr 0
		.amdhsa_accum_offset 4
		.amdhsa_reserve_vcc 0
		.amdhsa_float_round_mode_32 0
		.amdhsa_float_round_mode_16_64 0
		.amdhsa_float_denorm_mode_32 3
		.amdhsa_float_denorm_mode_16_64 3
		.amdhsa_dx10_clamp 1
		.amdhsa_ieee_mode 1
		.amdhsa_fp16_overflow 0
		.amdhsa_tg_split 0
		.amdhsa_exception_fp_ieee_invalid_op 0
		.amdhsa_exception_fp_denorm_src 0
		.amdhsa_exception_fp_ieee_div_zero 0
		.amdhsa_exception_fp_ieee_overflow 0
		.amdhsa_exception_fp_ieee_underflow 0
		.amdhsa_exception_fp_ieee_inexact 0
		.amdhsa_exception_int_div_zero 0
	.end_amdhsa_kernel
	.section	.text._ZN7rocprim17ROCPRIM_400000_NS6detail17trampoline_kernelINS0_14default_configENS1_22reduce_config_selectorIbEEZNS1_11reduce_implILb1ES3_N6hipcub16HIPCUB_304000_NS22TransformInputIteratorIb7NonZeroIaEPalEEPllNS8_6detail34convert_binary_result_type_wrapperINS8_3SumESD_lEEEE10hipError_tPvRmT1_T2_T3_mT4_P12ihipStream_tbEUlT_E0_NS1_11comp_targetILNS1_3genE10ELNS1_11target_archE1200ELNS1_3gpuE4ELNS1_3repE0EEENS1_30default_config_static_selectorELNS0_4arch9wavefront6targetE1EEEvSM_,"axG",@progbits,_ZN7rocprim17ROCPRIM_400000_NS6detail17trampoline_kernelINS0_14default_configENS1_22reduce_config_selectorIbEEZNS1_11reduce_implILb1ES3_N6hipcub16HIPCUB_304000_NS22TransformInputIteratorIb7NonZeroIaEPalEEPllNS8_6detail34convert_binary_result_type_wrapperINS8_3SumESD_lEEEE10hipError_tPvRmT1_T2_T3_mT4_P12ihipStream_tbEUlT_E0_NS1_11comp_targetILNS1_3genE10ELNS1_11target_archE1200ELNS1_3gpuE4ELNS1_3repE0EEENS1_30default_config_static_selectorELNS0_4arch9wavefront6targetE1EEEvSM_,comdat
.Lfunc_end24:
	.size	_ZN7rocprim17ROCPRIM_400000_NS6detail17trampoline_kernelINS0_14default_configENS1_22reduce_config_selectorIbEEZNS1_11reduce_implILb1ES3_N6hipcub16HIPCUB_304000_NS22TransformInputIteratorIb7NonZeroIaEPalEEPllNS8_6detail34convert_binary_result_type_wrapperINS8_3SumESD_lEEEE10hipError_tPvRmT1_T2_T3_mT4_P12ihipStream_tbEUlT_E0_NS1_11comp_targetILNS1_3genE10ELNS1_11target_archE1200ELNS1_3gpuE4ELNS1_3repE0EEENS1_30default_config_static_selectorELNS0_4arch9wavefront6targetE1EEEvSM_, .Lfunc_end24-_ZN7rocprim17ROCPRIM_400000_NS6detail17trampoline_kernelINS0_14default_configENS1_22reduce_config_selectorIbEEZNS1_11reduce_implILb1ES3_N6hipcub16HIPCUB_304000_NS22TransformInputIteratorIb7NonZeroIaEPalEEPllNS8_6detail34convert_binary_result_type_wrapperINS8_3SumESD_lEEEE10hipError_tPvRmT1_T2_T3_mT4_P12ihipStream_tbEUlT_E0_NS1_11comp_targetILNS1_3genE10ELNS1_11target_archE1200ELNS1_3gpuE4ELNS1_3repE0EEENS1_30default_config_static_selectorELNS0_4arch9wavefront6targetE1EEEvSM_
                                        ; -- End function
	.set _ZN7rocprim17ROCPRIM_400000_NS6detail17trampoline_kernelINS0_14default_configENS1_22reduce_config_selectorIbEEZNS1_11reduce_implILb1ES3_N6hipcub16HIPCUB_304000_NS22TransformInputIteratorIb7NonZeroIaEPalEEPllNS8_6detail34convert_binary_result_type_wrapperINS8_3SumESD_lEEEE10hipError_tPvRmT1_T2_T3_mT4_P12ihipStream_tbEUlT_E0_NS1_11comp_targetILNS1_3genE10ELNS1_11target_archE1200ELNS1_3gpuE4ELNS1_3repE0EEENS1_30default_config_static_selectorELNS0_4arch9wavefront6targetE1EEEvSM_.num_vgpr, 0
	.set _ZN7rocprim17ROCPRIM_400000_NS6detail17trampoline_kernelINS0_14default_configENS1_22reduce_config_selectorIbEEZNS1_11reduce_implILb1ES3_N6hipcub16HIPCUB_304000_NS22TransformInputIteratorIb7NonZeroIaEPalEEPllNS8_6detail34convert_binary_result_type_wrapperINS8_3SumESD_lEEEE10hipError_tPvRmT1_T2_T3_mT4_P12ihipStream_tbEUlT_E0_NS1_11comp_targetILNS1_3genE10ELNS1_11target_archE1200ELNS1_3gpuE4ELNS1_3repE0EEENS1_30default_config_static_selectorELNS0_4arch9wavefront6targetE1EEEvSM_.num_agpr, 0
	.set _ZN7rocprim17ROCPRIM_400000_NS6detail17trampoline_kernelINS0_14default_configENS1_22reduce_config_selectorIbEEZNS1_11reduce_implILb1ES3_N6hipcub16HIPCUB_304000_NS22TransformInputIteratorIb7NonZeroIaEPalEEPllNS8_6detail34convert_binary_result_type_wrapperINS8_3SumESD_lEEEE10hipError_tPvRmT1_T2_T3_mT4_P12ihipStream_tbEUlT_E0_NS1_11comp_targetILNS1_3genE10ELNS1_11target_archE1200ELNS1_3gpuE4ELNS1_3repE0EEENS1_30default_config_static_selectorELNS0_4arch9wavefront6targetE1EEEvSM_.numbered_sgpr, 0
	.set _ZN7rocprim17ROCPRIM_400000_NS6detail17trampoline_kernelINS0_14default_configENS1_22reduce_config_selectorIbEEZNS1_11reduce_implILb1ES3_N6hipcub16HIPCUB_304000_NS22TransformInputIteratorIb7NonZeroIaEPalEEPllNS8_6detail34convert_binary_result_type_wrapperINS8_3SumESD_lEEEE10hipError_tPvRmT1_T2_T3_mT4_P12ihipStream_tbEUlT_E0_NS1_11comp_targetILNS1_3genE10ELNS1_11target_archE1200ELNS1_3gpuE4ELNS1_3repE0EEENS1_30default_config_static_selectorELNS0_4arch9wavefront6targetE1EEEvSM_.num_named_barrier, 0
	.set _ZN7rocprim17ROCPRIM_400000_NS6detail17trampoline_kernelINS0_14default_configENS1_22reduce_config_selectorIbEEZNS1_11reduce_implILb1ES3_N6hipcub16HIPCUB_304000_NS22TransformInputIteratorIb7NonZeroIaEPalEEPllNS8_6detail34convert_binary_result_type_wrapperINS8_3SumESD_lEEEE10hipError_tPvRmT1_T2_T3_mT4_P12ihipStream_tbEUlT_E0_NS1_11comp_targetILNS1_3genE10ELNS1_11target_archE1200ELNS1_3gpuE4ELNS1_3repE0EEENS1_30default_config_static_selectorELNS0_4arch9wavefront6targetE1EEEvSM_.private_seg_size, 0
	.set _ZN7rocprim17ROCPRIM_400000_NS6detail17trampoline_kernelINS0_14default_configENS1_22reduce_config_selectorIbEEZNS1_11reduce_implILb1ES3_N6hipcub16HIPCUB_304000_NS22TransformInputIteratorIb7NonZeroIaEPalEEPllNS8_6detail34convert_binary_result_type_wrapperINS8_3SumESD_lEEEE10hipError_tPvRmT1_T2_T3_mT4_P12ihipStream_tbEUlT_E0_NS1_11comp_targetILNS1_3genE10ELNS1_11target_archE1200ELNS1_3gpuE4ELNS1_3repE0EEENS1_30default_config_static_selectorELNS0_4arch9wavefront6targetE1EEEvSM_.uses_vcc, 0
	.set _ZN7rocprim17ROCPRIM_400000_NS6detail17trampoline_kernelINS0_14default_configENS1_22reduce_config_selectorIbEEZNS1_11reduce_implILb1ES3_N6hipcub16HIPCUB_304000_NS22TransformInputIteratorIb7NonZeroIaEPalEEPllNS8_6detail34convert_binary_result_type_wrapperINS8_3SumESD_lEEEE10hipError_tPvRmT1_T2_T3_mT4_P12ihipStream_tbEUlT_E0_NS1_11comp_targetILNS1_3genE10ELNS1_11target_archE1200ELNS1_3gpuE4ELNS1_3repE0EEENS1_30default_config_static_selectorELNS0_4arch9wavefront6targetE1EEEvSM_.uses_flat_scratch, 0
	.set _ZN7rocprim17ROCPRIM_400000_NS6detail17trampoline_kernelINS0_14default_configENS1_22reduce_config_selectorIbEEZNS1_11reduce_implILb1ES3_N6hipcub16HIPCUB_304000_NS22TransformInputIteratorIb7NonZeroIaEPalEEPllNS8_6detail34convert_binary_result_type_wrapperINS8_3SumESD_lEEEE10hipError_tPvRmT1_T2_T3_mT4_P12ihipStream_tbEUlT_E0_NS1_11comp_targetILNS1_3genE10ELNS1_11target_archE1200ELNS1_3gpuE4ELNS1_3repE0EEENS1_30default_config_static_selectorELNS0_4arch9wavefront6targetE1EEEvSM_.has_dyn_sized_stack, 0
	.set _ZN7rocprim17ROCPRIM_400000_NS6detail17trampoline_kernelINS0_14default_configENS1_22reduce_config_selectorIbEEZNS1_11reduce_implILb1ES3_N6hipcub16HIPCUB_304000_NS22TransformInputIteratorIb7NonZeroIaEPalEEPllNS8_6detail34convert_binary_result_type_wrapperINS8_3SumESD_lEEEE10hipError_tPvRmT1_T2_T3_mT4_P12ihipStream_tbEUlT_E0_NS1_11comp_targetILNS1_3genE10ELNS1_11target_archE1200ELNS1_3gpuE4ELNS1_3repE0EEENS1_30default_config_static_selectorELNS0_4arch9wavefront6targetE1EEEvSM_.has_recursion, 0
	.set _ZN7rocprim17ROCPRIM_400000_NS6detail17trampoline_kernelINS0_14default_configENS1_22reduce_config_selectorIbEEZNS1_11reduce_implILb1ES3_N6hipcub16HIPCUB_304000_NS22TransformInputIteratorIb7NonZeroIaEPalEEPllNS8_6detail34convert_binary_result_type_wrapperINS8_3SumESD_lEEEE10hipError_tPvRmT1_T2_T3_mT4_P12ihipStream_tbEUlT_E0_NS1_11comp_targetILNS1_3genE10ELNS1_11target_archE1200ELNS1_3gpuE4ELNS1_3repE0EEENS1_30default_config_static_selectorELNS0_4arch9wavefront6targetE1EEEvSM_.has_indirect_call, 0
	.section	.AMDGPU.csdata,"",@progbits
; Kernel info:
; codeLenInByte = 0
; TotalNumSgprs: 6
; NumVgprs: 0
; NumAgprs: 0
; TotalNumVgprs: 0
; ScratchSize: 0
; MemoryBound: 0
; FloatMode: 240
; IeeeMode: 1
; LDSByteSize: 0 bytes/workgroup (compile time only)
; SGPRBlocks: 0
; VGPRBlocks: 0
; NumSGPRsForWavesPerEU: 6
; NumVGPRsForWavesPerEU: 1
; AccumOffset: 4
; Occupancy: 8
; WaveLimiterHint : 0
; COMPUTE_PGM_RSRC2:SCRATCH_EN: 0
; COMPUTE_PGM_RSRC2:USER_SGPR: 2
; COMPUTE_PGM_RSRC2:TRAP_HANDLER: 0
; COMPUTE_PGM_RSRC2:TGID_X_EN: 1
; COMPUTE_PGM_RSRC2:TGID_Y_EN: 0
; COMPUTE_PGM_RSRC2:TGID_Z_EN: 0
; COMPUTE_PGM_RSRC2:TIDIG_COMP_CNT: 0
; COMPUTE_PGM_RSRC3_GFX90A:ACCUM_OFFSET: 0
; COMPUTE_PGM_RSRC3_GFX90A:TG_SPLIT: 0
	.section	.text._ZN7rocprim17ROCPRIM_400000_NS6detail17trampoline_kernelINS0_14default_configENS1_22reduce_config_selectorIbEEZNS1_11reduce_implILb1ES3_N6hipcub16HIPCUB_304000_NS22TransformInputIteratorIb7NonZeroIaEPalEEPllNS8_6detail34convert_binary_result_type_wrapperINS8_3SumESD_lEEEE10hipError_tPvRmT1_T2_T3_mT4_P12ihipStream_tbEUlT_E0_NS1_11comp_targetILNS1_3genE9ELNS1_11target_archE1100ELNS1_3gpuE3ELNS1_3repE0EEENS1_30default_config_static_selectorELNS0_4arch9wavefront6targetE1EEEvSM_,"axG",@progbits,_ZN7rocprim17ROCPRIM_400000_NS6detail17trampoline_kernelINS0_14default_configENS1_22reduce_config_selectorIbEEZNS1_11reduce_implILb1ES3_N6hipcub16HIPCUB_304000_NS22TransformInputIteratorIb7NonZeroIaEPalEEPllNS8_6detail34convert_binary_result_type_wrapperINS8_3SumESD_lEEEE10hipError_tPvRmT1_T2_T3_mT4_P12ihipStream_tbEUlT_E0_NS1_11comp_targetILNS1_3genE9ELNS1_11target_archE1100ELNS1_3gpuE3ELNS1_3repE0EEENS1_30default_config_static_selectorELNS0_4arch9wavefront6targetE1EEEvSM_,comdat
	.protected	_ZN7rocprim17ROCPRIM_400000_NS6detail17trampoline_kernelINS0_14default_configENS1_22reduce_config_selectorIbEEZNS1_11reduce_implILb1ES3_N6hipcub16HIPCUB_304000_NS22TransformInputIteratorIb7NonZeroIaEPalEEPllNS8_6detail34convert_binary_result_type_wrapperINS8_3SumESD_lEEEE10hipError_tPvRmT1_T2_T3_mT4_P12ihipStream_tbEUlT_E0_NS1_11comp_targetILNS1_3genE9ELNS1_11target_archE1100ELNS1_3gpuE3ELNS1_3repE0EEENS1_30default_config_static_selectorELNS0_4arch9wavefront6targetE1EEEvSM_ ; -- Begin function _ZN7rocprim17ROCPRIM_400000_NS6detail17trampoline_kernelINS0_14default_configENS1_22reduce_config_selectorIbEEZNS1_11reduce_implILb1ES3_N6hipcub16HIPCUB_304000_NS22TransformInputIteratorIb7NonZeroIaEPalEEPllNS8_6detail34convert_binary_result_type_wrapperINS8_3SumESD_lEEEE10hipError_tPvRmT1_T2_T3_mT4_P12ihipStream_tbEUlT_E0_NS1_11comp_targetILNS1_3genE9ELNS1_11target_archE1100ELNS1_3gpuE3ELNS1_3repE0EEENS1_30default_config_static_selectorELNS0_4arch9wavefront6targetE1EEEvSM_
	.globl	_ZN7rocprim17ROCPRIM_400000_NS6detail17trampoline_kernelINS0_14default_configENS1_22reduce_config_selectorIbEEZNS1_11reduce_implILb1ES3_N6hipcub16HIPCUB_304000_NS22TransformInputIteratorIb7NonZeroIaEPalEEPllNS8_6detail34convert_binary_result_type_wrapperINS8_3SumESD_lEEEE10hipError_tPvRmT1_T2_T3_mT4_P12ihipStream_tbEUlT_E0_NS1_11comp_targetILNS1_3genE9ELNS1_11target_archE1100ELNS1_3gpuE3ELNS1_3repE0EEENS1_30default_config_static_selectorELNS0_4arch9wavefront6targetE1EEEvSM_
	.p2align	8
	.type	_ZN7rocprim17ROCPRIM_400000_NS6detail17trampoline_kernelINS0_14default_configENS1_22reduce_config_selectorIbEEZNS1_11reduce_implILb1ES3_N6hipcub16HIPCUB_304000_NS22TransformInputIteratorIb7NonZeroIaEPalEEPllNS8_6detail34convert_binary_result_type_wrapperINS8_3SumESD_lEEEE10hipError_tPvRmT1_T2_T3_mT4_P12ihipStream_tbEUlT_E0_NS1_11comp_targetILNS1_3genE9ELNS1_11target_archE1100ELNS1_3gpuE3ELNS1_3repE0EEENS1_30default_config_static_selectorELNS0_4arch9wavefront6targetE1EEEvSM_,@function
_ZN7rocprim17ROCPRIM_400000_NS6detail17trampoline_kernelINS0_14default_configENS1_22reduce_config_selectorIbEEZNS1_11reduce_implILb1ES3_N6hipcub16HIPCUB_304000_NS22TransformInputIteratorIb7NonZeroIaEPalEEPllNS8_6detail34convert_binary_result_type_wrapperINS8_3SumESD_lEEEE10hipError_tPvRmT1_T2_T3_mT4_P12ihipStream_tbEUlT_E0_NS1_11comp_targetILNS1_3genE9ELNS1_11target_archE1100ELNS1_3gpuE3ELNS1_3repE0EEENS1_30default_config_static_selectorELNS0_4arch9wavefront6targetE1EEEvSM_: ; @_ZN7rocprim17ROCPRIM_400000_NS6detail17trampoline_kernelINS0_14default_configENS1_22reduce_config_selectorIbEEZNS1_11reduce_implILb1ES3_N6hipcub16HIPCUB_304000_NS22TransformInputIteratorIb7NonZeroIaEPalEEPllNS8_6detail34convert_binary_result_type_wrapperINS8_3SumESD_lEEEE10hipError_tPvRmT1_T2_T3_mT4_P12ihipStream_tbEUlT_E0_NS1_11comp_targetILNS1_3genE9ELNS1_11target_archE1100ELNS1_3gpuE3ELNS1_3repE0EEENS1_30default_config_static_selectorELNS0_4arch9wavefront6targetE1EEEvSM_
; %bb.0:
	.section	.rodata,"a",@progbits
	.p2align	6, 0x0
	.amdhsa_kernel _ZN7rocprim17ROCPRIM_400000_NS6detail17trampoline_kernelINS0_14default_configENS1_22reduce_config_selectorIbEEZNS1_11reduce_implILb1ES3_N6hipcub16HIPCUB_304000_NS22TransformInputIteratorIb7NonZeroIaEPalEEPllNS8_6detail34convert_binary_result_type_wrapperINS8_3SumESD_lEEEE10hipError_tPvRmT1_T2_T3_mT4_P12ihipStream_tbEUlT_E0_NS1_11comp_targetILNS1_3genE9ELNS1_11target_archE1100ELNS1_3gpuE3ELNS1_3repE0EEENS1_30default_config_static_selectorELNS0_4arch9wavefront6targetE1EEEvSM_
		.amdhsa_group_segment_fixed_size 0
		.amdhsa_private_segment_fixed_size 0
		.amdhsa_kernarg_size 72
		.amdhsa_user_sgpr_count 2
		.amdhsa_user_sgpr_dispatch_ptr 0
		.amdhsa_user_sgpr_queue_ptr 0
		.amdhsa_user_sgpr_kernarg_segment_ptr 1
		.amdhsa_user_sgpr_dispatch_id 0
		.amdhsa_user_sgpr_kernarg_preload_length 0
		.amdhsa_user_sgpr_kernarg_preload_offset 0
		.amdhsa_user_sgpr_private_segment_size 0
		.amdhsa_uses_dynamic_stack 0
		.amdhsa_enable_private_segment 0
		.amdhsa_system_sgpr_workgroup_id_x 1
		.amdhsa_system_sgpr_workgroup_id_y 0
		.amdhsa_system_sgpr_workgroup_id_z 0
		.amdhsa_system_sgpr_workgroup_info 0
		.amdhsa_system_vgpr_workitem_id 0
		.amdhsa_next_free_vgpr 1
		.amdhsa_next_free_sgpr 0
		.amdhsa_accum_offset 4
		.amdhsa_reserve_vcc 0
		.amdhsa_float_round_mode_32 0
		.amdhsa_float_round_mode_16_64 0
		.amdhsa_float_denorm_mode_32 3
		.amdhsa_float_denorm_mode_16_64 3
		.amdhsa_dx10_clamp 1
		.amdhsa_ieee_mode 1
		.amdhsa_fp16_overflow 0
		.amdhsa_tg_split 0
		.amdhsa_exception_fp_ieee_invalid_op 0
		.amdhsa_exception_fp_denorm_src 0
		.amdhsa_exception_fp_ieee_div_zero 0
		.amdhsa_exception_fp_ieee_overflow 0
		.amdhsa_exception_fp_ieee_underflow 0
		.amdhsa_exception_fp_ieee_inexact 0
		.amdhsa_exception_int_div_zero 0
	.end_amdhsa_kernel
	.section	.text._ZN7rocprim17ROCPRIM_400000_NS6detail17trampoline_kernelINS0_14default_configENS1_22reduce_config_selectorIbEEZNS1_11reduce_implILb1ES3_N6hipcub16HIPCUB_304000_NS22TransformInputIteratorIb7NonZeroIaEPalEEPllNS8_6detail34convert_binary_result_type_wrapperINS8_3SumESD_lEEEE10hipError_tPvRmT1_T2_T3_mT4_P12ihipStream_tbEUlT_E0_NS1_11comp_targetILNS1_3genE9ELNS1_11target_archE1100ELNS1_3gpuE3ELNS1_3repE0EEENS1_30default_config_static_selectorELNS0_4arch9wavefront6targetE1EEEvSM_,"axG",@progbits,_ZN7rocprim17ROCPRIM_400000_NS6detail17trampoline_kernelINS0_14default_configENS1_22reduce_config_selectorIbEEZNS1_11reduce_implILb1ES3_N6hipcub16HIPCUB_304000_NS22TransformInputIteratorIb7NonZeroIaEPalEEPllNS8_6detail34convert_binary_result_type_wrapperINS8_3SumESD_lEEEE10hipError_tPvRmT1_T2_T3_mT4_P12ihipStream_tbEUlT_E0_NS1_11comp_targetILNS1_3genE9ELNS1_11target_archE1100ELNS1_3gpuE3ELNS1_3repE0EEENS1_30default_config_static_selectorELNS0_4arch9wavefront6targetE1EEEvSM_,comdat
.Lfunc_end25:
	.size	_ZN7rocprim17ROCPRIM_400000_NS6detail17trampoline_kernelINS0_14default_configENS1_22reduce_config_selectorIbEEZNS1_11reduce_implILb1ES3_N6hipcub16HIPCUB_304000_NS22TransformInputIteratorIb7NonZeroIaEPalEEPllNS8_6detail34convert_binary_result_type_wrapperINS8_3SumESD_lEEEE10hipError_tPvRmT1_T2_T3_mT4_P12ihipStream_tbEUlT_E0_NS1_11comp_targetILNS1_3genE9ELNS1_11target_archE1100ELNS1_3gpuE3ELNS1_3repE0EEENS1_30default_config_static_selectorELNS0_4arch9wavefront6targetE1EEEvSM_, .Lfunc_end25-_ZN7rocprim17ROCPRIM_400000_NS6detail17trampoline_kernelINS0_14default_configENS1_22reduce_config_selectorIbEEZNS1_11reduce_implILb1ES3_N6hipcub16HIPCUB_304000_NS22TransformInputIteratorIb7NonZeroIaEPalEEPllNS8_6detail34convert_binary_result_type_wrapperINS8_3SumESD_lEEEE10hipError_tPvRmT1_T2_T3_mT4_P12ihipStream_tbEUlT_E0_NS1_11comp_targetILNS1_3genE9ELNS1_11target_archE1100ELNS1_3gpuE3ELNS1_3repE0EEENS1_30default_config_static_selectorELNS0_4arch9wavefront6targetE1EEEvSM_
                                        ; -- End function
	.set _ZN7rocprim17ROCPRIM_400000_NS6detail17trampoline_kernelINS0_14default_configENS1_22reduce_config_selectorIbEEZNS1_11reduce_implILb1ES3_N6hipcub16HIPCUB_304000_NS22TransformInputIteratorIb7NonZeroIaEPalEEPllNS8_6detail34convert_binary_result_type_wrapperINS8_3SumESD_lEEEE10hipError_tPvRmT1_T2_T3_mT4_P12ihipStream_tbEUlT_E0_NS1_11comp_targetILNS1_3genE9ELNS1_11target_archE1100ELNS1_3gpuE3ELNS1_3repE0EEENS1_30default_config_static_selectorELNS0_4arch9wavefront6targetE1EEEvSM_.num_vgpr, 0
	.set _ZN7rocprim17ROCPRIM_400000_NS6detail17trampoline_kernelINS0_14default_configENS1_22reduce_config_selectorIbEEZNS1_11reduce_implILb1ES3_N6hipcub16HIPCUB_304000_NS22TransformInputIteratorIb7NonZeroIaEPalEEPllNS8_6detail34convert_binary_result_type_wrapperINS8_3SumESD_lEEEE10hipError_tPvRmT1_T2_T3_mT4_P12ihipStream_tbEUlT_E0_NS1_11comp_targetILNS1_3genE9ELNS1_11target_archE1100ELNS1_3gpuE3ELNS1_3repE0EEENS1_30default_config_static_selectorELNS0_4arch9wavefront6targetE1EEEvSM_.num_agpr, 0
	.set _ZN7rocprim17ROCPRIM_400000_NS6detail17trampoline_kernelINS0_14default_configENS1_22reduce_config_selectorIbEEZNS1_11reduce_implILb1ES3_N6hipcub16HIPCUB_304000_NS22TransformInputIteratorIb7NonZeroIaEPalEEPllNS8_6detail34convert_binary_result_type_wrapperINS8_3SumESD_lEEEE10hipError_tPvRmT1_T2_T3_mT4_P12ihipStream_tbEUlT_E0_NS1_11comp_targetILNS1_3genE9ELNS1_11target_archE1100ELNS1_3gpuE3ELNS1_3repE0EEENS1_30default_config_static_selectorELNS0_4arch9wavefront6targetE1EEEvSM_.numbered_sgpr, 0
	.set _ZN7rocprim17ROCPRIM_400000_NS6detail17trampoline_kernelINS0_14default_configENS1_22reduce_config_selectorIbEEZNS1_11reduce_implILb1ES3_N6hipcub16HIPCUB_304000_NS22TransformInputIteratorIb7NonZeroIaEPalEEPllNS8_6detail34convert_binary_result_type_wrapperINS8_3SumESD_lEEEE10hipError_tPvRmT1_T2_T3_mT4_P12ihipStream_tbEUlT_E0_NS1_11comp_targetILNS1_3genE9ELNS1_11target_archE1100ELNS1_3gpuE3ELNS1_3repE0EEENS1_30default_config_static_selectorELNS0_4arch9wavefront6targetE1EEEvSM_.num_named_barrier, 0
	.set _ZN7rocprim17ROCPRIM_400000_NS6detail17trampoline_kernelINS0_14default_configENS1_22reduce_config_selectorIbEEZNS1_11reduce_implILb1ES3_N6hipcub16HIPCUB_304000_NS22TransformInputIteratorIb7NonZeroIaEPalEEPllNS8_6detail34convert_binary_result_type_wrapperINS8_3SumESD_lEEEE10hipError_tPvRmT1_T2_T3_mT4_P12ihipStream_tbEUlT_E0_NS1_11comp_targetILNS1_3genE9ELNS1_11target_archE1100ELNS1_3gpuE3ELNS1_3repE0EEENS1_30default_config_static_selectorELNS0_4arch9wavefront6targetE1EEEvSM_.private_seg_size, 0
	.set _ZN7rocprim17ROCPRIM_400000_NS6detail17trampoline_kernelINS0_14default_configENS1_22reduce_config_selectorIbEEZNS1_11reduce_implILb1ES3_N6hipcub16HIPCUB_304000_NS22TransformInputIteratorIb7NonZeroIaEPalEEPllNS8_6detail34convert_binary_result_type_wrapperINS8_3SumESD_lEEEE10hipError_tPvRmT1_T2_T3_mT4_P12ihipStream_tbEUlT_E0_NS1_11comp_targetILNS1_3genE9ELNS1_11target_archE1100ELNS1_3gpuE3ELNS1_3repE0EEENS1_30default_config_static_selectorELNS0_4arch9wavefront6targetE1EEEvSM_.uses_vcc, 0
	.set _ZN7rocprim17ROCPRIM_400000_NS6detail17trampoline_kernelINS0_14default_configENS1_22reduce_config_selectorIbEEZNS1_11reduce_implILb1ES3_N6hipcub16HIPCUB_304000_NS22TransformInputIteratorIb7NonZeroIaEPalEEPllNS8_6detail34convert_binary_result_type_wrapperINS8_3SumESD_lEEEE10hipError_tPvRmT1_T2_T3_mT4_P12ihipStream_tbEUlT_E0_NS1_11comp_targetILNS1_3genE9ELNS1_11target_archE1100ELNS1_3gpuE3ELNS1_3repE0EEENS1_30default_config_static_selectorELNS0_4arch9wavefront6targetE1EEEvSM_.uses_flat_scratch, 0
	.set _ZN7rocprim17ROCPRIM_400000_NS6detail17trampoline_kernelINS0_14default_configENS1_22reduce_config_selectorIbEEZNS1_11reduce_implILb1ES3_N6hipcub16HIPCUB_304000_NS22TransformInputIteratorIb7NonZeroIaEPalEEPllNS8_6detail34convert_binary_result_type_wrapperINS8_3SumESD_lEEEE10hipError_tPvRmT1_T2_T3_mT4_P12ihipStream_tbEUlT_E0_NS1_11comp_targetILNS1_3genE9ELNS1_11target_archE1100ELNS1_3gpuE3ELNS1_3repE0EEENS1_30default_config_static_selectorELNS0_4arch9wavefront6targetE1EEEvSM_.has_dyn_sized_stack, 0
	.set _ZN7rocprim17ROCPRIM_400000_NS6detail17trampoline_kernelINS0_14default_configENS1_22reduce_config_selectorIbEEZNS1_11reduce_implILb1ES3_N6hipcub16HIPCUB_304000_NS22TransformInputIteratorIb7NonZeroIaEPalEEPllNS8_6detail34convert_binary_result_type_wrapperINS8_3SumESD_lEEEE10hipError_tPvRmT1_T2_T3_mT4_P12ihipStream_tbEUlT_E0_NS1_11comp_targetILNS1_3genE9ELNS1_11target_archE1100ELNS1_3gpuE3ELNS1_3repE0EEENS1_30default_config_static_selectorELNS0_4arch9wavefront6targetE1EEEvSM_.has_recursion, 0
	.set _ZN7rocprim17ROCPRIM_400000_NS6detail17trampoline_kernelINS0_14default_configENS1_22reduce_config_selectorIbEEZNS1_11reduce_implILb1ES3_N6hipcub16HIPCUB_304000_NS22TransformInputIteratorIb7NonZeroIaEPalEEPllNS8_6detail34convert_binary_result_type_wrapperINS8_3SumESD_lEEEE10hipError_tPvRmT1_T2_T3_mT4_P12ihipStream_tbEUlT_E0_NS1_11comp_targetILNS1_3genE9ELNS1_11target_archE1100ELNS1_3gpuE3ELNS1_3repE0EEENS1_30default_config_static_selectorELNS0_4arch9wavefront6targetE1EEEvSM_.has_indirect_call, 0
	.section	.AMDGPU.csdata,"",@progbits
; Kernel info:
; codeLenInByte = 0
; TotalNumSgprs: 6
; NumVgprs: 0
; NumAgprs: 0
; TotalNumVgprs: 0
; ScratchSize: 0
; MemoryBound: 0
; FloatMode: 240
; IeeeMode: 1
; LDSByteSize: 0 bytes/workgroup (compile time only)
; SGPRBlocks: 0
; VGPRBlocks: 0
; NumSGPRsForWavesPerEU: 6
; NumVGPRsForWavesPerEU: 1
; AccumOffset: 4
; Occupancy: 8
; WaveLimiterHint : 0
; COMPUTE_PGM_RSRC2:SCRATCH_EN: 0
; COMPUTE_PGM_RSRC2:USER_SGPR: 2
; COMPUTE_PGM_RSRC2:TRAP_HANDLER: 0
; COMPUTE_PGM_RSRC2:TGID_X_EN: 1
; COMPUTE_PGM_RSRC2:TGID_Y_EN: 0
; COMPUTE_PGM_RSRC2:TGID_Z_EN: 0
; COMPUTE_PGM_RSRC2:TIDIG_COMP_CNT: 0
; COMPUTE_PGM_RSRC3_GFX90A:ACCUM_OFFSET: 0
; COMPUTE_PGM_RSRC3_GFX90A:TG_SPLIT: 0
	.section	.text._ZN7rocprim17ROCPRIM_400000_NS6detail17trampoline_kernelINS0_14default_configENS1_22reduce_config_selectorIbEEZNS1_11reduce_implILb1ES3_N6hipcub16HIPCUB_304000_NS22TransformInputIteratorIb7NonZeroIaEPalEEPllNS8_6detail34convert_binary_result_type_wrapperINS8_3SumESD_lEEEE10hipError_tPvRmT1_T2_T3_mT4_P12ihipStream_tbEUlT_E0_NS1_11comp_targetILNS1_3genE8ELNS1_11target_archE1030ELNS1_3gpuE2ELNS1_3repE0EEENS1_30default_config_static_selectorELNS0_4arch9wavefront6targetE1EEEvSM_,"axG",@progbits,_ZN7rocprim17ROCPRIM_400000_NS6detail17trampoline_kernelINS0_14default_configENS1_22reduce_config_selectorIbEEZNS1_11reduce_implILb1ES3_N6hipcub16HIPCUB_304000_NS22TransformInputIteratorIb7NonZeroIaEPalEEPllNS8_6detail34convert_binary_result_type_wrapperINS8_3SumESD_lEEEE10hipError_tPvRmT1_T2_T3_mT4_P12ihipStream_tbEUlT_E0_NS1_11comp_targetILNS1_3genE8ELNS1_11target_archE1030ELNS1_3gpuE2ELNS1_3repE0EEENS1_30default_config_static_selectorELNS0_4arch9wavefront6targetE1EEEvSM_,comdat
	.protected	_ZN7rocprim17ROCPRIM_400000_NS6detail17trampoline_kernelINS0_14default_configENS1_22reduce_config_selectorIbEEZNS1_11reduce_implILb1ES3_N6hipcub16HIPCUB_304000_NS22TransformInputIteratorIb7NonZeroIaEPalEEPllNS8_6detail34convert_binary_result_type_wrapperINS8_3SumESD_lEEEE10hipError_tPvRmT1_T2_T3_mT4_P12ihipStream_tbEUlT_E0_NS1_11comp_targetILNS1_3genE8ELNS1_11target_archE1030ELNS1_3gpuE2ELNS1_3repE0EEENS1_30default_config_static_selectorELNS0_4arch9wavefront6targetE1EEEvSM_ ; -- Begin function _ZN7rocprim17ROCPRIM_400000_NS6detail17trampoline_kernelINS0_14default_configENS1_22reduce_config_selectorIbEEZNS1_11reduce_implILb1ES3_N6hipcub16HIPCUB_304000_NS22TransformInputIteratorIb7NonZeroIaEPalEEPllNS8_6detail34convert_binary_result_type_wrapperINS8_3SumESD_lEEEE10hipError_tPvRmT1_T2_T3_mT4_P12ihipStream_tbEUlT_E0_NS1_11comp_targetILNS1_3genE8ELNS1_11target_archE1030ELNS1_3gpuE2ELNS1_3repE0EEENS1_30default_config_static_selectorELNS0_4arch9wavefront6targetE1EEEvSM_
	.globl	_ZN7rocprim17ROCPRIM_400000_NS6detail17trampoline_kernelINS0_14default_configENS1_22reduce_config_selectorIbEEZNS1_11reduce_implILb1ES3_N6hipcub16HIPCUB_304000_NS22TransformInputIteratorIb7NonZeroIaEPalEEPllNS8_6detail34convert_binary_result_type_wrapperINS8_3SumESD_lEEEE10hipError_tPvRmT1_T2_T3_mT4_P12ihipStream_tbEUlT_E0_NS1_11comp_targetILNS1_3genE8ELNS1_11target_archE1030ELNS1_3gpuE2ELNS1_3repE0EEENS1_30default_config_static_selectorELNS0_4arch9wavefront6targetE1EEEvSM_
	.p2align	8
	.type	_ZN7rocprim17ROCPRIM_400000_NS6detail17trampoline_kernelINS0_14default_configENS1_22reduce_config_selectorIbEEZNS1_11reduce_implILb1ES3_N6hipcub16HIPCUB_304000_NS22TransformInputIteratorIb7NonZeroIaEPalEEPllNS8_6detail34convert_binary_result_type_wrapperINS8_3SumESD_lEEEE10hipError_tPvRmT1_T2_T3_mT4_P12ihipStream_tbEUlT_E0_NS1_11comp_targetILNS1_3genE8ELNS1_11target_archE1030ELNS1_3gpuE2ELNS1_3repE0EEENS1_30default_config_static_selectorELNS0_4arch9wavefront6targetE1EEEvSM_,@function
_ZN7rocprim17ROCPRIM_400000_NS6detail17trampoline_kernelINS0_14default_configENS1_22reduce_config_selectorIbEEZNS1_11reduce_implILb1ES3_N6hipcub16HIPCUB_304000_NS22TransformInputIteratorIb7NonZeroIaEPalEEPllNS8_6detail34convert_binary_result_type_wrapperINS8_3SumESD_lEEEE10hipError_tPvRmT1_T2_T3_mT4_P12ihipStream_tbEUlT_E0_NS1_11comp_targetILNS1_3genE8ELNS1_11target_archE1030ELNS1_3gpuE2ELNS1_3repE0EEENS1_30default_config_static_selectorELNS0_4arch9wavefront6targetE1EEEvSM_: ; @_ZN7rocprim17ROCPRIM_400000_NS6detail17trampoline_kernelINS0_14default_configENS1_22reduce_config_selectorIbEEZNS1_11reduce_implILb1ES3_N6hipcub16HIPCUB_304000_NS22TransformInputIteratorIb7NonZeroIaEPalEEPllNS8_6detail34convert_binary_result_type_wrapperINS8_3SumESD_lEEEE10hipError_tPvRmT1_T2_T3_mT4_P12ihipStream_tbEUlT_E0_NS1_11comp_targetILNS1_3genE8ELNS1_11target_archE1030ELNS1_3gpuE2ELNS1_3repE0EEENS1_30default_config_static_selectorELNS0_4arch9wavefront6targetE1EEEvSM_
; %bb.0:
	.section	.rodata,"a",@progbits
	.p2align	6, 0x0
	.amdhsa_kernel _ZN7rocprim17ROCPRIM_400000_NS6detail17trampoline_kernelINS0_14default_configENS1_22reduce_config_selectorIbEEZNS1_11reduce_implILb1ES3_N6hipcub16HIPCUB_304000_NS22TransformInputIteratorIb7NonZeroIaEPalEEPllNS8_6detail34convert_binary_result_type_wrapperINS8_3SumESD_lEEEE10hipError_tPvRmT1_T2_T3_mT4_P12ihipStream_tbEUlT_E0_NS1_11comp_targetILNS1_3genE8ELNS1_11target_archE1030ELNS1_3gpuE2ELNS1_3repE0EEENS1_30default_config_static_selectorELNS0_4arch9wavefront6targetE1EEEvSM_
		.amdhsa_group_segment_fixed_size 0
		.amdhsa_private_segment_fixed_size 0
		.amdhsa_kernarg_size 72
		.amdhsa_user_sgpr_count 2
		.amdhsa_user_sgpr_dispatch_ptr 0
		.amdhsa_user_sgpr_queue_ptr 0
		.amdhsa_user_sgpr_kernarg_segment_ptr 1
		.amdhsa_user_sgpr_dispatch_id 0
		.amdhsa_user_sgpr_kernarg_preload_length 0
		.amdhsa_user_sgpr_kernarg_preload_offset 0
		.amdhsa_user_sgpr_private_segment_size 0
		.amdhsa_uses_dynamic_stack 0
		.amdhsa_enable_private_segment 0
		.amdhsa_system_sgpr_workgroup_id_x 1
		.amdhsa_system_sgpr_workgroup_id_y 0
		.amdhsa_system_sgpr_workgroup_id_z 0
		.amdhsa_system_sgpr_workgroup_info 0
		.amdhsa_system_vgpr_workitem_id 0
		.amdhsa_next_free_vgpr 1
		.amdhsa_next_free_sgpr 0
		.amdhsa_accum_offset 4
		.amdhsa_reserve_vcc 0
		.amdhsa_float_round_mode_32 0
		.amdhsa_float_round_mode_16_64 0
		.amdhsa_float_denorm_mode_32 3
		.amdhsa_float_denorm_mode_16_64 3
		.amdhsa_dx10_clamp 1
		.amdhsa_ieee_mode 1
		.amdhsa_fp16_overflow 0
		.amdhsa_tg_split 0
		.amdhsa_exception_fp_ieee_invalid_op 0
		.amdhsa_exception_fp_denorm_src 0
		.amdhsa_exception_fp_ieee_div_zero 0
		.amdhsa_exception_fp_ieee_overflow 0
		.amdhsa_exception_fp_ieee_underflow 0
		.amdhsa_exception_fp_ieee_inexact 0
		.amdhsa_exception_int_div_zero 0
	.end_amdhsa_kernel
	.section	.text._ZN7rocprim17ROCPRIM_400000_NS6detail17trampoline_kernelINS0_14default_configENS1_22reduce_config_selectorIbEEZNS1_11reduce_implILb1ES3_N6hipcub16HIPCUB_304000_NS22TransformInputIteratorIb7NonZeroIaEPalEEPllNS8_6detail34convert_binary_result_type_wrapperINS8_3SumESD_lEEEE10hipError_tPvRmT1_T2_T3_mT4_P12ihipStream_tbEUlT_E0_NS1_11comp_targetILNS1_3genE8ELNS1_11target_archE1030ELNS1_3gpuE2ELNS1_3repE0EEENS1_30default_config_static_selectorELNS0_4arch9wavefront6targetE1EEEvSM_,"axG",@progbits,_ZN7rocprim17ROCPRIM_400000_NS6detail17trampoline_kernelINS0_14default_configENS1_22reduce_config_selectorIbEEZNS1_11reduce_implILb1ES3_N6hipcub16HIPCUB_304000_NS22TransformInputIteratorIb7NonZeroIaEPalEEPllNS8_6detail34convert_binary_result_type_wrapperINS8_3SumESD_lEEEE10hipError_tPvRmT1_T2_T3_mT4_P12ihipStream_tbEUlT_E0_NS1_11comp_targetILNS1_3genE8ELNS1_11target_archE1030ELNS1_3gpuE2ELNS1_3repE0EEENS1_30default_config_static_selectorELNS0_4arch9wavefront6targetE1EEEvSM_,comdat
.Lfunc_end26:
	.size	_ZN7rocprim17ROCPRIM_400000_NS6detail17trampoline_kernelINS0_14default_configENS1_22reduce_config_selectorIbEEZNS1_11reduce_implILb1ES3_N6hipcub16HIPCUB_304000_NS22TransformInputIteratorIb7NonZeroIaEPalEEPllNS8_6detail34convert_binary_result_type_wrapperINS8_3SumESD_lEEEE10hipError_tPvRmT1_T2_T3_mT4_P12ihipStream_tbEUlT_E0_NS1_11comp_targetILNS1_3genE8ELNS1_11target_archE1030ELNS1_3gpuE2ELNS1_3repE0EEENS1_30default_config_static_selectorELNS0_4arch9wavefront6targetE1EEEvSM_, .Lfunc_end26-_ZN7rocprim17ROCPRIM_400000_NS6detail17trampoline_kernelINS0_14default_configENS1_22reduce_config_selectorIbEEZNS1_11reduce_implILb1ES3_N6hipcub16HIPCUB_304000_NS22TransformInputIteratorIb7NonZeroIaEPalEEPllNS8_6detail34convert_binary_result_type_wrapperINS8_3SumESD_lEEEE10hipError_tPvRmT1_T2_T3_mT4_P12ihipStream_tbEUlT_E0_NS1_11comp_targetILNS1_3genE8ELNS1_11target_archE1030ELNS1_3gpuE2ELNS1_3repE0EEENS1_30default_config_static_selectorELNS0_4arch9wavefront6targetE1EEEvSM_
                                        ; -- End function
	.set _ZN7rocprim17ROCPRIM_400000_NS6detail17trampoline_kernelINS0_14default_configENS1_22reduce_config_selectorIbEEZNS1_11reduce_implILb1ES3_N6hipcub16HIPCUB_304000_NS22TransformInputIteratorIb7NonZeroIaEPalEEPllNS8_6detail34convert_binary_result_type_wrapperINS8_3SumESD_lEEEE10hipError_tPvRmT1_T2_T3_mT4_P12ihipStream_tbEUlT_E0_NS1_11comp_targetILNS1_3genE8ELNS1_11target_archE1030ELNS1_3gpuE2ELNS1_3repE0EEENS1_30default_config_static_selectorELNS0_4arch9wavefront6targetE1EEEvSM_.num_vgpr, 0
	.set _ZN7rocprim17ROCPRIM_400000_NS6detail17trampoline_kernelINS0_14default_configENS1_22reduce_config_selectorIbEEZNS1_11reduce_implILb1ES3_N6hipcub16HIPCUB_304000_NS22TransformInputIteratorIb7NonZeroIaEPalEEPllNS8_6detail34convert_binary_result_type_wrapperINS8_3SumESD_lEEEE10hipError_tPvRmT1_T2_T3_mT4_P12ihipStream_tbEUlT_E0_NS1_11comp_targetILNS1_3genE8ELNS1_11target_archE1030ELNS1_3gpuE2ELNS1_3repE0EEENS1_30default_config_static_selectorELNS0_4arch9wavefront6targetE1EEEvSM_.num_agpr, 0
	.set _ZN7rocprim17ROCPRIM_400000_NS6detail17trampoline_kernelINS0_14default_configENS1_22reduce_config_selectorIbEEZNS1_11reduce_implILb1ES3_N6hipcub16HIPCUB_304000_NS22TransformInputIteratorIb7NonZeroIaEPalEEPllNS8_6detail34convert_binary_result_type_wrapperINS8_3SumESD_lEEEE10hipError_tPvRmT1_T2_T3_mT4_P12ihipStream_tbEUlT_E0_NS1_11comp_targetILNS1_3genE8ELNS1_11target_archE1030ELNS1_3gpuE2ELNS1_3repE0EEENS1_30default_config_static_selectorELNS0_4arch9wavefront6targetE1EEEvSM_.numbered_sgpr, 0
	.set _ZN7rocprim17ROCPRIM_400000_NS6detail17trampoline_kernelINS0_14default_configENS1_22reduce_config_selectorIbEEZNS1_11reduce_implILb1ES3_N6hipcub16HIPCUB_304000_NS22TransformInputIteratorIb7NonZeroIaEPalEEPllNS8_6detail34convert_binary_result_type_wrapperINS8_3SumESD_lEEEE10hipError_tPvRmT1_T2_T3_mT4_P12ihipStream_tbEUlT_E0_NS1_11comp_targetILNS1_3genE8ELNS1_11target_archE1030ELNS1_3gpuE2ELNS1_3repE0EEENS1_30default_config_static_selectorELNS0_4arch9wavefront6targetE1EEEvSM_.num_named_barrier, 0
	.set _ZN7rocprim17ROCPRIM_400000_NS6detail17trampoline_kernelINS0_14default_configENS1_22reduce_config_selectorIbEEZNS1_11reduce_implILb1ES3_N6hipcub16HIPCUB_304000_NS22TransformInputIteratorIb7NonZeroIaEPalEEPllNS8_6detail34convert_binary_result_type_wrapperINS8_3SumESD_lEEEE10hipError_tPvRmT1_T2_T3_mT4_P12ihipStream_tbEUlT_E0_NS1_11comp_targetILNS1_3genE8ELNS1_11target_archE1030ELNS1_3gpuE2ELNS1_3repE0EEENS1_30default_config_static_selectorELNS0_4arch9wavefront6targetE1EEEvSM_.private_seg_size, 0
	.set _ZN7rocprim17ROCPRIM_400000_NS6detail17trampoline_kernelINS0_14default_configENS1_22reduce_config_selectorIbEEZNS1_11reduce_implILb1ES3_N6hipcub16HIPCUB_304000_NS22TransformInputIteratorIb7NonZeroIaEPalEEPllNS8_6detail34convert_binary_result_type_wrapperINS8_3SumESD_lEEEE10hipError_tPvRmT1_T2_T3_mT4_P12ihipStream_tbEUlT_E0_NS1_11comp_targetILNS1_3genE8ELNS1_11target_archE1030ELNS1_3gpuE2ELNS1_3repE0EEENS1_30default_config_static_selectorELNS0_4arch9wavefront6targetE1EEEvSM_.uses_vcc, 0
	.set _ZN7rocprim17ROCPRIM_400000_NS6detail17trampoline_kernelINS0_14default_configENS1_22reduce_config_selectorIbEEZNS1_11reduce_implILb1ES3_N6hipcub16HIPCUB_304000_NS22TransformInputIteratorIb7NonZeroIaEPalEEPllNS8_6detail34convert_binary_result_type_wrapperINS8_3SumESD_lEEEE10hipError_tPvRmT1_T2_T3_mT4_P12ihipStream_tbEUlT_E0_NS1_11comp_targetILNS1_3genE8ELNS1_11target_archE1030ELNS1_3gpuE2ELNS1_3repE0EEENS1_30default_config_static_selectorELNS0_4arch9wavefront6targetE1EEEvSM_.uses_flat_scratch, 0
	.set _ZN7rocprim17ROCPRIM_400000_NS6detail17trampoline_kernelINS0_14default_configENS1_22reduce_config_selectorIbEEZNS1_11reduce_implILb1ES3_N6hipcub16HIPCUB_304000_NS22TransformInputIteratorIb7NonZeroIaEPalEEPllNS8_6detail34convert_binary_result_type_wrapperINS8_3SumESD_lEEEE10hipError_tPvRmT1_T2_T3_mT4_P12ihipStream_tbEUlT_E0_NS1_11comp_targetILNS1_3genE8ELNS1_11target_archE1030ELNS1_3gpuE2ELNS1_3repE0EEENS1_30default_config_static_selectorELNS0_4arch9wavefront6targetE1EEEvSM_.has_dyn_sized_stack, 0
	.set _ZN7rocprim17ROCPRIM_400000_NS6detail17trampoline_kernelINS0_14default_configENS1_22reduce_config_selectorIbEEZNS1_11reduce_implILb1ES3_N6hipcub16HIPCUB_304000_NS22TransformInputIteratorIb7NonZeroIaEPalEEPllNS8_6detail34convert_binary_result_type_wrapperINS8_3SumESD_lEEEE10hipError_tPvRmT1_T2_T3_mT4_P12ihipStream_tbEUlT_E0_NS1_11comp_targetILNS1_3genE8ELNS1_11target_archE1030ELNS1_3gpuE2ELNS1_3repE0EEENS1_30default_config_static_selectorELNS0_4arch9wavefront6targetE1EEEvSM_.has_recursion, 0
	.set _ZN7rocprim17ROCPRIM_400000_NS6detail17trampoline_kernelINS0_14default_configENS1_22reduce_config_selectorIbEEZNS1_11reduce_implILb1ES3_N6hipcub16HIPCUB_304000_NS22TransformInputIteratorIb7NonZeroIaEPalEEPllNS8_6detail34convert_binary_result_type_wrapperINS8_3SumESD_lEEEE10hipError_tPvRmT1_T2_T3_mT4_P12ihipStream_tbEUlT_E0_NS1_11comp_targetILNS1_3genE8ELNS1_11target_archE1030ELNS1_3gpuE2ELNS1_3repE0EEENS1_30default_config_static_selectorELNS0_4arch9wavefront6targetE1EEEvSM_.has_indirect_call, 0
	.section	.AMDGPU.csdata,"",@progbits
; Kernel info:
; codeLenInByte = 0
; TotalNumSgprs: 6
; NumVgprs: 0
; NumAgprs: 0
; TotalNumVgprs: 0
; ScratchSize: 0
; MemoryBound: 0
; FloatMode: 240
; IeeeMode: 1
; LDSByteSize: 0 bytes/workgroup (compile time only)
; SGPRBlocks: 0
; VGPRBlocks: 0
; NumSGPRsForWavesPerEU: 6
; NumVGPRsForWavesPerEU: 1
; AccumOffset: 4
; Occupancy: 8
; WaveLimiterHint : 0
; COMPUTE_PGM_RSRC2:SCRATCH_EN: 0
; COMPUTE_PGM_RSRC2:USER_SGPR: 2
; COMPUTE_PGM_RSRC2:TRAP_HANDLER: 0
; COMPUTE_PGM_RSRC2:TGID_X_EN: 1
; COMPUTE_PGM_RSRC2:TGID_Y_EN: 0
; COMPUTE_PGM_RSRC2:TGID_Z_EN: 0
; COMPUTE_PGM_RSRC2:TIDIG_COMP_CNT: 0
; COMPUTE_PGM_RSRC3_GFX90A:ACCUM_OFFSET: 0
; COMPUTE_PGM_RSRC3_GFX90A:TG_SPLIT: 0
	.section	.text._ZN7rocprim17ROCPRIM_400000_NS6detail17trampoline_kernelINS0_14default_configENS1_22reduce_config_selectorIbEEZNS1_11reduce_implILb1ES3_N6hipcub16HIPCUB_304000_NS22TransformInputIteratorIb7NonZeroIaEPalEEPllNS8_6detail34convert_binary_result_type_wrapperINS8_3SumESD_lEEEE10hipError_tPvRmT1_T2_T3_mT4_P12ihipStream_tbEUlT_E1_NS1_11comp_targetILNS1_3genE0ELNS1_11target_archE4294967295ELNS1_3gpuE0ELNS1_3repE0EEENS1_30default_config_static_selectorELNS0_4arch9wavefront6targetE1EEEvSM_,"axG",@progbits,_ZN7rocprim17ROCPRIM_400000_NS6detail17trampoline_kernelINS0_14default_configENS1_22reduce_config_selectorIbEEZNS1_11reduce_implILb1ES3_N6hipcub16HIPCUB_304000_NS22TransformInputIteratorIb7NonZeroIaEPalEEPllNS8_6detail34convert_binary_result_type_wrapperINS8_3SumESD_lEEEE10hipError_tPvRmT1_T2_T3_mT4_P12ihipStream_tbEUlT_E1_NS1_11comp_targetILNS1_3genE0ELNS1_11target_archE4294967295ELNS1_3gpuE0ELNS1_3repE0EEENS1_30default_config_static_selectorELNS0_4arch9wavefront6targetE1EEEvSM_,comdat
	.protected	_ZN7rocprim17ROCPRIM_400000_NS6detail17trampoline_kernelINS0_14default_configENS1_22reduce_config_selectorIbEEZNS1_11reduce_implILb1ES3_N6hipcub16HIPCUB_304000_NS22TransformInputIteratorIb7NonZeroIaEPalEEPllNS8_6detail34convert_binary_result_type_wrapperINS8_3SumESD_lEEEE10hipError_tPvRmT1_T2_T3_mT4_P12ihipStream_tbEUlT_E1_NS1_11comp_targetILNS1_3genE0ELNS1_11target_archE4294967295ELNS1_3gpuE0ELNS1_3repE0EEENS1_30default_config_static_selectorELNS0_4arch9wavefront6targetE1EEEvSM_ ; -- Begin function _ZN7rocprim17ROCPRIM_400000_NS6detail17trampoline_kernelINS0_14default_configENS1_22reduce_config_selectorIbEEZNS1_11reduce_implILb1ES3_N6hipcub16HIPCUB_304000_NS22TransformInputIteratorIb7NonZeroIaEPalEEPllNS8_6detail34convert_binary_result_type_wrapperINS8_3SumESD_lEEEE10hipError_tPvRmT1_T2_T3_mT4_P12ihipStream_tbEUlT_E1_NS1_11comp_targetILNS1_3genE0ELNS1_11target_archE4294967295ELNS1_3gpuE0ELNS1_3repE0EEENS1_30default_config_static_selectorELNS0_4arch9wavefront6targetE1EEEvSM_
	.globl	_ZN7rocprim17ROCPRIM_400000_NS6detail17trampoline_kernelINS0_14default_configENS1_22reduce_config_selectorIbEEZNS1_11reduce_implILb1ES3_N6hipcub16HIPCUB_304000_NS22TransformInputIteratorIb7NonZeroIaEPalEEPllNS8_6detail34convert_binary_result_type_wrapperINS8_3SumESD_lEEEE10hipError_tPvRmT1_T2_T3_mT4_P12ihipStream_tbEUlT_E1_NS1_11comp_targetILNS1_3genE0ELNS1_11target_archE4294967295ELNS1_3gpuE0ELNS1_3repE0EEENS1_30default_config_static_selectorELNS0_4arch9wavefront6targetE1EEEvSM_
	.p2align	8
	.type	_ZN7rocprim17ROCPRIM_400000_NS6detail17trampoline_kernelINS0_14default_configENS1_22reduce_config_selectorIbEEZNS1_11reduce_implILb1ES3_N6hipcub16HIPCUB_304000_NS22TransformInputIteratorIb7NonZeroIaEPalEEPllNS8_6detail34convert_binary_result_type_wrapperINS8_3SumESD_lEEEE10hipError_tPvRmT1_T2_T3_mT4_P12ihipStream_tbEUlT_E1_NS1_11comp_targetILNS1_3genE0ELNS1_11target_archE4294967295ELNS1_3gpuE0ELNS1_3repE0EEENS1_30default_config_static_selectorELNS0_4arch9wavefront6targetE1EEEvSM_,@function
_ZN7rocprim17ROCPRIM_400000_NS6detail17trampoline_kernelINS0_14default_configENS1_22reduce_config_selectorIbEEZNS1_11reduce_implILb1ES3_N6hipcub16HIPCUB_304000_NS22TransformInputIteratorIb7NonZeroIaEPalEEPllNS8_6detail34convert_binary_result_type_wrapperINS8_3SumESD_lEEEE10hipError_tPvRmT1_T2_T3_mT4_P12ihipStream_tbEUlT_E1_NS1_11comp_targetILNS1_3genE0ELNS1_11target_archE4294967295ELNS1_3gpuE0ELNS1_3repE0EEENS1_30default_config_static_selectorELNS0_4arch9wavefront6targetE1EEEvSM_: ; @_ZN7rocprim17ROCPRIM_400000_NS6detail17trampoline_kernelINS0_14default_configENS1_22reduce_config_selectorIbEEZNS1_11reduce_implILb1ES3_N6hipcub16HIPCUB_304000_NS22TransformInputIteratorIb7NonZeroIaEPalEEPllNS8_6detail34convert_binary_result_type_wrapperINS8_3SumESD_lEEEE10hipError_tPvRmT1_T2_T3_mT4_P12ihipStream_tbEUlT_E1_NS1_11comp_targetILNS1_3genE0ELNS1_11target_archE4294967295ELNS1_3gpuE0ELNS1_3repE0EEENS1_30default_config_static_selectorELNS0_4arch9wavefront6targetE1EEEvSM_
; %bb.0:
	s_load_dword s33, s[0:1], 0x4
	s_load_dwordx2 s[40:41], s[0:1], 0x8
	s_load_dwordx4 s[36:39], s[0:1], 0x18
	s_waitcnt lgkmcnt(0)
	s_cmp_lt_i32 s33, 16
	s_cbranch_scc1 .LBB27_10
; %bb.1:
	s_cmp_gt_i32 s33, 63
	s_cbranch_scc0 .LBB27_11
; %bb.2:
	s_cmpk_gt_i32 s33, 0x7f
	s_cbranch_scc0 .LBB27_12
; %bb.3:
	s_mov_b64 s[6:7], 0
	s_cmpk_eq_i32 s33, 0x80
	s_mov_b64 s[4:5], 0
                                        ; implicit-def: $vgpr2_vgpr3
                                        ; implicit-def: $vgpr4_vgpr5
	s_cbranch_scc0 .LBB27_13
; %bb.4:
	s_lshl_b32 s10, s2, 15
	s_lshr_b64 s[4:5], s[36:37], 15
	s_add_u32 s8, s40, s10
	s_mov_b32 s3, 0
	s_addc_u32 s9, s41, 0
	s_cmp_lg_u64 s[4:5], s[2:3]
	s_cbranch_scc0 .LBB27_21
; %bb.5:
	global_load_ubyte v8, v0, s[8:9] offset:256
	global_load_ubyte v2, v0, s[8:9] offset:512
	global_load_ubyte v6, v0, s[8:9]
	global_load_ubyte v4, v0, s[8:9] offset:768
	global_load_ubyte v10, v0, s[8:9] offset:1024
	;; [unrolled: 1-line block ×10, first 2 shown]
	v_mov_b32_e32 v1, 0
	global_load_ubyte v32, v0, s[8:9] offset:3328
	global_load_ubyte v33, v0, s[8:9] offset:3584
	s_movk_i32 s5, 0x2000
	v_lshl_add_u64 v[18:19], s[8:9], 0, v[0:1]
	v_add_co_u32_e32 v20, vcc, s5, v18
	s_movk_i32 s4, 0x1000
	s_nop 0
	v_addc_co_u32_e32 v21, vcc, 0, v19, vcc
	global_load_ubyte v34, v0, s[8:9] offset:3840
	global_load_ubyte v35, v[20:21], off offset:-4096
	v_add_co_u32_e32 v22, vcc, s4, v18
	s_movk_i32 s4, 0x7000
	s_nop 0
	v_addc_co_u32_e32 v23, vcc, 0, v19, vcc
	global_load_ubyte v36, v[22:23], off offset:256
	global_load_ubyte v38, v[22:23], off offset:512
	;; [unrolled: 1-line block ×6, first 2 shown]
	v_add_co_u32_e32 v24, vcc, s4, v18
	v_mov_b32_e32 v15, s3
	s_nop 0
	v_addc_co_u32_e32 v25, vcc, 0, v19, vcc
	global_load_ubyte v48, v[22:23], off offset:1792
	global_load_ubyte v50, v[22:23], off offset:2048
	;; [unrolled: 1-line block ×11, first 2 shown]
	global_load_ubyte v64, v[20:21], off
	global_load_ubyte v66, v[20:21], off offset:256
	global_load_ubyte v58, v[22:23], off offset:3328
	;; [unrolled: 1-line block ×15, first 2 shown]
	v_mov_b32_e32 v3, s3
	v_mov_b32_e32 v5, s3
	;; [unrolled: 1-line block ×28, first 2 shown]
	s_waitcnt vmcnt(49)
	v_cmp_ne_u16_e32 vcc, 0, v8
	v_mov_b32_e32 v79, s3
	v_mov_b32_e32 v81, s3
	s_waitcnt vmcnt(46)
	v_cmp_ne_u16_e64 s[4:5], 0, v4
	v_cndmask_b32_e64 v248, 0, 1, vcc
	v_cmp_ne_u16_e32 vcc, 0, v6
	v_cndmask_b32_e64 v14, 0, 1, s[4:5]
	s_waitcnt vmcnt(45)
	v_cmp_ne_u16_e64 s[4:5], 0, v10
	v_cndmask_b32_e64 v249, 0, 1, vcc
	v_cmp_ne_u16_e32 vcc, 0, v2
	v_cndmask_b32_e64 v2, 0, 1, s[4:5]
	s_waitcnt vmcnt(44)
	v_cmp_ne_u16_e64 s[4:5], 0, v12
	v_addc_co_u32_e32 v248, vcc, v248, v249, vcc
	s_nop 0
	v_cndmask_b32_e64 v4, 0, 1, s[4:5]
	s_waitcnt vmcnt(43)
	v_cmp_ne_u16_e64 s[4:5], 0, v16
	v_mov_b32_e32 v249, v1
	v_lshl_add_u64 v[14:15], v[248:249], 0, v[14:15]
	v_cndmask_b32_e64 v6, 0, 1, s[4:5]
	s_waitcnt vmcnt(42)
	v_cmp_ne_u16_e64 s[4:5], 0, v26
	v_lshl_add_u64 v[2:3], v[14:15], 0, v[2:3]
	v_lshl_add_u64 v[2:3], v[2:3], 0, v[4:5]
	v_cndmask_b32_e64 v8, 0, 1, s[4:5]
	s_waitcnt vmcnt(41)
	v_cmp_ne_u16_e64 s[4:5], 0, v27
	v_lshl_add_u64 v[2:3], v[2:3], 0, v[6:7]
	v_lshl_add_u64 v[2:3], v[2:3], 0, v[8:9]
	v_cndmask_b32_e64 v10, 0, 1, s[4:5]
	s_waitcnt vmcnt(40)
	v_cmp_ne_u16_e64 s[4:5], 0, v28
	global_load_ubyte v90, v[20:21], off offset:3328
	v_lshl_add_u64 v[2:3], v[2:3], 0, v[10:11]
	v_cndmask_b32_e64 v12, 0, 1, s[4:5]
	s_waitcnt vmcnt(40)
	v_cmp_ne_u16_e64 s[4:5], 0, v29
	v_lshl_add_u64 v[2:3], v[2:3], 0, v[12:13]
	v_mov_b32_e32 v27, s3
	v_cndmask_b32_e64 v16, 0, 1, s[4:5]
	s_waitcnt vmcnt(39)
	v_cmp_ne_u16_e64 s[4:5], 0, v30
	v_lshl_add_u64 v[2:3], v[2:3], 0, v[16:17]
	v_mov_b32_e32 v29, s3
	;; [unrolled: 5-line block ×6, first 2 shown]
	v_cndmask_b32_e64 v32, 0, 1, s[4:5]
	s_waitcnt vmcnt(34)
	v_cmp_ne_u16_e64 s[4:5], 0, v35
	v_mov_b32_e32 v35, s3
	v_lshl_add_u64 v[2:3], v[2:3], 0, v[32:33]
	v_cndmask_b32_e64 v34, 0, 1, s[4:5]
	s_waitcnt vmcnt(33)
	v_cmp_ne_u16_e64 s[4:5], 0, v36
	v_lshl_add_u64 v[2:3], v[2:3], 0, v[34:35]
	v_mov_b32_e32 v87, s3
	v_cndmask_b32_e64 v36, 0, 1, s[4:5]
	s_waitcnt vmcnt(32)
	v_cmp_ne_u16_e64 s[4:5], 0, v38
	v_lshl_add_u64 v[2:3], v[2:3], 0, v[36:37]
	v_mov_b32_e32 v89, s3
	;; [unrolled: 5-line block ×8, first 2 shown]
	v_cndmask_b32_e64 v50, 0, 1, s[4:5]
	s_movk_i32 s4, 0x3000
	v_add_co_u32_e64 v92, s[4:5], s4, v18
	v_lshl_add_u64 v[2:3], v[2:3], 0, v[50:51]
	s_nop 0
	v_addc_co_u32_e64 v93, s[4:5], 0, v19, s[4:5]
	s_waitcnt vmcnt(25)
	v_cmp_ne_u16_e64 s[4:5], 0, v52
	global_load_ubyte v98, v[92:93], off offset:256
	global_load_ubyte v94, v[20:21], off offset:3584
	;; [unrolled: 1-line block ×3, first 2 shown]
	v_cndmask_b32_e64 v52, 0, 1, s[4:5]
	s_waitcnt vmcnt(27)
	v_cmp_ne_u16_e64 s[4:5], 0, v54
	global_load_ubyte v100, v[92:93], off offset:512
	global_load_ubyte v102, v[92:93], off offset:768
	;; [unrolled: 1-line block ×8, first 2 shown]
	v_cndmask_b32_e64 v54, 0, 1, s[4:5]
	s_movk_i32 s4, 0x4000
	v_add_co_u32_e64 v118, s[4:5], s4, v18
	global_load_ubyte v116, v[92:93], off offset:2560
	global_load_ubyte v120, v[92:93], off offset:2816
	;; [unrolled: 1-line block ×5, first 2 shown]
	v_addc_co_u32_e64 v119, s[4:5], 0, v19, s[4:5]
	global_load_ubyte v96, v[118:119], off offset:-4096
	global_load_ubyte v126, v[118:119], off
	global_load_ubyte v124, v[92:93], off offset:3840
	s_waitcnt vmcnt(42)
	v_cmp_ne_u16_e64 s[4:5], 0, v56
	global_load_ubyte v128, v[118:119], off offset:256
	global_load_ubyte v130, v[118:119], off offset:512
	;; [unrolled: 1-line block ×8, first 2 shown]
	v_cndmask_b32_e64 v20, 0, 1, s[4:5]
	s_waitcnt vmcnt(49)
	v_cmp_ne_u16_e64 s[4:5], 0, v57
	global_load_ubyte v144, v[118:119], off offset:2304
	global_load_ubyte v146, v[118:119], off offset:2560
	v_cndmask_b32_e64 v56, 0, 1, s[4:5]
	s_waitcnt vmcnt(43)
	v_cmp_ne_u16_e64 s[4:5], 0, v58
	global_load_ubyte v148, v[118:119], off offset:2816
	global_load_ubyte v150, v[118:119], off offset:3072
	;; [unrolled: 1-line block ×3, first 2 shown]
	v_cndmask_b32_e64 v58, 0, 1, s[4:5]
	s_waitcnt vmcnt(45)
	v_cmp_ne_u16_e64 s[4:5], 0, v60
	v_lshl_add_u64 v[2:3], v[2:3], 0, v[52:53]
	v_mov_b32_e32 v21, s3
	v_cndmask_b32_e64 v60, 0, 1, s[4:5]
	s_waitcnt vmcnt(44)
	v_cmp_ne_u16_e64 s[4:5], 0, v62
	v_lshl_add_u64 v[2:3], v[2:3], 0, v[54:55]
	v_mov_b32_e32 v57, s3
	v_cndmask_b32_e64 v62, 0, 1, s[4:5]
	v_cmp_ne_u16_e64 s[4:5], 0, v64
	v_lshl_add_u64 v[2:3], v[2:3], 0, v[20:21]
	v_lshl_add_u64 v[2:3], v[2:3], 0, v[56:57]
	v_cndmask_b32_e64 v64, 0, 1, s[4:5]
	v_cmp_ne_u16_e64 s[4:5], 0, v66
	v_lshl_add_u64 v[2:3], v[2:3], 0, v[58:59]
	v_lshl_add_u64 v[2:3], v[2:3], 0, v[60:61]
	v_cndmask_b32_e64 v66, 0, 1, s[4:5]
	s_waitcnt vmcnt(42)
	v_cmp_ne_u16_e64 s[4:5], 0, v68
	v_lshl_add_u64 v[2:3], v[2:3], 0, v[62:63]
	v_lshl_add_u64 v[2:3], v[2:3], 0, v[64:65]
	v_cndmask_b32_e64 v68, 0, 1, s[4:5]
	s_waitcnt vmcnt(41)
	;; [unrolled: 5-line block ×3, first 2 shown]
	v_cmp_ne_u16_e64 s[4:5], 0, v72
	v_lshl_add_u64 v[2:3], v[2:3], 0, v[70:71]
	v_mov_b32_e32 v93, s3
	v_cndmask_b32_e64 v72, 0, 1, s[4:5]
	s_waitcnt vmcnt(39)
	v_cmp_ne_u16_e64 s[4:5], 0, v74
	v_lshl_add_u64 v[2:3], v[2:3], 0, v[72:73]
	v_mov_b32_e32 v107, s3
	v_cndmask_b32_e64 v74, 0, 1, s[4:5]
	s_waitcnt vmcnt(38)
	;; [unrolled: 5-line block ×5, first 2 shown]
	v_cmp_ne_u16_e64 s[4:5], 0, v82
	v_lshl_add_u64 v[2:3], v[2:3], 0, v[80:81]
	v_mov_b32_e32 v115, s3
	v_cndmask_b32_e64 v82, 0, 1, s[4:5]
	v_cmp_ne_u16_e64 s[4:5], 0, v84
	v_lshl_add_u64 v[2:3], v[2:3], 0, v[82:83]
	v_mov_b32_e32 v117, s3
	v_cndmask_b32_e64 v84, 0, 1, s[4:5]
	s_waitcnt vmcnt(34)
	v_cmp_ne_u16_e64 s[4:5], 0, v86
	v_lshl_add_u64 v[2:3], v[2:3], 0, v[84:85]
	v_mov_b32_e32 v125, s3
	v_cndmask_b32_e64 v86, 0, 1, s[4:5]
	s_waitcnt vmcnt(33)
	;; [unrolled: 5-line block ×5, first 2 shown]
	v_cmp_ne_u16_e64 s[4:5], 0, v95
	v_mov_b32_e32 v95, s3
	v_lshl_add_u64 v[2:3], v[2:3], 0, v[92:93]
	v_cndmask_b32_e64 v94, 0, 1, s[4:5]
	s_waitcnt vmcnt(15)
	v_cmp_ne_u16_e64 s[4:5], 0, v96
	v_lshl_add_u64 v[2:3], v[2:3], 0, v[94:95]
	v_mov_b32_e32 v133, s3
	v_cndmask_b32_e64 v96, 0, 1, s[4:5]
	v_cmp_ne_u16_e64 s[4:5], 0, v98
	v_lshl_add_u64 v[2:3], v[2:3], 0, v[96:97]
	v_mov_b32_e32 v135, s3
	v_cndmask_b32_e64 v98, 0, 1, s[4:5]
	;; [unrolled: 4-line block ×10, first 2 shown]
	s_movk_i32 s4, 0x5000
	v_add_co_u32_e64 v152, s[4:5], s4, v18
	v_lshl_add_u64 v[2:3], v[2:3], 0, v[114:115]
	s_nop 0
	v_addc_co_u32_e64 v153, s[4:5], 0, v19, s[4:5]
	v_cmp_ne_u16_e64 s[4:5], 0, v116
	global_load_ubyte v162, v[152:153], off offset:256
	global_load_ubyte v164, v[152:153], off offset:512
	v_cndmask_b32_e64 v116, 0, 1, s[4:5]
	s_movk_i32 s4, 0x6000
	global_load_ubyte v157, v[118:119], off offset:3584
	global_load_ubyte v158, v[118:119], off offset:3840
	;; [unrolled: 1-line block ×8, first 2 shown]
	v_add_co_u32_e64 v154, s[4:5], s4, v18
	global_load_ubyte v172, v[152:153], off offset:1536
	global_load_ubyte v174, v[152:153], off offset:1792
	;; [unrolled: 1-line block ×8, first 2 shown]
	v_addc_co_u32_e64 v155, s[4:5], 0, v19, s[4:5]
	global_load_ubyte v160, v[154:155], off offset:-4096
	global_load_ubyte v186, v[152:153], off offset:3584
	global_load_ubyte v190, v[154:155], off
	global_load_ubyte v191, v[154:155], off offset:256
	global_load_ubyte v192, v[154:155], off offset:512
	;; [unrolled: 1-line block ×16, first 2 shown]
	global_load_ubyte v220, v[24:25], off
	global_load_ubyte v222, v[24:25], off offset:256
	global_load_ubyte v224, v[24:25], off offset:512
	;; [unrolled: 1-line block ×7, first 2 shown]
	v_cmp_ne_u16_e64 s[4:5], 0, v120
	v_mov_b32_e32 v19, s3
	v_lshl_add_u64 v[2:3], v[2:3], 0, v[116:117]
	v_cndmask_b32_e64 v18, 0, 1, s[4:5]
	v_cmp_ne_u16_e64 s[4:5], 0, v121
	v_mov_b32_e32 v119, s3
	v_lshl_add_u64 v[2:3], v[2:3], 0, v[18:19]
	v_cndmask_b32_e64 v118, 0, 1, s[4:5]
	;; [unrolled: 4-line block ×4, first 2 shown]
	s_waitcnt vmcnt(58)
	v_cmp_ne_u16_e64 s[4:5], 0, v124
	v_lshl_add_u64 v[2:3], v[2:3], 0, v[122:123]
	v_mov_b32_e32 v153, s3
	v_cndmask_b32_e64 v124, 0, 1, s[4:5]
	v_cmp_ne_u16_e64 s[4:5], 0, v126
	v_lshl_add_u64 v[2:3], v[2:3], 0, v[124:125]
	v_mov_b32_e32 v159, s3
	v_cndmask_b32_e64 v126, 0, 1, s[4:5]
	s_waitcnt vmcnt(57)
	v_cmp_ne_u16_e64 s[4:5], 0, v128
	v_lshl_add_u64 v[2:3], v[2:3], 0, v[126:127]
	v_mov_b32_e32 v161, s3
	v_cndmask_b32_e64 v128, 0, 1, s[4:5]
	s_waitcnt vmcnt(56)
	;; [unrolled: 5-line block ×14, first 2 shown]
	v_cmp_ne_u16_e64 s[4:5], 0, v157
	v_mov_b32_e32 v157, s3
	v_lshl_add_u64 v[2:3], v[2:3], 0, v[152:153]
	v_cndmask_b32_e64 v156, 0, 1, s[4:5]
	s_waitcnt vmcnt(41)
	v_cmp_ne_u16_e64 s[4:5], 0, v158
	v_lshl_add_u64 v[2:3], v[2:3], 0, v[156:157]
	v_mov_b32_e32 v187, s3
	v_cndmask_b32_e64 v158, 0, 1, s[4:5]
	s_waitcnt vmcnt(26)
	v_cmp_ne_u16_e64 s[4:5], 0, v160
	v_lshl_add_u64 v[2:3], v[2:3], 0, v[158:159]
	v_mov_b32_e32 v189, s3
	v_cndmask_b32_e64 v160, 0, 1, s[4:5]
	v_cmp_ne_u16_e64 s[4:5], 0, v162
	v_lshl_add_u64 v[2:3], v[2:3], 0, v[160:161]
	v_mov_b32_e32 v25, s3
	v_cndmask_b32_e64 v162, 0, 1, s[4:5]
	;; [unrolled: 4-line block ×9, first 2 shown]
	v_cmp_ne_u16_e64 s[4:5], 0, v177
	v_mov_b32_e32 v177, s3
	v_lshl_add_u64 v[2:3], v[2:3], 0, v[154:155]
	v_cndmask_b32_e64 v176, 0, 1, s[4:5]
	v_cmp_ne_u16_e64 s[4:5], 0, v178
	v_lshl_add_u64 v[2:3], v[2:3], 0, v[176:177]
	v_mov_b32_e32 v207, s3
	v_cndmask_b32_e64 v178, 0, 1, s[4:5]
	v_cmp_ne_u16_e64 s[4:5], 0, v180
	v_lshl_add_u64 v[2:3], v[2:3], 0, v[178:179]
	v_mov_b32_e32 v209, s3
	;; [unrolled: 4-line block ×4, first 2 shown]
	v_cndmask_b32_e64 v184, 0, 1, s[4:5]
	s_waitcnt vmcnt(25)
	v_cmp_ne_u16_e64 s[4:5], 0, v186
	v_lshl_add_u64 v[2:3], v[2:3], 0, v[184:185]
	v_mov_b32_e32 v215, s3
	v_cndmask_b32_e64 v186, 0, 1, s[4:5]
	s_waitcnt vmcnt(19)
	v_cmp_ne_u16_e64 s[4:5], 0, v188
	v_lshl_add_u64 v[2:3], v[2:3], 0, v[186:187]
	v_mov_b32_e32 v217, s3
	v_cndmask_b32_e64 v188, 0, 1, s[4:5]
	v_cmp_ne_u16_e64 s[4:5], 0, v190
	v_lshl_add_u64 v[2:3], v[2:3], 0, v[188:189]
	v_mov_b32_e32 v219, s3
	v_cndmask_b32_e64 v24, 0, 1, s[4:5]
	v_cmp_ne_u16_e64 s[4:5], 0, v191
	v_mov_b32_e32 v191, s3
	v_lshl_add_u64 v[2:3], v[2:3], 0, v[24:25]
	v_cndmask_b32_e64 v190, 0, 1, s[4:5]
	v_cmp_ne_u16_e64 s[4:5], 0, v192
	v_lshl_add_u64 v[2:3], v[2:3], 0, v[190:191]
	v_mov_b32_e32 v221, s3
	v_cndmask_b32_e64 v192, 0, 1, s[4:5]
	v_cmp_ne_u16_e64 s[4:5], 0, v194
	v_lshl_add_u64 v[2:3], v[2:3], 0, v[192:193]
	v_mov_b32_e32 v223, s3
	;; [unrolled: 4-line block ×3, first 2 shown]
	v_cndmask_b32_e64 v196, 0, 1, s[4:5]
	s_waitcnt vmcnt(18)
	v_cmp_ne_u16_e64 s[4:5], 0, v198
	v_lshl_add_u64 v[2:3], v[2:3], 0, v[196:197]
	v_mov_b32_e32 v227, s3
	v_cndmask_b32_e64 v198, 0, 1, s[4:5]
	s_waitcnt vmcnt(17)
	v_cmp_ne_u16_e64 s[4:5], 0, v200
	v_lshl_add_u64 v[2:3], v[2:3], 0, v[198:199]
	v_mov_b32_e32 v229, s3
	;; [unrolled: 5-line block ×11, first 2 shown]
	v_cndmask_b32_e64 v218, 0, 1, s[4:5]
	s_waitcnt vmcnt(7)
	v_cmp_ne_u16_e64 s[4:5], 0, v220
	v_lshl_add_u64 v[2:3], v[2:3], 0, v[218:219]
	v_cmp_ne_u16_e32 vcc, 0, v250
	v_cndmask_b32_e64 v220, 0, 1, s[4:5]
	s_waitcnt vmcnt(6)
	v_cmp_ne_u16_e64 s[4:5], 0, v222
	v_lshl_add_u64 v[2:3], v[2:3], 0, v[220:221]
	v_cndmask_b32_e64 v248, 0, 1, vcc
	v_cndmask_b32_e64 v222, 0, 1, s[4:5]
	s_waitcnt vmcnt(5)
	v_cmp_ne_u16_e64 s[4:5], 0, v224
	v_lshl_add_u64 v[2:3], v[2:3], 0, v[222:223]
	v_mov_b32_e32 v249, s3
	v_cndmask_b32_e64 v224, 0, 1, s[4:5]
	s_waitcnt vmcnt(4)
	v_cmp_ne_u16_e64 s[4:5], 0, v226
	v_lshl_add_u64 v[2:3], v[2:3], 0, v[224:225]
	v_cmp_ne_u16_e32 vcc, 0, v251
	v_cndmask_b32_e64 v226, 0, 1, s[4:5]
	s_waitcnt vmcnt(3)
	v_cmp_ne_u16_e64 s[4:5], 0, v228
	v_lshl_add_u64 v[2:3], v[2:3], 0, v[226:227]
	v_cndmask_b32_e64 v250, 0, 1, vcc
	v_cndmask_b32_e64 v228, 0, 1, s[4:5]
	s_waitcnt vmcnt(2)
	v_cmp_ne_u16_e64 s[4:5], 0, v230
	v_lshl_add_u64 v[2:3], v[2:3], 0, v[228:229]
	v_mov_b32_e32 v251, s3
	v_cndmask_b32_e64 v230, 0, 1, s[4:5]
	s_waitcnt vmcnt(1)
	v_cmp_ne_u16_e64 s[4:5], 0, v232
	v_lshl_add_u64 v[2:3], v[2:3], 0, v[230:231]
	v_mov_b32_e32 v7, v1
	v_cndmask_b32_e64 v232, 0, 1, s[4:5]
	s_waitcnt vmcnt(0)
	v_cmp_ne_u16_e64 s[4:5], 0, v234
	v_lshl_add_u64 v[2:3], v[2:3], 0, v[232:233]
	v_mov_b32_dpp v9, v1 quad_perm:[1,0,3,2] row_mask:0xf bank_mask:0xf bound_ctrl:1
	v_cndmask_b32_e64 v234, 0, 1, s[4:5]
	v_cmp_ne_u16_e64 s[4:5], 0, v236
	v_lshl_add_u64 v[2:3], v[2:3], 0, v[234:235]
	v_mov_b32_e32 v8, v1
	v_cndmask_b32_e64 v236, 0, 1, s[4:5]
	v_cmp_ne_u16_e64 s[4:5], 0, v238
	v_lshl_add_u64 v[2:3], v[2:3], 0, v[236:237]
	v_mbcnt_lo_u32_b32 v4, -1, 0
	v_cndmask_b32_e64 v238, 0, 1, s[4:5]
	v_cmp_ne_u16_e64 s[4:5], 0, v240
	v_lshl_add_u64 v[2:3], v[2:3], 0, v[238:239]
	v_mbcnt_hi_u32_b32 v4, -1, v4
	v_cndmask_b32_e64 v240, 0, 1, s[4:5]
	v_cmp_ne_u16_e64 s[4:5], 0, v242
	v_lshl_add_u64 v[2:3], v[2:3], 0, v[240:241]
	v_cmp_eq_u32_e32 vcc, 0, v4
	v_cndmask_b32_e64 v242, 0, 1, s[4:5]
	v_cmp_ne_u16_e64 s[4:5], 0, v244
	v_lshl_add_u64 v[2:3], v[2:3], 0, v[242:243]
	s_nop 0
	v_cndmask_b32_e64 v244, 0, 1, s[4:5]
	v_cmp_ne_u16_e64 s[4:5], 0, v246
	v_lshl_add_u64 v[2:3], v[2:3], 0, v[244:245]
	s_nop 0
	v_cndmask_b32_e64 v246, 0, 1, s[4:5]
	v_lshl_add_u64 v[2:3], v[2:3], 0, v[246:247]
	v_lshl_add_u64 v[2:3], v[2:3], 0, v[248:249]
	;; [unrolled: 1-line block ×3, first 2 shown]
	s_nop 1
	v_mov_b32_dpp v6, v2 quad_perm:[1,0,3,2] row_mask:0xf bank_mask:0xf bound_ctrl:1
	v_lshl_add_u64 v[2:3], v[2:3], 0, v[6:7]
	v_lshl_add_u64 v[6:7], v[8:9], 0, v[2:3]
	v_mov_b32_e32 v3, v1
	v_mov_b32_dpp v2, v2 quad_perm:[2,3,0,1] row_mask:0xf bank_mask:0xf bound_ctrl:1
	v_mov_b32_dpp v9, v7 quad_perm:[2,3,0,1] row_mask:0xf bank_mask:0xf bound_ctrl:1
	v_lshl_add_u64 v[2:3], v[6:7], 0, v[2:3]
	v_lshl_add_u64 v[6:7], v[2:3], 0, v[8:9]
	v_mov_b32_e32 v3, v1
	v_mov_b32_dpp v2, v2 row_ror:4 row_mask:0xf bank_mask:0xf bound_ctrl:1
	v_mov_b32_dpp v9, v7 row_ror:4 row_mask:0xf bank_mask:0xf bound_ctrl:1
	v_lshl_add_u64 v[2:3], v[6:7], 0, v[2:3]
	v_lshl_add_u64 v[6:7], v[2:3], 0, v[8:9]
	v_mov_b32_e32 v3, v1
	v_mov_b32_dpp v2, v2 row_ror:8 row_mask:0xf bank_mask:0xf bound_ctrl:1
	v_mov_b32_dpp v9, v7 row_ror:8 row_mask:0xf bank_mask:0xf bound_ctrl:1
	v_lshl_add_u64 v[2:3], v[6:7], 0, v[2:3]
	v_lshl_add_u64 v[6:7], v[2:3], 0, v[8:9]
	v_mov_b32_e32 v3, v1
	v_mov_b32_dpp v2, v2 row_bcast:15 row_mask:0xf bank_mask:0xf bound_ctrl:1
	v_mov_b32_dpp v9, v7 row_bcast:15 row_mask:0xf bank_mask:0xf bound_ctrl:1
	v_lshl_add_u64 v[2:3], v[6:7], 0, v[2:3]
	v_lshl_add_u64 v[6:7], v[2:3], 0, v[8:9]
	v_mov_b32_e32 v3, v1
	v_mov_b32_dpp v2, v2 row_bcast:31 row_mask:0xf bank_mask:0xf bound_ctrl:1
	v_lshl_add_u64 v[2:3], v[6:7], 0, v[2:3]
	v_lshlrev_b32_e32 v1, 2, v4
	v_or_b32_e32 v5, 0xfc, v1
	v_add_u32_dpp v3, v7, v3 row_bcast:31 row_mask:0xf bank_mask:0xf bound_ctrl:1
	ds_bpermute_b32 v2, v5, v2
	ds_bpermute_b32 v3, v5, v3
	s_and_saveexec_b64 s[4:5], vcc
	s_cbranch_execz .LBB27_7
; %bb.6:
	v_lshrrev_b32_e32 v5, 3, v0
	v_and_b32_e32 v5, 24, v5
	s_waitcnt lgkmcnt(0)
	ds_write_b64 v5, v[2:3]
.LBB27_7:
	s_or_b64 exec, exec, s[4:5]
	v_cmp_gt_u32_e32 vcc, 64, v0
	s_waitcnt lgkmcnt(0)
	s_barrier
	s_and_saveexec_b64 s[4:5], vcc
	s_cbranch_execz .LBB27_9
; %bb.8:
	v_and_b32_e32 v5, 3, v4
	v_lshlrev_b32_e32 v2, 3, v5
	ds_read_b64 v[2:3], v2
	v_cmp_ne_u32_e32 vcc, 3, v5
	v_mov_b32_e32 v6, 0
	v_or_b32_e32 v1, 8, v1
	v_addc_co_u32_e32 v4, vcc, 0, v4, vcc
	v_lshlrev_b32_e32 v5, 2, v4
	s_waitcnt lgkmcnt(0)
	ds_bpermute_b32 v4, v5, v2
	ds_bpermute_b32 v7, v5, v3
	v_mov_b32_e32 v5, v6
	s_waitcnt lgkmcnt(1)
	v_lshl_add_u64 v[2:3], v[2:3], 0, v[4:5]
	s_waitcnt lgkmcnt(0)
	v_lshl_add_u64 v[4:5], v[6:7], 0, v[2:3]
	ds_bpermute_b32 v2, v1, v2
	ds_bpermute_b32 v7, v1, v5
	v_mov_b32_e32 v3, v6
	s_waitcnt lgkmcnt(1)
	v_lshl_add_u64 v[2:3], v[4:5], 0, v[2:3]
	s_waitcnt lgkmcnt(0)
	v_lshl_add_u64 v[2:3], v[2:3], 0, v[6:7]
.LBB27_9:
	s_or_b64 exec, exec, s[4:5]
	s_mov_b64 s[4:5], 0
	s_branch .LBB27_22
.LBB27_10:
	s_mov_b64 s[4:5], 0
                                        ; implicit-def: $vgpr2_vgpr3
                                        ; implicit-def: $vgpr4_vgpr5
	s_cbranch_execnz .LBB27_568
	s_branch .LBB27_683
.LBB27_11:
	s_mov_b64 s[4:5], 0
                                        ; implicit-def: $vgpr2_vgpr3
                                        ; implicit-def: $vgpr4_vgpr5
	s_cbranch_execnz .LBB27_430
	s_branch .LBB27_567
.LBB27_12:
	s_mov_b64 s[6:7], -1
	s_mov_b64 s[4:5], 0
                                        ; implicit-def: $vgpr2_vgpr3
                                        ; implicit-def: $vgpr4_vgpr5
.LBB27_13:
	s_and_b64 vcc, exec, s[6:7]
	s_cbranch_vccz .LBB27_429
.LBB27_14:
	s_cmp_eq_u32 s33, 64
                                        ; implicit-def: $vgpr2_vgpr3
                                        ; implicit-def: $vgpr4_vgpr5
	s_cbranch_scc0 .LBB27_429
; %bb.15:
	s_lshl_b32 s8, s2, 14
	s_lshr_b64 s[6:7], s[36:37], 14
	s_add_u32 s4, s40, s8
	s_mov_b32 s3, 0
	s_addc_u32 s5, s41, 0
	s_cmp_lg_u64 s[6:7], s[2:3]
	s_cbranch_scc0 .LBB27_289
; %bb.16:
	global_load_ubyte v2, v0, s[4:5] offset:768
	global_load_ubyte v4, v0, s[4:5] offset:1024
	;; [unrolled: 1-line block ×6, first 2 shown]
	s_waitcnt lgkmcnt(1)
	v_mov_b32_e32 v1, 0
	s_movk_i32 s7, 0x2000
	v_lshl_add_u64 v[46:47], s[4:5], 0, v[0:1]
	v_add_co_u32_e32 v48, vcc, s7, v46
	global_load_ubyte v14, v0, s[4:5] offset:2304
	global_load_ubyte v16, v0, s[4:5] offset:2560
	;; [unrolled: 1-line block ×7, first 2 shown]
	v_addc_co_u32_e32 v49, vcc, 0, v47, vcc
	global_load_ubyte v29, v[48:49], off offset:-4096
	s_movk_i32 s6, 0x1000
	v_add_co_u32_e32 v26, vcc, s6, v46
	s_movk_i32 s6, 0x3000
	s_nop 0
	v_addc_co_u32_e32 v27, vcc, 0, v47, vcc
	global_load_ubyte v30, v[26:27], off offset:256
	global_load_ubyte v32, v[26:27], off offset:512
	;; [unrolled: 1-line block ×7, first 2 shown]
	global_load_ubyte v124, v0, s[4:5] offset:256
	global_load_ubyte v125, v0, s[4:5] offset:512
	global_load_ubyte v44, v[26:27], off offset:2048
	global_load_ubyte v50, v[26:27], off offset:2304
	;; [unrolled: 1-line block ×8, first 2 shown]
	global_load_ubyte v62, v[48:49], off
	global_load_ubyte v64, v[48:49], off offset:256
	global_load_ubyte v66, v[48:49], off offset:512
	;; [unrolled: 1-line block ×15, first 2 shown]
	v_mov_b32_e32 v3, s3
	v_mov_b32_e32 v5, s3
	s_waitcnt lgkmcnt(0)
	v_mov_b32_e32 v7, s3
	v_mov_b32_e32 v9, s3
	;; [unrolled: 1-line block ×42, first 2 shown]
	s_waitcnt vmcnt(46)
	v_cmp_ne_u16_e32 vcc, 0, v2
	v_mov_b32_e32 v101, s3
	v_mov_b32_e32 v103, s3
	v_cndmask_b32_e64 v2, 0, 1, vcc
	s_waitcnt vmcnt(45)
	v_cmp_ne_u16_e32 vcc, 0, v4
	v_mov_b32_e32 v105, s3
	v_mov_b32_e32 v107, s3
	v_cndmask_b32_e64 v4, 0, 1, vcc
	;; [unrolled: 5-line block ×6, first 2 shown]
	s_waitcnt vmcnt(40)
	v_cmp_ne_u16_e32 vcc, 0, v14
	s_nop 1
	v_cndmask_b32_e64 v14, 0, 1, vcc
	s_waitcnt vmcnt(39)
	v_cmp_ne_u16_e32 vcc, 0, v16
	s_nop 1
	v_cndmask_b32_e64 v16, 0, 1, vcc
	;; [unrolled: 4-line block ×7, first 2 shown]
	s_waitcnt vmcnt(33)
	v_cmp_ne_u16_e32 vcc, 0, v29
	v_mov_b32_e32 v29, s3
	s_nop 0
	v_cndmask_b32_e64 v28, 0, 1, vcc
	s_waitcnt vmcnt(32)
	v_cmp_ne_u16_e32 vcc, 0, v30
	s_nop 1
	v_cndmask_b32_e64 v30, 0, 1, vcc
	s_waitcnt vmcnt(31)
	v_cmp_ne_u16_e32 vcc, 0, v32
	;; [unrolled: 4-line block ×8, first 2 shown]
	s_nop 1
	v_cndmask_b32_e64 v44, 0, 1, vcc
	v_add_co_u32_e32 v46, vcc, s6, v46
	s_nop 1
	v_addc_co_u32_e32 v47, vcc, 0, v47, vcc
	global_load_ubyte v92, v[46:47], off
	global_load_ubyte v94, v[46:47], off offset:256
	global_load_ubyte v96, v[46:47], off offset:512
	;; [unrolled: 1-line block ×14, first 2 shown]
	global_load_ubyte v126, v0, s[4:5]
	global_load_ubyte v122, v[46:47], off offset:3840
	s_waitcnt vmcnt(39)
	v_cmp_ne_u16_e32 vcc, 0, v50
	v_mov_b32_e32 v49, s3
	v_mov_b32_e32 v47, s3
	v_cndmask_b32_e64 v50, 0, 1, vcc
	s_waitcnt vmcnt(38)
	v_cmp_ne_u16_e32 vcc, 0, v52
	s_nop 1
	v_cndmask_b32_e64 v48, 0, 1, vcc
	s_waitcnt vmcnt(37)
	v_cmp_ne_u16_e32 vcc, 0, v53
	v_mov_b32_e32 v53, s3
	s_nop 0
	v_cndmask_b32_e64 v52, 0, 1, vcc
	s_waitcnt vmcnt(36)
	v_cmp_ne_u16_e32 vcc, 0, v54
	s_nop 1
	v_cndmask_b32_e64 v54, 0, 1, vcc
	s_waitcnt vmcnt(35)
	v_cmp_ne_u16_e32 vcc, 0, v56
	;; [unrolled: 4-line block ×11, first 2 shown]
	v_mov_b32_e32 v73, s3
	s_nop 0
	v_cndmask_b32_e64 v72, 0, 1, vcc
	s_waitcnt vmcnt(25)
	v_cmp_ne_u16_e32 vcc, 0, v74
	s_nop 1
	v_cndmask_b32_e64 v74, 0, 1, vcc
	s_waitcnt vmcnt(24)
	v_cmp_ne_u16_e32 vcc, 0, v76
	;; [unrolled: 4-line block ×25, first 2 shown]
	s_nop 1
	v_cndmask_b32_e64 v122, 0, 1, vcc
	v_cmp_ne_u16_e32 vcc, 0, v124
	s_nop 1
	v_cndmask_b32_e64 v124, 0, 1, vcc
	v_cmp_ne_u16_e32 vcc, 0, v126
	;; [unrolled: 3-line block ×3, first 2 shown]
	v_mov_b32_e32 v125, v1
	s_nop 0
	v_addc_co_u32_e32 v124, vcc, v124, v126, vcc
	v_lshl_add_u64 v[2:3], v[124:125], 0, v[2:3]
	v_lshl_add_u64 v[2:3], v[2:3], 0, v[4:5]
	;; [unrolled: 1-line block ×61, first 2 shown]
	v_mov_b32_e32 v7, v1
	v_mov_b32_dpp v9, v1 quad_perm:[1,0,3,2] row_mask:0xf bank_mask:0xf bound_ctrl:1
	v_mov_b32_dpp v6, v2 quad_perm:[1,0,3,2] row_mask:0xf bank_mask:0xf bound_ctrl:1
	v_mov_b32_e32 v8, v1
	v_lshl_add_u64 v[2:3], v[2:3], 0, v[6:7]
	v_lshl_add_u64 v[6:7], v[8:9], 0, v[2:3]
	v_mov_b32_e32 v3, v1
	v_mov_b32_dpp v2, v2 quad_perm:[2,3,0,1] row_mask:0xf bank_mask:0xf bound_ctrl:1
	v_mov_b32_dpp v9, v7 quad_perm:[2,3,0,1] row_mask:0xf bank_mask:0xf bound_ctrl:1
	v_lshl_add_u64 v[2:3], v[6:7], 0, v[2:3]
	v_lshl_add_u64 v[6:7], v[2:3], 0, v[8:9]
	v_mov_b32_e32 v3, v1
	v_mov_b32_dpp v2, v2 row_ror:4 row_mask:0xf bank_mask:0xf bound_ctrl:1
	v_mov_b32_dpp v9, v7 row_ror:4 row_mask:0xf bank_mask:0xf bound_ctrl:1
	v_lshl_add_u64 v[2:3], v[6:7], 0, v[2:3]
	v_lshl_add_u64 v[6:7], v[2:3], 0, v[8:9]
	v_mov_b32_e32 v3, v1
	v_mov_b32_dpp v2, v2 row_ror:8 row_mask:0xf bank_mask:0xf bound_ctrl:1
	v_mov_b32_dpp v9, v7 row_ror:8 row_mask:0xf bank_mask:0xf bound_ctrl:1
	v_lshl_add_u64 v[2:3], v[6:7], 0, v[2:3]
	v_lshl_add_u64 v[6:7], v[2:3], 0, v[8:9]
	v_mov_b32_e32 v3, v1
	v_mov_b32_dpp v2, v2 row_bcast:15 row_mask:0xf bank_mask:0xf bound_ctrl:1
	v_mbcnt_lo_u32_b32 v4, -1, 0
	v_mov_b32_dpp v9, v7 row_bcast:15 row_mask:0xf bank_mask:0xf bound_ctrl:1
	v_lshl_add_u64 v[2:3], v[6:7], 0, v[2:3]
	v_mbcnt_hi_u32_b32 v4, -1, v4
	v_lshl_add_u64 v[6:7], v[2:3], 0, v[8:9]
	v_mov_b32_dpp v2, v2 row_bcast:31 row_mask:0xf bank_mask:0xf bound_ctrl:1
	v_mov_b32_e32 v3, v1
	v_lshl_add_u64 v[2:3], v[6:7], 0, v[2:3]
	v_lshlrev_b32_e32 v1, 2, v4
	v_or_b32_e32 v5, 0xfc, v1
	v_add_u32_dpp v3, v7, v3 row_bcast:31 row_mask:0xf bank_mask:0xf bound_ctrl:1
	ds_bpermute_b32 v2, v5, v2
	ds_bpermute_b32 v3, v5, v3
	v_cmp_eq_u32_e32 vcc, 0, v4
	s_and_saveexec_b64 s[6:7], vcc
	s_cbranch_execz .LBB27_18
; %bb.17:
	v_lshrrev_b32_e32 v5, 3, v0
	v_and_b32_e32 v5, 24, v5
	s_waitcnt lgkmcnt(0)
	ds_write_b64 v5, v[2:3] offset:192
.LBB27_18:
	s_or_b64 exec, exec, s[6:7]
	v_cmp_gt_u32_e32 vcc, 64, v0
	s_waitcnt lgkmcnt(0)
	s_barrier
	s_and_saveexec_b64 s[6:7], vcc
	s_cbranch_execz .LBB27_20
; %bb.19:
	v_and_b32_e32 v5, 3, v4
	v_lshlrev_b32_e32 v2, 3, v5
	ds_read_b64 v[2:3], v2 offset:192
	v_cmp_ne_u32_e32 vcc, 3, v5
	v_mov_b32_e32 v6, 0
	v_or_b32_e32 v1, 8, v1
	v_addc_co_u32_e32 v4, vcc, 0, v4, vcc
	v_lshlrev_b32_e32 v5, 2, v4
	s_waitcnt lgkmcnt(0)
	ds_bpermute_b32 v4, v5, v2
	ds_bpermute_b32 v7, v5, v3
	v_mov_b32_e32 v5, v6
	s_waitcnt lgkmcnt(1)
	v_lshl_add_u64 v[2:3], v[2:3], 0, v[4:5]
	s_waitcnt lgkmcnt(0)
	v_lshl_add_u64 v[4:5], v[6:7], 0, v[2:3]
	ds_bpermute_b32 v2, v1, v2
	ds_bpermute_b32 v7, v1, v5
	v_mov_b32_e32 v3, v6
	s_waitcnt lgkmcnt(1)
	v_lshl_add_u64 v[2:3], v[4:5], 0, v[2:3]
	s_waitcnt lgkmcnt(0)
	v_lshl_add_u64 v[2:3], v[2:3], 0, v[6:7]
.LBB27_20:
	s_or_b64 exec, exec, s[6:7]
	s_mov_b64 s[6:7], 0
	s_branch .LBB27_290
.LBB27_21:
	s_mov_b64 s[4:5], -1
                                        ; implicit-def: $vgpr2_vgpr3
.LBB27_22:
	s_and_b64 vcc, exec, s[4:5]
	s_cbranch_vccz .LBB27_288
; %bb.23:
	s_sub_i32 s10, s36, s10
	v_cmp_gt_u32_e32 vcc, s10, v0
                                        ; implicit-def: $vgpr4_vgpr5
	s_and_saveexec_b64 s[4:5], vcc
	s_cbranch_execz .LBB27_25
; %bb.24:
	global_load_ubyte v1, v0, s[8:9]
	s_mov_b32 s11, 0
	v_mov_b32_e32 v5, s11
	s_waitcnt vmcnt(0)
	v_cmp_ne_u16_e32 vcc, 0, v1
	s_nop 1
	v_cndmask_b32_e64 v4, 0, 1, vcc
.LBB27_25:
	s_or_b64 exec, exec, s[4:5]
	v_or_b32_e32 v1, 0x100, v0
	v_cmp_gt_u32_e32 vcc, s10, v1
	v_mov_b64_e32 v[2:3], 0
	v_mov_b64_e32 v[6:7], 0
	s_and_saveexec_b64 s[4:5], vcc
	s_cbranch_execz .LBB27_27
; %bb.26:
	global_load_ubyte v1, v0, s[8:9] offset:256
	s_mov_b32 s11, 0
	v_mov_b32_e32 v7, s11
	s_waitcnt vmcnt(0)
	v_cmp_ne_u16_e32 vcc, 0, v1
	s_nop 1
	v_cndmask_b32_e64 v6, 0, 1, vcc
.LBB27_27:
	s_or_b64 exec, exec, s[4:5]
	v_or_b32_e32 v1, 0x200, v0
	v_cmp_gt_u32_e32 vcc, s10, v1
	s_and_saveexec_b64 s[4:5], vcc
	s_cbranch_execz .LBB27_29
; %bb.28:
	global_load_ubyte v1, v0, s[8:9] offset:512
	s_mov_b32 s11, 0
	v_mov_b32_e32 v3, s11
	s_waitcnt vmcnt(0)
	v_cmp_ne_u16_e32 vcc, 0, v1
	s_nop 1
	v_cndmask_b32_e64 v2, 0, 1, vcc
.LBB27_29:
	s_or_b64 exec, exec, s[4:5]
	v_or_b32_e32 v1, 0x300, v0
	v_cmp_gt_u32_e32 vcc, s10, v1
	v_mov_b64_e32 v[8:9], 0
	v_mov_b64_e32 v[10:11], 0
	s_and_saveexec_b64 s[4:5], vcc
	s_cbranch_execz .LBB27_31
; %bb.30:
	global_load_ubyte v1, v0, s[8:9] offset:768
	s_mov_b32 s11, 0
	v_mov_b32_e32 v11, s11
	s_waitcnt vmcnt(0)
	v_cmp_ne_u16_e32 vcc, 0, v1
	s_nop 1
	v_cndmask_b32_e64 v10, 0, 1, vcc
.LBB27_31:
	s_or_b64 exec, exec, s[4:5]
	v_or_b32_e32 v1, 0x400, v0
	v_cmp_gt_u32_e32 vcc, s10, v1
	s_and_saveexec_b64 s[4:5], vcc
	s_cbranch_execz .LBB27_33
; %bb.32:
	global_load_ubyte v1, v0, s[8:9] offset:1024
	s_mov_b32 s11, 0
	v_mov_b32_e32 v9, s11
	s_waitcnt vmcnt(0)
	v_cmp_ne_u16_e32 vcc, 0, v1
	s_nop 1
	v_cndmask_b32_e64 v8, 0, 1, vcc
.LBB27_33:
	;; [unrolled: 30-line block ×7, first 2 shown]
	s_or_b64 exec, exec, s[4:5]
	v_or_b32_e32 v1, 0xf00, v0
	v_cmp_gt_u32_e32 vcc, s10, v1
	v_mov_b64_e32 v[32:33], 0
	v_mov_b64_e32 v[34:35], 0
	s_and_saveexec_b64 s[4:5], vcc
	s_cbranch_execz .LBB27_55
; %bb.54:
	global_load_ubyte v1, v0, s[8:9] offset:3840
	s_mov_b32 s11, 0
	v_mov_b32_e32 v35, s11
	s_waitcnt vmcnt(0)
	v_cmp_ne_u16_e32 vcc, 0, v1
	s_nop 1
	v_cndmask_b32_e64 v34, 0, 1, vcc
.LBB27_55:
	s_or_b64 exec, exec, s[4:5]
	v_or_b32_e32 v1, 0x1000, v0
	v_cmp_gt_u32_e32 vcc, s10, v1
	s_and_saveexec_b64 s[4:5], vcc
	s_cbranch_execz .LBB27_57
; %bb.56:
	global_load_ubyte v1, v1, s[8:9]
	s_mov_b32 s11, 0
	v_mov_b32_e32 v33, s11
	s_waitcnt vmcnt(0)
	v_cmp_ne_u16_e32 vcc, 0, v1
	s_nop 1
	v_cndmask_b32_e64 v32, 0, 1, vcc
.LBB27_57:
	s_or_b64 exec, exec, s[4:5]
	v_or_b32_e32 v1, 0x1100, v0
	v_cmp_gt_u32_e32 vcc, s10, v1
	v_mov_b64_e32 v[36:37], 0
	v_mov_b64_e32 v[38:39], 0
	s_and_saveexec_b64 s[4:5], vcc
	s_cbranch_execz .LBB27_59
; %bb.58:
	global_load_ubyte v1, v1, s[8:9]
	s_mov_b32 s11, 0
	v_mov_b32_e32 v39, s11
	s_waitcnt vmcnt(0)
	v_cmp_ne_u16_e32 vcc, 0, v1
	s_nop 1
	v_cndmask_b32_e64 v38, 0, 1, vcc
.LBB27_59:
	s_or_b64 exec, exec, s[4:5]
	v_or_b32_e32 v1, 0x1200, v0
	v_cmp_gt_u32_e32 vcc, s10, v1
	s_and_saveexec_b64 s[4:5], vcc
	s_cbranch_execz .LBB27_61
; %bb.60:
	global_load_ubyte v1, v1, s[8:9]
	s_mov_b32 s11, 0
	v_mov_b32_e32 v37, s11
	s_waitcnt vmcnt(0)
	v_cmp_ne_u16_e32 vcc, 0, v1
	s_nop 1
	v_cndmask_b32_e64 v36, 0, 1, vcc
.LBB27_61:
	s_or_b64 exec, exec, s[4:5]
	v_or_b32_e32 v1, 0x1300, v0
	v_cmp_gt_u32_e32 vcc, s10, v1
	v_mov_b64_e32 v[40:41], 0
	v_mov_b64_e32 v[42:43], 0
	s_and_saveexec_b64 s[4:5], vcc
	s_cbranch_execz .LBB27_63
; %bb.62:
	global_load_ubyte v1, v1, s[8:9]
	s_mov_b32 s11, 0
	v_mov_b32_e32 v43, s11
	s_waitcnt vmcnt(0)
	v_cmp_ne_u16_e32 vcc, 0, v1
	s_nop 1
	v_cndmask_b32_e64 v42, 0, 1, vcc
.LBB27_63:
	;; [unrolled: 30-line block ×55, first 2 shown]
	s_or_b64 exec, exec, s[4:5]
	v_or_b32_e32 v1, 0x7e00, v0
	v_cmp_gt_u32_e32 vcc, s10, v1
	s_and_saveexec_b64 s[4:5], vcc
	s_cbranch_execz .LBB27_277
; %bb.276:
	global_load_ubyte v1, v1, s[8:9]
	s_mov_b32 s11, 0
	v_mov_b32_e32 v253, s11
	s_waitcnt vmcnt(0)
	v_cmp_ne_u16_e32 vcc, 0, v1
	s_nop 1
	v_cndmask_b32_e64 v252, 0, 1, vcc
.LBB27_277:
	s_or_b64 exec, exec, s[4:5]
	v_accvgpr_write_b32 a2, v2
	v_or_b32_e32 v1, 0x7f00, v0
	v_accvgpr_write_b32 a3, v3
	v_cmp_gt_u32_e32 vcc, s10, v1
	v_mov_b64_e32 v[2:3], 0
	s_and_saveexec_b64 s[4:5], vcc
	s_cbranch_execz .LBB27_279
; %bb.278:
	global_load_ubyte v1, v1, s[8:9]
	s_mov_b32 s8, 0
	v_mov_b32_e32 v3, s8
	s_waitcnt vmcnt(0)
	v_cmp_ne_u16_e32 vcc, 0, v1
	s_nop 1
	v_cndmask_b32_e64 v2, 0, 1, vcc
.LBB27_279:
	s_or_b64 exec, exec, s[4:5]
	v_lshl_add_u64 v[6:7], v[6:7], 0, v[4:5]
	v_accvgpr_read_b32 v5, a3
	v_accvgpr_read_b32 v4, a2
	v_lshl_add_u64 v[4:5], v[6:7], 0, v[4:5]
	v_lshl_add_u64 v[4:5], v[4:5], 0, v[10:11]
	;; [unrolled: 1-line block ×123, first 2 shown]
	v_mbcnt_lo_u32_b32 v1, -1, 0
	v_lshl_add_u64 v[4:5], v[4:5], 0, v[254:255]
	v_mbcnt_hi_u32_b32 v1, -1, v1
	v_lshl_add_u64 v[4:5], v[4:5], 0, v[252:253]
	v_and_b32_e32 v9, 63, v1
	v_lshl_add_u64 v[2:3], v[4:5], 0, v[2:3]
	s_min_u32 s10, s10, 0x100
	v_and_b32_e32 v4, 0xc0, v0
	v_cmp_ne_u32_e32 vcc, 63, v9
	v_sub_u32_e64 v8, s10, v4 clamp
	v_add_u32_e32 v5, 1, v9
	v_addc_co_u32_e32 v4, vcc, 0, v1, vcc
	v_lshlrev_b32_e32 v6, 2, v4
	ds_bpermute_b32 v4, v6, v2
	ds_bpermute_b32 v7, v6, v3
	v_mov_b32_e32 v6, 0
	v_cmp_lt_u32_e32 vcc, v5, v8
	v_mov_b32_e32 v5, v6
	s_waitcnt lgkmcnt(1)
	v_lshl_add_u64 v[4:5], v[2:3], 0, v[4:5]
	s_waitcnt lgkmcnt(0)
	v_lshl_add_u64 v[6:7], v[6:7], 0, v[4:5]
	v_cmp_gt_u32_e64 s[4:5], 62, v9
	v_cndmask_b32_e32 v10, v2, v4, vcc
	v_cndmask_b32_e32 v4, v2, v6, vcc
	v_cndmask_b32_e64 v6, 0, 2, s[4:5]
	v_cndmask_b32_e32 v5, v3, v7, vcc
	v_add_lshl_u32 v7, v6, v1, 2
	ds_bpermute_b32 v6, v7, v10
	ds_bpermute_b32 v7, v7, v5
	v_add_u32_e32 v11, 2, v9
	v_cmp_lt_u32_e64 s[4:5], v11, v8
	v_add_u32_e32 v11, 4, v9
	s_waitcnt lgkmcnt(0)
	v_lshl_add_u64 v[6:7], v[6:7], 0, v[4:5]
	v_cndmask_b32_e64 v10, v10, v6, s[4:5]
	v_cndmask_b32_e64 v5, v5, v7, s[4:5]
	v_cndmask_b32_e64 v4, v4, v6, s[4:5]
	v_cmp_gt_u32_e64 s[4:5], 60, v9
	s_nop 1
	v_cndmask_b32_e64 v6, 0, 4, s[4:5]
	v_add_lshl_u32 v7, v6, v1, 2
	ds_bpermute_b32 v6, v7, v10
	ds_bpermute_b32 v7, v7, v5
	v_cmp_lt_u32_e64 s[4:5], v11, v8
	v_add_u32_e32 v11, 8, v9
	s_waitcnt lgkmcnt(0)
	v_lshl_add_u64 v[6:7], v[6:7], 0, v[4:5]
	v_cndmask_b32_e64 v10, v10, v6, s[4:5]
	v_cndmask_b32_e64 v5, v5, v7, s[4:5]
	v_cndmask_b32_e64 v4, v4, v6, s[4:5]
	v_cmp_gt_u32_e64 s[4:5], 56, v9
	s_nop 1
	v_cndmask_b32_e64 v6, 0, 8, s[4:5]
	v_add_lshl_u32 v7, v6, v1, 2
	ds_bpermute_b32 v6, v7, v10
	ds_bpermute_b32 v7, v7, v5
	;; [unrolled: 13-line block ×3, first 2 shown]
	v_cmp_lt_u32_e64 s[4:5], v11, v8
	s_waitcnt lgkmcnt(0)
	v_lshl_add_u64 v[6:7], v[6:7], 0, v[4:5]
	v_cndmask_b32_e64 v11, v10, v6, s[4:5]
	v_lshlrev_b32_e32 v10, 2, v1
	v_cndmask_b32_e64 v12, v5, v7, s[4:5]
	v_or_b32_e32 v13, 0x80, v10
	ds_bpermute_b32 v11, v13, v11
	ds_bpermute_b32 v12, v13, v12
	s_and_saveexec_b64 s[8:9], vcc
	s_cbranch_execz .LBB27_281
; %bb.280:
	v_add_u32_e32 v9, 32, v9
	v_cmp_lt_u32_e32 vcc, v9, v8
	v_cndmask_b32_e64 v3, v5, v7, s[4:5]
	v_cndmask_b32_e64 v2, v4, v6, s[4:5]
	s_waitcnt lgkmcnt(0)
	v_cndmask_b32_e32 v5, 0, v12, vcc
	v_cndmask_b32_e32 v4, 0, v11, vcc
	v_lshl_add_u64 v[2:3], v[4:5], 0, v[2:3]
.LBB27_281:
	s_or_b64 exec, exec, s[8:9]
	v_cmp_eq_u32_e32 vcc, 0, v1
	s_and_saveexec_b64 s[4:5], vcc
; %bb.282:
	v_lshrrev_b32_e32 v4, 3, v0
	v_and_b32_e32 v4, 24, v4
	ds_write_b64 v4, v[2:3] offset:256
; %bb.283:
	s_or_b64 exec, exec, s[4:5]
	v_cmp_gt_u32_e32 vcc, 4, v0
	s_waitcnt lgkmcnt(0)
	s_barrier
	s_and_saveexec_b64 s[4:5], vcc
	s_cbranch_execz .LBB27_287
; %bb.284:
	v_lshlrev_b32_e32 v2, 3, v1
	ds_read_b64 v[2:3], v2 offset:256
	v_and_b32_e32 v6, 3, v1
	v_cmp_ne_u32_e32 vcc, 3, v6
	v_mov_b32_e32 v8, 0
	s_add_i32 s10, s10, 63
	v_addc_co_u32_e32 v1, vcc, 0, v1, vcc
	v_lshlrev_b32_e32 v1, 2, v1
	s_waitcnt lgkmcnt(0)
	ds_bpermute_b32 v4, v1, v2
	ds_bpermute_b32 v9, v1, v3
	v_mov_b32_e32 v5, v8
	s_lshr_b32 s10, s10, 6
	v_add_u32_e32 v1, 1, v6
	s_waitcnt lgkmcnt(1)
	v_lshl_add_u64 v[12:13], v[2:3], 0, v[4:5]
	s_waitcnt lgkmcnt(0)
	v_lshl_add_u64 v[4:5], v[8:9], 0, v[12:13]
	v_cmp_gt_u32_e32 vcc, s10, v1
	v_or_b32_e32 v8, 8, v10
	s_nop 0
	v_cndmask_b32_e32 v7, v3, v5, vcc
	v_cndmask_b32_e32 v1, v2, v12, vcc
	ds_bpermute_b32 v1, v8, v1
	ds_bpermute_b32 v7, v8, v7
	s_and_saveexec_b64 s[8:9], vcc
	s_cbranch_execz .LBB27_286
; %bb.285:
	v_add_u32_e32 v2, 2, v6
	v_cmp_gt_u32_e32 vcc, s10, v2
	s_waitcnt lgkmcnt(0)
	s_nop 0
	v_cndmask_b32_e32 v3, 0, v7, vcc
	v_cndmask_b32_e32 v2, 0, v1, vcc
	v_lshl_add_u64 v[2:3], v[2:3], 0, v[4:5]
.LBB27_286:
	s_or_b64 exec, exec, s[8:9]
.LBB27_287:
	s_or_b64 exec, exec, s[4:5]
.LBB27_288:
	v_cmp_eq_u32_e64 s[4:5], 0, v0
	v_mov_b64_e32 v[4:5], s[2:3]
	s_and_b64 vcc, exec, s[6:7]
	s_cbranch_vccnz .LBB27_14
	s_branch .LBB27_429
.LBB27_289:
	s_mov_b64 s[6:7], -1
                                        ; implicit-def: $vgpr2_vgpr3
.LBB27_290:
	s_and_b64 vcc, exec, s[6:7]
	s_cbranch_vccz .LBB27_428
; %bb.291:
	s_sub_i32 s8, s36, s8
	v_cmp_gt_u32_e32 vcc, s8, v0
                                        ; implicit-def: $vgpr2_vgpr3
	s_and_saveexec_b64 s[6:7], vcc
	s_cbranch_execz .LBB27_293
; %bb.292:
	s_waitcnt lgkmcnt(1)
	global_load_ubyte v1, v0, s[4:5]
	s_mov_b32 s9, 0
	v_mov_b32_e32 v3, s9
	s_waitcnt vmcnt(0)
	v_cmp_ne_u16_e32 vcc, 0, v1
	s_nop 1
	v_cndmask_b32_e64 v2, 0, 1, vcc
.LBB27_293:
	s_or_b64 exec, exec, s[6:7]
	s_waitcnt lgkmcnt(1)
	v_or_b32_e32 v1, 0x100, v0
	v_cmp_gt_u32_e32 vcc, s8, v1
	v_mov_b64_e32 v[4:5], 0
	s_waitcnt lgkmcnt(0)
	v_mov_b64_e32 v[6:7], 0
	s_and_saveexec_b64 s[6:7], vcc
	s_cbranch_execz .LBB27_295
; %bb.294:
	global_load_ubyte v1, v0, s[4:5] offset:256
	s_mov_b32 s9, 0
	v_mov_b32_e32 v7, s9
	s_waitcnt vmcnt(0)
	v_cmp_ne_u16_e32 vcc, 0, v1
	s_nop 1
	v_cndmask_b32_e64 v6, 0, 1, vcc
.LBB27_295:
	s_or_b64 exec, exec, s[6:7]
	v_or_b32_e32 v1, 0x200, v0
	v_cmp_gt_u32_e32 vcc, s8, v1
	s_and_saveexec_b64 s[6:7], vcc
	s_cbranch_execz .LBB27_297
; %bb.296:
	global_load_ubyte v1, v0, s[4:5] offset:512
	s_mov_b32 s9, 0
	v_mov_b32_e32 v5, s9
	s_waitcnt vmcnt(0)
	v_cmp_ne_u16_e32 vcc, 0, v1
	s_nop 1
	v_cndmask_b32_e64 v4, 0, 1, vcc
.LBB27_297:
	s_or_b64 exec, exec, s[6:7]
	v_or_b32_e32 v1, 0x300, v0
	v_cmp_gt_u32_e32 vcc, s8, v1
	v_mov_b64_e32 v[8:9], 0
	v_mov_b64_e32 v[10:11], 0
	s_and_saveexec_b64 s[6:7], vcc
	s_cbranch_execz .LBB27_299
; %bb.298:
	global_load_ubyte v1, v0, s[4:5] offset:768
	s_mov_b32 s9, 0
	v_mov_b32_e32 v11, s9
	s_waitcnt vmcnt(0)
	v_cmp_ne_u16_e32 vcc, 0, v1
	s_nop 1
	v_cndmask_b32_e64 v10, 0, 1, vcc
.LBB27_299:
	s_or_b64 exec, exec, s[6:7]
	v_or_b32_e32 v1, 0x400, v0
	v_cmp_gt_u32_e32 vcc, s8, v1
	s_and_saveexec_b64 s[6:7], vcc
	s_cbranch_execz .LBB27_301
; %bb.300:
	global_load_ubyte v1, v0, s[4:5] offset:1024
	s_mov_b32 s9, 0
	v_mov_b32_e32 v9, s9
	s_waitcnt vmcnt(0)
	v_cmp_ne_u16_e32 vcc, 0, v1
	s_nop 1
	v_cndmask_b32_e64 v8, 0, 1, vcc
.LBB27_301:
	s_or_b64 exec, exec, s[6:7]
	v_or_b32_e32 v1, 0x500, v0
	v_cmp_gt_u32_e32 vcc, s8, v1
	v_mov_b64_e32 v[12:13], 0
	;; [unrolled: 30-line block ×7, first 2 shown]
	v_mov_b64_e32 v[34:35], 0
	s_and_saveexec_b64 s[6:7], vcc
	s_cbranch_execz .LBB27_323
; %bb.322:
	global_load_ubyte v1, v0, s[4:5] offset:3840
	s_mov_b32 s9, 0
	v_mov_b32_e32 v35, s9
	s_waitcnt vmcnt(0)
	v_cmp_ne_u16_e32 vcc, 0, v1
	s_nop 1
	v_cndmask_b32_e64 v34, 0, 1, vcc
.LBB27_323:
	s_or_b64 exec, exec, s[6:7]
	v_or_b32_e32 v1, 0x1000, v0
	v_cmp_gt_u32_e32 vcc, s8, v1
	s_and_saveexec_b64 s[6:7], vcc
	s_cbranch_execz .LBB27_325
; %bb.324:
	global_load_ubyte v1, v1, s[4:5]
	s_mov_b32 s9, 0
	v_mov_b32_e32 v33, s9
	s_waitcnt vmcnt(0)
	v_cmp_ne_u16_e32 vcc, 0, v1
	s_nop 1
	v_cndmask_b32_e64 v32, 0, 1, vcc
.LBB27_325:
	s_or_b64 exec, exec, s[6:7]
	v_or_b32_e32 v1, 0x1100, v0
	v_cmp_gt_u32_e32 vcc, s8, v1
	v_mov_b64_e32 v[36:37], 0
	v_mov_b64_e32 v[38:39], 0
	s_and_saveexec_b64 s[6:7], vcc
	s_cbranch_execz .LBB27_327
; %bb.326:
	global_load_ubyte v1, v1, s[4:5]
	s_mov_b32 s9, 0
	v_mov_b32_e32 v39, s9
	s_waitcnt vmcnt(0)
	v_cmp_ne_u16_e32 vcc, 0, v1
	s_nop 1
	v_cndmask_b32_e64 v38, 0, 1, vcc
.LBB27_327:
	s_or_b64 exec, exec, s[6:7]
	v_or_b32_e32 v1, 0x1200, v0
	v_cmp_gt_u32_e32 vcc, s8, v1
	s_and_saveexec_b64 s[6:7], vcc
	s_cbranch_execz .LBB27_329
; %bb.328:
	global_load_ubyte v1, v1, s[4:5]
	s_mov_b32 s9, 0
	v_mov_b32_e32 v37, s9
	s_waitcnt vmcnt(0)
	v_cmp_ne_u16_e32 vcc, 0, v1
	s_nop 1
	v_cndmask_b32_e64 v36, 0, 1, vcc
.LBB27_329:
	s_or_b64 exec, exec, s[6:7]
	v_or_b32_e32 v1, 0x1300, v0
	v_cmp_gt_u32_e32 vcc, s8, v1
	v_mov_b64_e32 v[40:41], 0
	v_mov_b64_e32 v[42:43], 0
	s_and_saveexec_b64 s[6:7], vcc
	s_cbranch_execz .LBB27_331
; %bb.330:
	global_load_ubyte v1, v1, s[4:5]
	s_mov_b32 s9, 0
	v_mov_b32_e32 v43, s9
	s_waitcnt vmcnt(0)
	v_cmp_ne_u16_e32 vcc, 0, v1
	s_nop 1
	v_cndmask_b32_e64 v42, 0, 1, vcc
.LBB27_331:
	s_or_b64 exec, exec, s[6:7]
	v_or_b32_e32 v1, 0x1400, v0
	v_cmp_gt_u32_e32 vcc, s8, v1
	s_and_saveexec_b64 s[6:7], vcc
	s_cbranch_execz .LBB27_333
; %bb.332:
	global_load_ubyte v1, v1, s[4:5]
	s_mov_b32 s9, 0
	v_mov_b32_e32 v41, s9
	s_waitcnt vmcnt(0)
	v_cmp_ne_u16_e32 vcc, 0, v1
	s_nop 1
	v_cndmask_b32_e64 v40, 0, 1, vcc
.LBB27_333:
	s_or_b64 exec, exec, s[6:7]
	v_or_b32_e32 v1, 0x1500, v0
	v_cmp_gt_u32_e32 vcc, s8, v1
	v_mov_b64_e32 v[44:45], 0
	v_mov_b64_e32 v[46:47], 0
	s_and_saveexec_b64 s[6:7], vcc
	s_cbranch_execz .LBB27_335
; %bb.334:
	global_load_ubyte v1, v1, s[4:5]
	s_mov_b32 s9, 0
	v_mov_b32_e32 v47, s9
	s_waitcnt vmcnt(0)
	v_cmp_ne_u16_e32 vcc, 0, v1
	s_nop 1
	v_cndmask_b32_e64 v46, 0, 1, vcc
.LBB27_335:
	s_or_b64 exec, exec, s[6:7]
	v_or_b32_e32 v1, 0x1600, v0
	v_cmp_gt_u32_e32 vcc, s8, v1
	s_and_saveexec_b64 s[6:7], vcc
	s_cbranch_execz .LBB27_337
; %bb.336:
	global_load_ubyte v1, v1, s[4:5]
	s_mov_b32 s9, 0
	v_mov_b32_e32 v45, s9
	s_waitcnt vmcnt(0)
	v_cmp_ne_u16_e32 vcc, 0, v1
	s_nop 1
	v_cndmask_b32_e64 v44, 0, 1, vcc
.LBB27_337:
	s_or_b64 exec, exec, s[6:7]
	v_or_b32_e32 v1, 0x1700, v0
	v_cmp_gt_u32_e32 vcc, s8, v1
	v_mov_b64_e32 v[48:49], 0
	v_mov_b64_e32 v[50:51], 0
	s_and_saveexec_b64 s[6:7], vcc
	s_cbranch_execz .LBB27_339
; %bb.338:
	global_load_ubyte v1, v1, s[4:5]
	s_mov_b32 s9, 0
	v_mov_b32_e32 v51, s9
	s_waitcnt vmcnt(0)
	v_cmp_ne_u16_e32 vcc, 0, v1
	s_nop 1
	v_cndmask_b32_e64 v50, 0, 1, vcc
.LBB27_339:
	s_or_b64 exec, exec, s[6:7]
	v_or_b32_e32 v1, 0x1800, v0
	v_cmp_gt_u32_e32 vcc, s8, v1
	s_and_saveexec_b64 s[6:7], vcc
	s_cbranch_execz .LBB27_341
; %bb.340:
	global_load_ubyte v1, v1, s[4:5]
	s_mov_b32 s9, 0
	v_mov_b32_e32 v49, s9
	s_waitcnt vmcnt(0)
	v_cmp_ne_u16_e32 vcc, 0, v1
	s_nop 1
	v_cndmask_b32_e64 v48, 0, 1, vcc
.LBB27_341:
	s_or_b64 exec, exec, s[6:7]
	v_or_b32_e32 v1, 0x1900, v0
	v_cmp_gt_u32_e32 vcc, s8, v1
	v_mov_b64_e32 v[52:53], 0
	v_mov_b64_e32 v[54:55], 0
	s_and_saveexec_b64 s[6:7], vcc
	s_cbranch_execz .LBB27_343
; %bb.342:
	global_load_ubyte v1, v1, s[4:5]
	s_mov_b32 s9, 0
	v_mov_b32_e32 v55, s9
	s_waitcnt vmcnt(0)
	v_cmp_ne_u16_e32 vcc, 0, v1
	s_nop 1
	v_cndmask_b32_e64 v54, 0, 1, vcc
.LBB27_343:
	s_or_b64 exec, exec, s[6:7]
	v_or_b32_e32 v1, 0x1a00, v0
	v_cmp_gt_u32_e32 vcc, s8, v1
	s_and_saveexec_b64 s[6:7], vcc
	s_cbranch_execz .LBB27_345
; %bb.344:
	global_load_ubyte v1, v1, s[4:5]
	s_mov_b32 s9, 0
	v_mov_b32_e32 v53, s9
	s_waitcnt vmcnt(0)
	v_cmp_ne_u16_e32 vcc, 0, v1
	s_nop 1
	v_cndmask_b32_e64 v52, 0, 1, vcc
.LBB27_345:
	s_or_b64 exec, exec, s[6:7]
	v_or_b32_e32 v1, 0x1b00, v0
	v_cmp_gt_u32_e32 vcc, s8, v1
	v_mov_b64_e32 v[56:57], 0
	v_mov_b64_e32 v[58:59], 0
	s_and_saveexec_b64 s[6:7], vcc
	s_cbranch_execz .LBB27_347
; %bb.346:
	global_load_ubyte v1, v1, s[4:5]
	s_mov_b32 s9, 0
	v_mov_b32_e32 v59, s9
	s_waitcnt vmcnt(0)
	v_cmp_ne_u16_e32 vcc, 0, v1
	s_nop 1
	v_cndmask_b32_e64 v58, 0, 1, vcc
.LBB27_347:
	s_or_b64 exec, exec, s[6:7]
	v_or_b32_e32 v1, 0x1c00, v0
	v_cmp_gt_u32_e32 vcc, s8, v1
	s_and_saveexec_b64 s[6:7], vcc
	s_cbranch_execz .LBB27_349
; %bb.348:
	global_load_ubyte v1, v1, s[4:5]
	s_mov_b32 s9, 0
	v_mov_b32_e32 v57, s9
	s_waitcnt vmcnt(0)
	v_cmp_ne_u16_e32 vcc, 0, v1
	s_nop 1
	v_cndmask_b32_e64 v56, 0, 1, vcc
.LBB27_349:
	s_or_b64 exec, exec, s[6:7]
	v_or_b32_e32 v1, 0x1d00, v0
	v_cmp_gt_u32_e32 vcc, s8, v1
	v_mov_b64_e32 v[60:61], 0
	v_mov_b64_e32 v[62:63], 0
	s_and_saveexec_b64 s[6:7], vcc
	s_cbranch_execz .LBB27_351
; %bb.350:
	global_load_ubyte v1, v1, s[4:5]
	s_mov_b32 s9, 0
	v_mov_b32_e32 v63, s9
	s_waitcnt vmcnt(0)
	v_cmp_ne_u16_e32 vcc, 0, v1
	s_nop 1
	v_cndmask_b32_e64 v62, 0, 1, vcc
.LBB27_351:
	s_or_b64 exec, exec, s[6:7]
	v_or_b32_e32 v1, 0x1e00, v0
	v_cmp_gt_u32_e32 vcc, s8, v1
	s_and_saveexec_b64 s[6:7], vcc
	s_cbranch_execz .LBB27_353
; %bb.352:
	global_load_ubyte v1, v1, s[4:5]
	s_mov_b32 s9, 0
	v_mov_b32_e32 v61, s9
	s_waitcnt vmcnt(0)
	v_cmp_ne_u16_e32 vcc, 0, v1
	s_nop 1
	v_cndmask_b32_e64 v60, 0, 1, vcc
.LBB27_353:
	s_or_b64 exec, exec, s[6:7]
	v_or_b32_e32 v1, 0x1f00, v0
	v_cmp_gt_u32_e32 vcc, s8, v1
	v_mov_b64_e32 v[64:65], 0
	v_mov_b64_e32 v[66:67], 0
	s_and_saveexec_b64 s[6:7], vcc
	s_cbranch_execz .LBB27_355
; %bb.354:
	global_load_ubyte v1, v1, s[4:5]
	s_mov_b32 s9, 0
	v_mov_b32_e32 v67, s9
	s_waitcnt vmcnt(0)
	v_cmp_ne_u16_e32 vcc, 0, v1
	s_nop 1
	v_cndmask_b32_e64 v66, 0, 1, vcc
.LBB27_355:
	s_or_b64 exec, exec, s[6:7]
	v_or_b32_e32 v1, 0x2000, v0
	v_cmp_gt_u32_e32 vcc, s8, v1
	s_and_saveexec_b64 s[6:7], vcc
	s_cbranch_execz .LBB27_357
; %bb.356:
	global_load_ubyte v1, v1, s[4:5]
	s_mov_b32 s9, 0
	v_mov_b32_e32 v65, s9
	s_waitcnt vmcnt(0)
	v_cmp_ne_u16_e32 vcc, 0, v1
	s_nop 1
	v_cndmask_b32_e64 v64, 0, 1, vcc
.LBB27_357:
	s_or_b64 exec, exec, s[6:7]
	v_or_b32_e32 v1, 0x2100, v0
	v_cmp_gt_u32_e32 vcc, s8, v1
	v_mov_b64_e32 v[68:69], 0
	v_mov_b64_e32 v[70:71], 0
	s_and_saveexec_b64 s[6:7], vcc
	s_cbranch_execz .LBB27_359
; %bb.358:
	global_load_ubyte v1, v1, s[4:5]
	s_mov_b32 s9, 0
	v_mov_b32_e32 v71, s9
	s_waitcnt vmcnt(0)
	v_cmp_ne_u16_e32 vcc, 0, v1
	s_nop 1
	v_cndmask_b32_e64 v70, 0, 1, vcc
.LBB27_359:
	s_or_b64 exec, exec, s[6:7]
	v_or_b32_e32 v1, 0x2200, v0
	v_cmp_gt_u32_e32 vcc, s8, v1
	s_and_saveexec_b64 s[6:7], vcc
	s_cbranch_execz .LBB27_361
; %bb.360:
	global_load_ubyte v1, v1, s[4:5]
	s_mov_b32 s9, 0
	v_mov_b32_e32 v69, s9
	s_waitcnt vmcnt(0)
	v_cmp_ne_u16_e32 vcc, 0, v1
	s_nop 1
	v_cndmask_b32_e64 v68, 0, 1, vcc
.LBB27_361:
	s_or_b64 exec, exec, s[6:7]
	v_or_b32_e32 v1, 0x2300, v0
	v_cmp_gt_u32_e32 vcc, s8, v1
	v_mov_b64_e32 v[72:73], 0
	v_mov_b64_e32 v[74:75], 0
	s_and_saveexec_b64 s[6:7], vcc
	s_cbranch_execz .LBB27_363
; %bb.362:
	global_load_ubyte v1, v1, s[4:5]
	s_mov_b32 s9, 0
	v_mov_b32_e32 v75, s9
	s_waitcnt vmcnt(0)
	v_cmp_ne_u16_e32 vcc, 0, v1
	s_nop 1
	v_cndmask_b32_e64 v74, 0, 1, vcc
.LBB27_363:
	s_or_b64 exec, exec, s[6:7]
	v_or_b32_e32 v1, 0x2400, v0
	v_cmp_gt_u32_e32 vcc, s8, v1
	s_and_saveexec_b64 s[6:7], vcc
	s_cbranch_execz .LBB27_365
; %bb.364:
	global_load_ubyte v1, v1, s[4:5]
	s_mov_b32 s9, 0
	v_mov_b32_e32 v73, s9
	s_waitcnt vmcnt(0)
	v_cmp_ne_u16_e32 vcc, 0, v1
	s_nop 1
	v_cndmask_b32_e64 v72, 0, 1, vcc
.LBB27_365:
	s_or_b64 exec, exec, s[6:7]
	v_or_b32_e32 v1, 0x2500, v0
	v_cmp_gt_u32_e32 vcc, s8, v1
	v_mov_b64_e32 v[76:77], 0
	v_mov_b64_e32 v[78:79], 0
	s_and_saveexec_b64 s[6:7], vcc
	s_cbranch_execz .LBB27_367
; %bb.366:
	global_load_ubyte v1, v1, s[4:5]
	s_mov_b32 s9, 0
	v_mov_b32_e32 v79, s9
	s_waitcnt vmcnt(0)
	v_cmp_ne_u16_e32 vcc, 0, v1
	s_nop 1
	v_cndmask_b32_e64 v78, 0, 1, vcc
.LBB27_367:
	s_or_b64 exec, exec, s[6:7]
	v_or_b32_e32 v1, 0x2600, v0
	v_cmp_gt_u32_e32 vcc, s8, v1
	s_and_saveexec_b64 s[6:7], vcc
	s_cbranch_execz .LBB27_369
; %bb.368:
	global_load_ubyte v1, v1, s[4:5]
	s_mov_b32 s9, 0
	v_mov_b32_e32 v77, s9
	s_waitcnt vmcnt(0)
	v_cmp_ne_u16_e32 vcc, 0, v1
	s_nop 1
	v_cndmask_b32_e64 v76, 0, 1, vcc
.LBB27_369:
	s_or_b64 exec, exec, s[6:7]
	v_or_b32_e32 v1, 0x2700, v0
	v_cmp_gt_u32_e32 vcc, s8, v1
	v_mov_b64_e32 v[80:81], 0
	v_mov_b64_e32 v[82:83], 0
	s_and_saveexec_b64 s[6:7], vcc
	s_cbranch_execz .LBB27_371
; %bb.370:
	global_load_ubyte v1, v1, s[4:5]
	s_mov_b32 s9, 0
	v_mov_b32_e32 v83, s9
	s_waitcnt vmcnt(0)
	v_cmp_ne_u16_e32 vcc, 0, v1
	s_nop 1
	v_cndmask_b32_e64 v82, 0, 1, vcc
.LBB27_371:
	s_or_b64 exec, exec, s[6:7]
	v_or_b32_e32 v1, 0x2800, v0
	v_cmp_gt_u32_e32 vcc, s8, v1
	s_and_saveexec_b64 s[6:7], vcc
	s_cbranch_execz .LBB27_373
; %bb.372:
	global_load_ubyte v1, v1, s[4:5]
	s_mov_b32 s9, 0
	v_mov_b32_e32 v81, s9
	s_waitcnt vmcnt(0)
	v_cmp_ne_u16_e32 vcc, 0, v1
	s_nop 1
	v_cndmask_b32_e64 v80, 0, 1, vcc
.LBB27_373:
	s_or_b64 exec, exec, s[6:7]
	v_or_b32_e32 v1, 0x2900, v0
	v_cmp_gt_u32_e32 vcc, s8, v1
	v_mov_b64_e32 v[84:85], 0
	v_mov_b64_e32 v[86:87], 0
	s_and_saveexec_b64 s[6:7], vcc
	s_cbranch_execz .LBB27_375
; %bb.374:
	global_load_ubyte v1, v1, s[4:5]
	s_mov_b32 s9, 0
	v_mov_b32_e32 v87, s9
	s_waitcnt vmcnt(0)
	v_cmp_ne_u16_e32 vcc, 0, v1
	s_nop 1
	v_cndmask_b32_e64 v86, 0, 1, vcc
.LBB27_375:
	s_or_b64 exec, exec, s[6:7]
	v_or_b32_e32 v1, 0x2a00, v0
	v_cmp_gt_u32_e32 vcc, s8, v1
	s_and_saveexec_b64 s[6:7], vcc
	s_cbranch_execz .LBB27_377
; %bb.376:
	global_load_ubyte v1, v1, s[4:5]
	s_mov_b32 s9, 0
	v_mov_b32_e32 v85, s9
	s_waitcnt vmcnt(0)
	v_cmp_ne_u16_e32 vcc, 0, v1
	s_nop 1
	v_cndmask_b32_e64 v84, 0, 1, vcc
.LBB27_377:
	s_or_b64 exec, exec, s[6:7]
	v_or_b32_e32 v1, 0x2b00, v0
	v_cmp_gt_u32_e32 vcc, s8, v1
	v_mov_b64_e32 v[88:89], 0
	v_mov_b64_e32 v[90:91], 0
	s_and_saveexec_b64 s[6:7], vcc
	s_cbranch_execz .LBB27_379
; %bb.378:
	global_load_ubyte v1, v1, s[4:5]
	s_mov_b32 s9, 0
	v_mov_b32_e32 v91, s9
	s_waitcnt vmcnt(0)
	v_cmp_ne_u16_e32 vcc, 0, v1
	s_nop 1
	v_cndmask_b32_e64 v90, 0, 1, vcc
.LBB27_379:
	s_or_b64 exec, exec, s[6:7]
	v_or_b32_e32 v1, 0x2c00, v0
	v_cmp_gt_u32_e32 vcc, s8, v1
	s_and_saveexec_b64 s[6:7], vcc
	s_cbranch_execz .LBB27_381
; %bb.380:
	global_load_ubyte v1, v1, s[4:5]
	s_mov_b32 s9, 0
	v_mov_b32_e32 v89, s9
	s_waitcnt vmcnt(0)
	v_cmp_ne_u16_e32 vcc, 0, v1
	s_nop 1
	v_cndmask_b32_e64 v88, 0, 1, vcc
.LBB27_381:
	s_or_b64 exec, exec, s[6:7]
	v_or_b32_e32 v1, 0x2d00, v0
	v_cmp_gt_u32_e32 vcc, s8, v1
	v_mov_b64_e32 v[92:93], 0
	v_mov_b64_e32 v[94:95], 0
	s_and_saveexec_b64 s[6:7], vcc
	s_cbranch_execz .LBB27_383
; %bb.382:
	global_load_ubyte v1, v1, s[4:5]
	s_mov_b32 s9, 0
	v_mov_b32_e32 v95, s9
	s_waitcnt vmcnt(0)
	v_cmp_ne_u16_e32 vcc, 0, v1
	s_nop 1
	v_cndmask_b32_e64 v94, 0, 1, vcc
.LBB27_383:
	s_or_b64 exec, exec, s[6:7]
	v_or_b32_e32 v1, 0x2e00, v0
	v_cmp_gt_u32_e32 vcc, s8, v1
	s_and_saveexec_b64 s[6:7], vcc
	s_cbranch_execz .LBB27_385
; %bb.384:
	global_load_ubyte v1, v1, s[4:5]
	s_mov_b32 s9, 0
	v_mov_b32_e32 v93, s9
	s_waitcnt vmcnt(0)
	v_cmp_ne_u16_e32 vcc, 0, v1
	s_nop 1
	v_cndmask_b32_e64 v92, 0, 1, vcc
.LBB27_385:
	s_or_b64 exec, exec, s[6:7]
	v_or_b32_e32 v1, 0x2f00, v0
	v_cmp_gt_u32_e32 vcc, s8, v1
	v_mov_b64_e32 v[96:97], 0
	v_mov_b64_e32 v[98:99], 0
	s_and_saveexec_b64 s[6:7], vcc
	s_cbranch_execz .LBB27_387
; %bb.386:
	global_load_ubyte v1, v1, s[4:5]
	s_mov_b32 s9, 0
	v_mov_b32_e32 v99, s9
	s_waitcnt vmcnt(0)
	v_cmp_ne_u16_e32 vcc, 0, v1
	s_nop 1
	v_cndmask_b32_e64 v98, 0, 1, vcc
.LBB27_387:
	s_or_b64 exec, exec, s[6:7]
	v_or_b32_e32 v1, 0x3000, v0
	v_cmp_gt_u32_e32 vcc, s8, v1
	s_and_saveexec_b64 s[6:7], vcc
	s_cbranch_execz .LBB27_389
; %bb.388:
	global_load_ubyte v1, v1, s[4:5]
	s_mov_b32 s9, 0
	v_mov_b32_e32 v97, s9
	s_waitcnt vmcnt(0)
	v_cmp_ne_u16_e32 vcc, 0, v1
	s_nop 1
	v_cndmask_b32_e64 v96, 0, 1, vcc
.LBB27_389:
	s_or_b64 exec, exec, s[6:7]
	v_or_b32_e32 v1, 0x3100, v0
	v_cmp_gt_u32_e32 vcc, s8, v1
	v_mov_b64_e32 v[100:101], 0
	v_mov_b64_e32 v[102:103], 0
	s_and_saveexec_b64 s[6:7], vcc
	s_cbranch_execz .LBB27_391
; %bb.390:
	global_load_ubyte v1, v1, s[4:5]
	s_mov_b32 s9, 0
	v_mov_b32_e32 v103, s9
	s_waitcnt vmcnt(0)
	v_cmp_ne_u16_e32 vcc, 0, v1
	s_nop 1
	v_cndmask_b32_e64 v102, 0, 1, vcc
.LBB27_391:
	s_or_b64 exec, exec, s[6:7]
	v_or_b32_e32 v1, 0x3200, v0
	v_cmp_gt_u32_e32 vcc, s8, v1
	s_and_saveexec_b64 s[6:7], vcc
	s_cbranch_execz .LBB27_393
; %bb.392:
	global_load_ubyte v1, v1, s[4:5]
	s_mov_b32 s9, 0
	v_mov_b32_e32 v101, s9
	s_waitcnt vmcnt(0)
	v_cmp_ne_u16_e32 vcc, 0, v1
	s_nop 1
	v_cndmask_b32_e64 v100, 0, 1, vcc
.LBB27_393:
	s_or_b64 exec, exec, s[6:7]
	v_or_b32_e32 v1, 0x3300, v0
	v_cmp_gt_u32_e32 vcc, s8, v1
	v_mov_b64_e32 v[104:105], 0
	v_mov_b64_e32 v[106:107], 0
	s_and_saveexec_b64 s[6:7], vcc
	s_cbranch_execz .LBB27_395
; %bb.394:
	global_load_ubyte v1, v1, s[4:5]
	s_mov_b32 s9, 0
	v_mov_b32_e32 v107, s9
	s_waitcnt vmcnt(0)
	v_cmp_ne_u16_e32 vcc, 0, v1
	s_nop 1
	v_cndmask_b32_e64 v106, 0, 1, vcc
.LBB27_395:
	s_or_b64 exec, exec, s[6:7]
	v_or_b32_e32 v1, 0x3400, v0
	v_cmp_gt_u32_e32 vcc, s8, v1
	s_and_saveexec_b64 s[6:7], vcc
	s_cbranch_execz .LBB27_397
; %bb.396:
	global_load_ubyte v1, v1, s[4:5]
	s_mov_b32 s9, 0
	v_mov_b32_e32 v105, s9
	s_waitcnt vmcnt(0)
	v_cmp_ne_u16_e32 vcc, 0, v1
	s_nop 1
	v_cndmask_b32_e64 v104, 0, 1, vcc
.LBB27_397:
	s_or_b64 exec, exec, s[6:7]
	v_or_b32_e32 v1, 0x3500, v0
	v_cmp_gt_u32_e32 vcc, s8, v1
	v_mov_b64_e32 v[108:109], 0
	v_mov_b64_e32 v[110:111], 0
	s_and_saveexec_b64 s[6:7], vcc
	s_cbranch_execz .LBB27_399
; %bb.398:
	global_load_ubyte v1, v1, s[4:5]
	s_mov_b32 s9, 0
	v_mov_b32_e32 v111, s9
	s_waitcnt vmcnt(0)
	v_cmp_ne_u16_e32 vcc, 0, v1
	s_nop 1
	v_cndmask_b32_e64 v110, 0, 1, vcc
.LBB27_399:
	s_or_b64 exec, exec, s[6:7]
	v_or_b32_e32 v1, 0x3600, v0
	v_cmp_gt_u32_e32 vcc, s8, v1
	s_and_saveexec_b64 s[6:7], vcc
	s_cbranch_execz .LBB27_401
; %bb.400:
	global_load_ubyte v1, v1, s[4:5]
	s_mov_b32 s9, 0
	v_mov_b32_e32 v109, s9
	s_waitcnt vmcnt(0)
	v_cmp_ne_u16_e32 vcc, 0, v1
	s_nop 1
	v_cndmask_b32_e64 v108, 0, 1, vcc
.LBB27_401:
	s_or_b64 exec, exec, s[6:7]
	v_or_b32_e32 v1, 0x3700, v0
	v_cmp_gt_u32_e32 vcc, s8, v1
	v_mov_b64_e32 v[112:113], 0
	v_mov_b64_e32 v[114:115], 0
	s_and_saveexec_b64 s[6:7], vcc
	s_cbranch_execz .LBB27_403
; %bb.402:
	global_load_ubyte v1, v1, s[4:5]
	s_mov_b32 s9, 0
	v_mov_b32_e32 v115, s9
	s_waitcnt vmcnt(0)
	v_cmp_ne_u16_e32 vcc, 0, v1
	s_nop 1
	v_cndmask_b32_e64 v114, 0, 1, vcc
.LBB27_403:
	s_or_b64 exec, exec, s[6:7]
	v_or_b32_e32 v1, 0x3800, v0
	v_cmp_gt_u32_e32 vcc, s8, v1
	s_and_saveexec_b64 s[6:7], vcc
	s_cbranch_execz .LBB27_405
; %bb.404:
	global_load_ubyte v1, v1, s[4:5]
	s_mov_b32 s9, 0
	v_mov_b32_e32 v113, s9
	s_waitcnt vmcnt(0)
	v_cmp_ne_u16_e32 vcc, 0, v1
	s_nop 1
	v_cndmask_b32_e64 v112, 0, 1, vcc
.LBB27_405:
	s_or_b64 exec, exec, s[6:7]
	v_or_b32_e32 v1, 0x3900, v0
	v_cmp_gt_u32_e32 vcc, s8, v1
	v_mov_b64_e32 v[116:117], 0
	v_mov_b64_e32 v[118:119], 0
	s_and_saveexec_b64 s[6:7], vcc
	s_cbranch_execz .LBB27_407
; %bb.406:
	global_load_ubyte v1, v1, s[4:5]
	s_mov_b32 s9, 0
	v_mov_b32_e32 v119, s9
	s_waitcnt vmcnt(0)
	v_cmp_ne_u16_e32 vcc, 0, v1
	s_nop 1
	v_cndmask_b32_e64 v118, 0, 1, vcc
.LBB27_407:
	s_or_b64 exec, exec, s[6:7]
	v_or_b32_e32 v1, 0x3a00, v0
	v_cmp_gt_u32_e32 vcc, s8, v1
	s_and_saveexec_b64 s[6:7], vcc
	s_cbranch_execz .LBB27_409
; %bb.408:
	global_load_ubyte v1, v1, s[4:5]
	s_mov_b32 s9, 0
	v_mov_b32_e32 v117, s9
	s_waitcnt vmcnt(0)
	v_cmp_ne_u16_e32 vcc, 0, v1
	s_nop 1
	v_cndmask_b32_e64 v116, 0, 1, vcc
.LBB27_409:
	s_or_b64 exec, exec, s[6:7]
	v_or_b32_e32 v1, 0x3b00, v0
	v_cmp_gt_u32_e32 vcc, s8, v1
	v_mov_b64_e32 v[120:121], 0
	v_mov_b64_e32 v[122:123], 0
	s_and_saveexec_b64 s[6:7], vcc
	s_cbranch_execz .LBB27_411
; %bb.410:
	global_load_ubyte v1, v1, s[4:5]
	s_mov_b32 s9, 0
	v_mov_b32_e32 v123, s9
	s_waitcnt vmcnt(0)
	v_cmp_ne_u16_e32 vcc, 0, v1
	s_nop 1
	v_cndmask_b32_e64 v122, 0, 1, vcc
.LBB27_411:
	s_or_b64 exec, exec, s[6:7]
	v_or_b32_e32 v1, 0x3c00, v0
	v_cmp_gt_u32_e32 vcc, s8, v1
	s_and_saveexec_b64 s[6:7], vcc
	s_cbranch_execz .LBB27_413
; %bb.412:
	global_load_ubyte v1, v1, s[4:5]
	s_mov_b32 s9, 0
	v_mov_b32_e32 v121, s9
	s_waitcnt vmcnt(0)
	v_cmp_ne_u16_e32 vcc, 0, v1
	s_nop 1
	v_cndmask_b32_e64 v120, 0, 1, vcc
.LBB27_413:
	s_or_b64 exec, exec, s[6:7]
	v_or_b32_e32 v1, 0x3d00, v0
	v_cmp_gt_u32_e32 vcc, s8, v1
	v_mov_b64_e32 v[124:125], 0
	v_mov_b64_e32 v[126:127], 0
	s_and_saveexec_b64 s[6:7], vcc
	s_cbranch_execz .LBB27_415
; %bb.414:
	global_load_ubyte v1, v1, s[4:5]
	s_mov_b32 s9, 0
	v_mov_b32_e32 v127, s9
	s_waitcnt vmcnt(0)
	v_cmp_ne_u16_e32 vcc, 0, v1
	s_nop 1
	v_cndmask_b32_e64 v126, 0, 1, vcc
.LBB27_415:
	s_or_b64 exec, exec, s[6:7]
	v_or_b32_e32 v1, 0x3e00, v0
	v_cmp_gt_u32_e32 vcc, s8, v1
	s_and_saveexec_b64 s[6:7], vcc
	s_cbranch_execz .LBB27_417
; %bb.416:
	global_load_ubyte v1, v1, s[4:5]
	s_mov_b32 s9, 0
	v_mov_b32_e32 v125, s9
	s_waitcnt vmcnt(0)
	v_cmp_ne_u16_e32 vcc, 0, v1
	s_nop 1
	v_cndmask_b32_e64 v124, 0, 1, vcc
.LBB27_417:
	s_or_b64 exec, exec, s[6:7]
	v_or_b32_e32 v1, 0x3f00, v0
	v_cmp_gt_u32_e32 vcc, s8, v1
	v_mov_b64_e32 v[128:129], 0
	s_and_saveexec_b64 s[6:7], vcc
	s_cbranch_execz .LBB27_419
; %bb.418:
	global_load_ubyte v1, v1, s[4:5]
	s_mov_b32 s4, 0
	v_mov_b32_e32 v129, s4
	s_waitcnt vmcnt(0)
	v_cmp_ne_u16_e32 vcc, 0, v1
	s_nop 1
	v_cndmask_b32_e64 v128, 0, 1, vcc
.LBB27_419:
	s_or_b64 exec, exec, s[6:7]
	v_lshl_add_u64 v[2:3], v[6:7], 0, v[2:3]
	v_lshl_add_u64 v[2:3], v[2:3], 0, v[4:5]
	;; [unrolled: 1-line block ×58, first 2 shown]
	v_mbcnt_lo_u32_b32 v1, -1, 0
	v_lshl_add_u64 v[2:3], v[2:3], 0, v[122:123]
	v_mbcnt_hi_u32_b32 v1, -1, v1
	v_lshl_add_u64 v[2:3], v[2:3], 0, v[120:121]
	v_and_b32_e32 v9, 63, v1
	v_lshl_add_u64 v[2:3], v[2:3], 0, v[126:127]
	s_min_u32 s8, s8, 0x100
	v_and_b32_e32 v4, 0xc0, v0
	v_cmp_ne_u32_e32 vcc, 63, v9
	v_lshl_add_u64 v[2:3], v[2:3], 0, v[124:125]
	v_sub_u32_e64 v8, s8, v4 clamp
	v_addc_co_u32_e32 v4, vcc, 0, v1, vcc
	v_lshl_add_u64 v[2:3], v[2:3], 0, v[128:129]
	v_lshlrev_b32_e32 v5, 2, v4
	ds_bpermute_b32 v4, v5, v2
	ds_bpermute_b32 v7, v5, v3
	v_mov_b32_e32 v6, 0
	v_add_u32_e32 v10, 1, v9
	v_mov_b32_e32 v5, v6
	s_waitcnt lgkmcnt(1)
	v_lshl_add_u64 v[4:5], v[2:3], 0, v[4:5]
	v_cmp_lt_u32_e64 s[4:5], v10, v8
	v_cmp_gt_u32_e32 vcc, 62, v9
	s_waitcnt lgkmcnt(0)
	v_lshl_add_u64 v[6:7], v[6:7], 0, v[4:5]
	v_cndmask_b32_e64 v12, v2, v4, s[4:5]
	v_cndmask_b32_e64 v4, 0, 2, vcc
	v_cndmask_b32_e64 v5, v3, v7, s[4:5]
	v_add_lshl_u32 v4, v4, v1, 2
	ds_bpermute_b32 v10, v4, v12
	ds_bpermute_b32 v11, v4, v5
	v_cndmask_b32_e64 v4, v2, v6, s[4:5]
	v_add_u32_e32 v13, 2, v9
	v_cmp_lt_u32_e32 vcc, v13, v8
	v_cmp_gt_u32_e64 s[6:7], 60, v9
	s_waitcnt lgkmcnt(0)
	v_lshl_add_u64 v[6:7], v[10:11], 0, v[4:5]
	v_cndmask_b32_e32 v5, v5, v7, vcc
	v_cndmask_b32_e64 v7, 0, 4, s[6:7]
	v_cndmask_b32_e32 v12, v12, v6, vcc
	v_add_lshl_u32 v7, v7, v1, 2
	ds_bpermute_b32 v10, v7, v12
	ds_bpermute_b32 v11, v7, v5
	v_cndmask_b32_e32 v4, v4, v6, vcc
	v_add_u32_e32 v13, 4, v9
	v_cmp_lt_u32_e32 vcc, v13, v8
	v_cmp_gt_u32_e64 s[6:7], 56, v9
	s_waitcnt lgkmcnt(0)
	v_lshl_add_u64 v[6:7], v[10:11], 0, v[4:5]
	v_cndmask_b32_e32 v5, v5, v7, vcc
	v_cndmask_b32_e64 v7, 0, 8, s[6:7]
	v_cndmask_b32_e32 v12, v12, v6, vcc
	v_add_lshl_u32 v7, v7, v1, 2
	ds_bpermute_b32 v10, v7, v12
	ds_bpermute_b32 v11, v7, v5
	v_cndmask_b32_e32 v4, v4, v6, vcc
	;; [unrolled: 12-line block ×3, first 2 shown]
	v_add_u32_e32 v13, 16, v9
	v_cmp_lt_u32_e32 vcc, v13, v8
	s_waitcnt lgkmcnt(0)
	v_lshl_add_u64 v[6:7], v[10:11], 0, v[4:5]
	v_lshlrev_b32_e32 v10, 2, v1
	v_cndmask_b32_e32 v13, v5, v7, vcc
	v_cndmask_b32_e32 v11, v12, v6, vcc
	v_or_b32_e32 v12, 0x80, v10
	ds_bpermute_b32 v11, v12, v11
	ds_bpermute_b32 v12, v12, v13
	s_and_saveexec_b64 s[6:7], s[4:5]
	s_cbranch_execz .LBB27_421
; %bb.420:
	v_add_u32_e32 v9, 32, v9
	v_cndmask_b32_e32 v3, v5, v7, vcc
	v_cndmask_b32_e32 v2, v4, v6, vcc
	v_cmp_lt_u32_e32 vcc, v9, v8
	s_waitcnt lgkmcnt(0)
	s_nop 0
	v_cndmask_b32_e32 v5, 0, v12, vcc
	v_cndmask_b32_e32 v4, 0, v11, vcc
	v_lshl_add_u64 v[2:3], v[4:5], 0, v[2:3]
.LBB27_421:
	s_or_b64 exec, exec, s[6:7]
	v_cmp_eq_u32_e32 vcc, 0, v1
	s_and_saveexec_b64 s[4:5], vcc
; %bb.422:
	v_lshrrev_b32_e32 v4, 3, v0
	v_and_b32_e32 v4, 24, v4
	ds_write_b64 v4, v[2:3] offset:256
; %bb.423:
	s_or_b64 exec, exec, s[4:5]
	v_cmp_gt_u32_e32 vcc, 4, v0
	s_waitcnt lgkmcnt(0)
	s_barrier
	s_and_saveexec_b64 s[4:5], vcc
	s_cbranch_execz .LBB27_427
; %bb.424:
	v_lshlrev_b32_e32 v2, 3, v1
	ds_read_b64 v[2:3], v2 offset:256
	v_and_b32_e32 v6, 3, v1
	v_cmp_ne_u32_e32 vcc, 3, v6
	v_mov_b32_e32 v8, 0
	s_add_i32 s8, s8, 63
	v_addc_co_u32_e32 v1, vcc, 0, v1, vcc
	v_lshlrev_b32_e32 v1, 2, v1
	s_waitcnt lgkmcnt(0)
	ds_bpermute_b32 v4, v1, v2
	ds_bpermute_b32 v9, v1, v3
	v_mov_b32_e32 v5, v8
	s_lshr_b32 s8, s8, 6
	v_add_u32_e32 v1, 1, v6
	s_waitcnt lgkmcnt(1)
	v_lshl_add_u64 v[12:13], v[2:3], 0, v[4:5]
	s_waitcnt lgkmcnt(0)
	v_lshl_add_u64 v[4:5], v[8:9], 0, v[12:13]
	v_cmp_gt_u32_e32 vcc, s8, v1
	v_or_b32_e32 v8, 8, v10
	s_nop 0
	v_cndmask_b32_e32 v7, v3, v5, vcc
	v_cndmask_b32_e32 v1, v2, v12, vcc
	ds_bpermute_b32 v1, v8, v1
	ds_bpermute_b32 v7, v8, v7
	s_and_saveexec_b64 s[6:7], vcc
	s_cbranch_execz .LBB27_426
; %bb.425:
	v_add_u32_e32 v2, 2, v6
	v_cmp_gt_u32_e32 vcc, s8, v2
	s_waitcnt lgkmcnt(0)
	s_nop 0
	v_cndmask_b32_e32 v3, 0, v7, vcc
	v_cndmask_b32_e32 v2, 0, v1, vcc
	v_lshl_add_u64 v[2:3], v[2:3], 0, v[4:5]
.LBB27_426:
	s_or_b64 exec, exec, s[6:7]
.LBB27_427:
	s_or_b64 exec, exec, s[4:5]
.LBB27_428:
	v_cmp_eq_u32_e64 s[4:5], 0, v0
	v_mov_b64_e32 v[4:5], s[2:3]
.LBB27_429:
	s_branch .LBB27_567
.LBB27_430:
	s_cmp_gt_i32 s33, 31
	s_cbranch_scc0 .LBB27_438
; %bb.431:
	s_cmp_eq_u32 s33, 32
                                        ; implicit-def: $vgpr2_vgpr3
                                        ; implicit-def: $vgpr4_vgpr5
	s_cbranch_scc0 .LBB27_439
; %bb.432:
	s_lshl_b32 s8, s2, 13
	s_lshr_b64 s[6:7], s[36:37], 13
	s_add_u32 s4, s40, s8
	s_mov_b32 s3, 0
	s_addc_u32 s5, s41, 0
	s_cmp_lg_u64 s[6:7], s[2:3]
	s_cbranch_scc0 .LBB27_440
; %bb.433:
	global_load_ubyte v4, v0, s[4:5] offset:768
	global_load_ubyte v6, v0, s[4:5] offset:1024
	;; [unrolled: 1-line block ×13, first 2 shown]
	s_waitcnt lgkmcnt(1)
	v_mov_b32_e32 v1, 0
	s_movk_i32 s6, 0x1000
	v_lshl_add_u64 v[2:3], s[4:5], 0, v[0:1]
	v_add_co_u32_e32 v2, vcc, s6, v2
	v_mov_b32_e32 v5, s3
	s_nop 0
	v_addc_co_u32_e32 v3, vcc, 0, v3, vcc
	global_load_ubyte v30, v[2:3], off
	global_load_ubyte v32, v[2:3], off offset:256
	global_load_ubyte v33, v[2:3], off offset:512
	;; [unrolled: 1-line block ×12, first 2 shown]
	global_load_ubyte v60, v0, s[4:5]
	global_load_ubyte v61, v0, s[4:5] offset:256
	global_load_ubyte v62, v0, s[4:5] offset:512
	global_load_ubyte v54, v[2:3], off offset:3328
	global_load_ubyte v56, v[2:3], off offset:3584
	;; [unrolled: 1-line block ×3, first 2 shown]
	s_waitcnt lgkmcnt(0)
	v_mov_b32_e32 v7, s3
	v_mov_b32_e32 v9, s3
	;; [unrolled: 1-line block ×27, first 2 shown]
	s_waitcnt vmcnt(31)
	v_cmp_ne_u16_e32 vcc, 0, v4
	s_nop 1
	v_cndmask_b32_e64 v4, 0, 1, vcc
	s_waitcnt vmcnt(30)
	v_cmp_ne_u16_e32 vcc, 0, v6
	s_nop 1
	v_cndmask_b32_e64 v6, 0, 1, vcc
	;; [unrolled: 4-line block ×15, first 2 shown]
	s_waitcnt vmcnt(16)
	v_cmp_ne_u16_e32 vcc, 0, v33
	v_mov_b32_e32 v33, s3
	s_nop 0
	v_cndmask_b32_e64 v32, 0, 1, vcc
	s_waitcnt vmcnt(15)
	v_cmp_ne_u16_e32 vcc, 0, v34
	s_nop 1
	v_cndmask_b32_e64 v34, 0, 1, vcc
	s_waitcnt vmcnt(14)
	v_cmp_ne_u16_e32 vcc, 0, v36
	;; [unrolled: 4-line block ×13, first 2 shown]
	s_nop 1
	v_cndmask_b32_e64 v58, 0, 1, vcc
	v_cmp_ne_u16_e32 vcc, 0, v61
	s_nop 1
	v_cndmask_b32_e64 v61, 0, 1, vcc
	v_cmp_ne_u16_e32 vcc, 0, v60
	;; [unrolled: 3-line block ×3, first 2 shown]
	s_nop 1
	v_addc_co_u32_e32 v60, vcc, v61, v60, vcc
	v_mov_b32_e32 v61, v1
	v_lshl_add_u64 v[4:5], v[60:61], 0, v[4:5]
	v_lshl_add_u64 v[4:5], v[4:5], 0, v[6:7]
	;; [unrolled: 1-line block ×29, first 2 shown]
	v_mov_b32_e32 v7, v1
	v_mov_b32_dpp v9, v1 quad_perm:[1,0,3,2] row_mask:0xf bank_mask:0xf bound_ctrl:1
	v_mov_b32_dpp v6, v2 quad_perm:[1,0,3,2] row_mask:0xf bank_mask:0xf bound_ctrl:1
	v_mov_b32_e32 v8, v1
	v_lshl_add_u64 v[2:3], v[2:3], 0, v[6:7]
	v_lshl_add_u64 v[6:7], v[8:9], 0, v[2:3]
	v_mov_b32_e32 v3, v1
	v_mov_b32_dpp v2, v2 quad_perm:[2,3,0,1] row_mask:0xf bank_mask:0xf bound_ctrl:1
	v_mov_b32_dpp v9, v7 quad_perm:[2,3,0,1] row_mask:0xf bank_mask:0xf bound_ctrl:1
	v_lshl_add_u64 v[2:3], v[6:7], 0, v[2:3]
	v_lshl_add_u64 v[6:7], v[2:3], 0, v[8:9]
	v_mov_b32_e32 v3, v1
	v_mov_b32_dpp v2, v2 row_ror:4 row_mask:0xf bank_mask:0xf bound_ctrl:1
	v_mov_b32_dpp v9, v7 row_ror:4 row_mask:0xf bank_mask:0xf bound_ctrl:1
	v_lshl_add_u64 v[2:3], v[6:7], 0, v[2:3]
	v_lshl_add_u64 v[6:7], v[2:3], 0, v[8:9]
	v_mov_b32_e32 v3, v1
	v_mov_b32_dpp v2, v2 row_ror:8 row_mask:0xf bank_mask:0xf bound_ctrl:1
	v_mov_b32_dpp v9, v7 row_ror:8 row_mask:0xf bank_mask:0xf bound_ctrl:1
	v_lshl_add_u64 v[2:3], v[6:7], 0, v[2:3]
	v_lshl_add_u64 v[6:7], v[2:3], 0, v[8:9]
	v_mov_b32_e32 v3, v1
	v_mov_b32_dpp v2, v2 row_bcast:15 row_mask:0xf bank_mask:0xf bound_ctrl:1
	v_mbcnt_lo_u32_b32 v4, -1, 0
	v_mov_b32_dpp v9, v7 row_bcast:15 row_mask:0xf bank_mask:0xf bound_ctrl:1
	v_lshl_add_u64 v[2:3], v[6:7], 0, v[2:3]
	v_mbcnt_hi_u32_b32 v4, -1, v4
	v_lshl_add_u64 v[6:7], v[2:3], 0, v[8:9]
	v_mov_b32_dpp v2, v2 row_bcast:31 row_mask:0xf bank_mask:0xf bound_ctrl:1
	v_mov_b32_e32 v3, v1
	v_lshl_add_u64 v[2:3], v[6:7], 0, v[2:3]
	v_lshlrev_b32_e32 v1, 2, v4
	v_or_b32_e32 v5, 0xfc, v1
	v_add_u32_dpp v3, v7, v3 row_bcast:31 row_mask:0xf bank_mask:0xf bound_ctrl:1
	ds_bpermute_b32 v2, v5, v2
	ds_bpermute_b32 v3, v5, v3
	v_cmp_eq_u32_e32 vcc, 0, v4
	s_and_saveexec_b64 s[6:7], vcc
	s_cbranch_execz .LBB27_435
; %bb.434:
	v_lshrrev_b32_e32 v5, 3, v0
	v_and_b32_e32 v5, 24, v5
	s_waitcnt lgkmcnt(0)
	ds_write_b64 v5, v[2:3] offset:128
.LBB27_435:
	s_or_b64 exec, exec, s[6:7]
	v_cmp_gt_u32_e32 vcc, 64, v0
	s_waitcnt lgkmcnt(0)
	s_barrier
	s_and_saveexec_b64 s[6:7], vcc
	s_cbranch_execz .LBB27_437
; %bb.436:
	v_and_b32_e32 v5, 3, v4
	v_lshlrev_b32_e32 v2, 3, v5
	ds_read_b64 v[2:3], v2 offset:128
	v_cmp_ne_u32_e32 vcc, 3, v5
	v_mov_b32_e32 v6, 0
	v_or_b32_e32 v1, 8, v1
	v_addc_co_u32_e32 v4, vcc, 0, v4, vcc
	v_lshlrev_b32_e32 v5, 2, v4
	s_waitcnt lgkmcnt(0)
	ds_bpermute_b32 v4, v5, v2
	ds_bpermute_b32 v7, v5, v3
	v_mov_b32_e32 v5, v6
	s_waitcnt lgkmcnt(1)
	v_lshl_add_u64 v[2:3], v[2:3], 0, v[4:5]
	s_waitcnt lgkmcnt(0)
	v_lshl_add_u64 v[4:5], v[6:7], 0, v[2:3]
	ds_bpermute_b32 v2, v1, v2
	ds_bpermute_b32 v7, v1, v5
	v_mov_b32_e32 v3, v6
	s_waitcnt lgkmcnt(1)
	v_lshl_add_u64 v[2:3], v[4:5], 0, v[2:3]
	s_waitcnt lgkmcnt(0)
	v_lshl_add_u64 v[2:3], v[2:3], 0, v[6:7]
.LBB27_437:
	s_or_b64 exec, exec, s[6:7]
	s_mov_b64 s[6:7], 0
	s_branch .LBB27_441
.LBB27_438:
                                        ; implicit-def: $vgpr2_vgpr3
                                        ; implicit-def: $vgpr4_vgpr5
	s_cbranch_execnz .LBB27_516
	s_branch .LBB27_567
.LBB27_439:
	s_branch .LBB27_567
.LBB27_440:
	s_mov_b64 s[6:7], -1
                                        ; implicit-def: $vgpr2_vgpr3
.LBB27_441:
	s_and_b64 vcc, exec, s[6:7]
	s_cbranch_vccz .LBB27_515
; %bb.442:
	s_sub_i32 s8, s36, s8
	v_cmp_gt_u32_e32 vcc, s8, v0
                                        ; implicit-def: $vgpr2_vgpr3
	s_and_saveexec_b64 s[6:7], vcc
	s_cbranch_execz .LBB27_444
; %bb.443:
	s_waitcnt lgkmcnt(1)
	global_load_ubyte v1, v0, s[4:5]
	s_mov_b32 s9, 0
	v_mov_b32_e32 v3, s9
	s_waitcnt vmcnt(0)
	v_cmp_ne_u16_e32 vcc, 0, v1
	s_nop 1
	v_cndmask_b32_e64 v2, 0, 1, vcc
.LBB27_444:
	s_or_b64 exec, exec, s[6:7]
	s_waitcnt lgkmcnt(1)
	v_or_b32_e32 v1, 0x100, v0
	v_cmp_gt_u32_e32 vcc, s8, v1
	v_mov_b64_e32 v[4:5], 0
	s_waitcnt lgkmcnt(0)
	v_mov_b64_e32 v[6:7], 0
	s_and_saveexec_b64 s[6:7], vcc
	s_cbranch_execz .LBB27_446
; %bb.445:
	global_load_ubyte v1, v0, s[4:5] offset:256
	s_mov_b32 s9, 0
	v_mov_b32_e32 v7, s9
	s_waitcnt vmcnt(0)
	v_cmp_ne_u16_e32 vcc, 0, v1
	s_nop 1
	v_cndmask_b32_e64 v6, 0, 1, vcc
.LBB27_446:
	s_or_b64 exec, exec, s[6:7]
	v_or_b32_e32 v1, 0x200, v0
	v_cmp_gt_u32_e32 vcc, s8, v1
	s_and_saveexec_b64 s[6:7], vcc
	s_cbranch_execz .LBB27_448
; %bb.447:
	global_load_ubyte v1, v0, s[4:5] offset:512
	s_mov_b32 s9, 0
	v_mov_b32_e32 v5, s9
	s_waitcnt vmcnt(0)
	v_cmp_ne_u16_e32 vcc, 0, v1
	s_nop 1
	v_cndmask_b32_e64 v4, 0, 1, vcc
.LBB27_448:
	s_or_b64 exec, exec, s[6:7]
	v_or_b32_e32 v1, 0x300, v0
	v_cmp_gt_u32_e32 vcc, s8, v1
	v_mov_b64_e32 v[8:9], 0
	v_mov_b64_e32 v[10:11], 0
	s_and_saveexec_b64 s[6:7], vcc
	s_cbranch_execz .LBB27_450
; %bb.449:
	global_load_ubyte v1, v0, s[4:5] offset:768
	s_mov_b32 s9, 0
	v_mov_b32_e32 v11, s9
	s_waitcnt vmcnt(0)
	v_cmp_ne_u16_e32 vcc, 0, v1
	s_nop 1
	v_cndmask_b32_e64 v10, 0, 1, vcc
.LBB27_450:
	s_or_b64 exec, exec, s[6:7]
	v_or_b32_e32 v1, 0x400, v0
	v_cmp_gt_u32_e32 vcc, s8, v1
	s_and_saveexec_b64 s[6:7], vcc
	s_cbranch_execz .LBB27_452
; %bb.451:
	global_load_ubyte v1, v0, s[4:5] offset:1024
	s_mov_b32 s9, 0
	v_mov_b32_e32 v9, s9
	s_waitcnt vmcnt(0)
	v_cmp_ne_u16_e32 vcc, 0, v1
	s_nop 1
	v_cndmask_b32_e64 v8, 0, 1, vcc
.LBB27_452:
	s_or_b64 exec, exec, s[6:7]
	v_or_b32_e32 v1, 0x500, v0
	v_cmp_gt_u32_e32 vcc, s8, v1
	v_mov_b64_e32 v[12:13], 0
	;; [unrolled: 30-line block ×7, first 2 shown]
	v_mov_b64_e32 v[34:35], 0
	s_and_saveexec_b64 s[6:7], vcc
	s_cbranch_execz .LBB27_474
; %bb.473:
	global_load_ubyte v1, v0, s[4:5] offset:3840
	s_mov_b32 s9, 0
	v_mov_b32_e32 v35, s9
	s_waitcnt vmcnt(0)
	v_cmp_ne_u16_e32 vcc, 0, v1
	s_nop 1
	v_cndmask_b32_e64 v34, 0, 1, vcc
.LBB27_474:
	s_or_b64 exec, exec, s[6:7]
	v_or_b32_e32 v1, 0x1000, v0
	v_cmp_gt_u32_e32 vcc, s8, v1
	s_and_saveexec_b64 s[6:7], vcc
	s_cbranch_execz .LBB27_476
; %bb.475:
	global_load_ubyte v1, v1, s[4:5]
	s_mov_b32 s9, 0
	v_mov_b32_e32 v33, s9
	s_waitcnt vmcnt(0)
	v_cmp_ne_u16_e32 vcc, 0, v1
	s_nop 1
	v_cndmask_b32_e64 v32, 0, 1, vcc
.LBB27_476:
	s_or_b64 exec, exec, s[6:7]
	v_or_b32_e32 v1, 0x1100, v0
	v_cmp_gt_u32_e32 vcc, s8, v1
	v_mov_b64_e32 v[36:37], 0
	v_mov_b64_e32 v[38:39], 0
	s_and_saveexec_b64 s[6:7], vcc
	s_cbranch_execz .LBB27_478
; %bb.477:
	global_load_ubyte v1, v1, s[4:5]
	s_mov_b32 s9, 0
	v_mov_b32_e32 v39, s9
	s_waitcnt vmcnt(0)
	v_cmp_ne_u16_e32 vcc, 0, v1
	s_nop 1
	v_cndmask_b32_e64 v38, 0, 1, vcc
.LBB27_478:
	s_or_b64 exec, exec, s[6:7]
	v_or_b32_e32 v1, 0x1200, v0
	v_cmp_gt_u32_e32 vcc, s8, v1
	s_and_saveexec_b64 s[6:7], vcc
	s_cbranch_execz .LBB27_480
; %bb.479:
	global_load_ubyte v1, v1, s[4:5]
	s_mov_b32 s9, 0
	v_mov_b32_e32 v37, s9
	s_waitcnt vmcnt(0)
	v_cmp_ne_u16_e32 vcc, 0, v1
	s_nop 1
	v_cndmask_b32_e64 v36, 0, 1, vcc
.LBB27_480:
	s_or_b64 exec, exec, s[6:7]
	v_or_b32_e32 v1, 0x1300, v0
	v_cmp_gt_u32_e32 vcc, s8, v1
	v_mov_b64_e32 v[40:41], 0
	v_mov_b64_e32 v[42:43], 0
	s_and_saveexec_b64 s[6:7], vcc
	s_cbranch_execz .LBB27_482
; %bb.481:
	global_load_ubyte v1, v1, s[4:5]
	s_mov_b32 s9, 0
	v_mov_b32_e32 v43, s9
	s_waitcnt vmcnt(0)
	v_cmp_ne_u16_e32 vcc, 0, v1
	s_nop 1
	v_cndmask_b32_e64 v42, 0, 1, vcc
.LBB27_482:
	;; [unrolled: 30-line block ×7, first 2 shown]
	s_or_b64 exec, exec, s[6:7]
	v_or_b32_e32 v1, 0x1e00, v0
	v_cmp_gt_u32_e32 vcc, s8, v1
	s_and_saveexec_b64 s[6:7], vcc
	s_cbranch_execz .LBB27_504
; %bb.503:
	global_load_ubyte v1, v1, s[4:5]
	s_mov_b32 s9, 0
	v_mov_b32_e32 v61, s9
	s_waitcnt vmcnt(0)
	v_cmp_ne_u16_e32 vcc, 0, v1
	s_nop 1
	v_cndmask_b32_e64 v60, 0, 1, vcc
.LBB27_504:
	s_or_b64 exec, exec, s[6:7]
	v_or_b32_e32 v1, 0x1f00, v0
	v_cmp_gt_u32_e32 vcc, s8, v1
	v_mov_b64_e32 v[64:65], 0
	s_and_saveexec_b64 s[6:7], vcc
	s_cbranch_execz .LBB27_506
; %bb.505:
	global_load_ubyte v1, v1, s[4:5]
	s_mov_b32 s4, 0
	v_mov_b32_e32 v65, s4
	s_waitcnt vmcnt(0)
	v_cmp_ne_u16_e32 vcc, 0, v1
	s_nop 1
	v_cndmask_b32_e64 v64, 0, 1, vcc
.LBB27_506:
	s_or_b64 exec, exec, s[6:7]
	v_lshl_add_u64 v[2:3], v[6:7], 0, v[2:3]
	v_lshl_add_u64 v[2:3], v[2:3], 0, v[4:5]
	;; [unrolled: 1-line block ×26, first 2 shown]
	v_mbcnt_lo_u32_b32 v1, -1, 0
	v_lshl_add_u64 v[2:3], v[2:3], 0, v[58:59]
	v_mbcnt_hi_u32_b32 v1, -1, v1
	v_lshl_add_u64 v[2:3], v[2:3], 0, v[56:57]
	v_and_b32_e32 v9, 63, v1
	v_lshl_add_u64 v[2:3], v[2:3], 0, v[62:63]
	s_min_u32 s8, s8, 0x100
	v_and_b32_e32 v4, 0xc0, v0
	v_cmp_ne_u32_e32 vcc, 63, v9
	v_lshl_add_u64 v[2:3], v[2:3], 0, v[60:61]
	v_sub_u32_e64 v8, s8, v4 clamp
	v_addc_co_u32_e32 v4, vcc, 0, v1, vcc
	v_lshl_add_u64 v[2:3], v[2:3], 0, v[64:65]
	v_lshlrev_b32_e32 v5, 2, v4
	ds_bpermute_b32 v4, v5, v2
	ds_bpermute_b32 v7, v5, v3
	v_mov_b32_e32 v6, 0
	v_add_u32_e32 v10, 1, v9
	v_mov_b32_e32 v5, v6
	s_waitcnt lgkmcnt(1)
	v_lshl_add_u64 v[4:5], v[2:3], 0, v[4:5]
	v_cmp_lt_u32_e64 s[4:5], v10, v8
	v_cmp_gt_u32_e32 vcc, 62, v9
	s_waitcnt lgkmcnt(0)
	v_lshl_add_u64 v[6:7], v[6:7], 0, v[4:5]
	v_cndmask_b32_e64 v12, v2, v4, s[4:5]
	v_cndmask_b32_e64 v4, 0, 2, vcc
	v_cndmask_b32_e64 v5, v3, v7, s[4:5]
	v_add_lshl_u32 v4, v4, v1, 2
	ds_bpermute_b32 v10, v4, v12
	ds_bpermute_b32 v11, v4, v5
	v_cndmask_b32_e64 v4, v2, v6, s[4:5]
	v_add_u32_e32 v13, 2, v9
	v_cmp_lt_u32_e32 vcc, v13, v8
	v_cmp_gt_u32_e64 s[6:7], 60, v9
	s_waitcnt lgkmcnt(0)
	v_lshl_add_u64 v[6:7], v[10:11], 0, v[4:5]
	v_cndmask_b32_e32 v5, v5, v7, vcc
	v_cndmask_b32_e64 v7, 0, 4, s[6:7]
	v_cndmask_b32_e32 v12, v12, v6, vcc
	v_add_lshl_u32 v7, v7, v1, 2
	ds_bpermute_b32 v10, v7, v12
	ds_bpermute_b32 v11, v7, v5
	v_cndmask_b32_e32 v4, v4, v6, vcc
	v_add_u32_e32 v13, 4, v9
	v_cmp_lt_u32_e32 vcc, v13, v8
	v_cmp_gt_u32_e64 s[6:7], 56, v9
	s_waitcnt lgkmcnt(0)
	v_lshl_add_u64 v[6:7], v[10:11], 0, v[4:5]
	v_cndmask_b32_e32 v5, v5, v7, vcc
	v_cndmask_b32_e64 v7, 0, 8, s[6:7]
	v_cndmask_b32_e32 v12, v12, v6, vcc
	v_add_lshl_u32 v7, v7, v1, 2
	ds_bpermute_b32 v10, v7, v12
	ds_bpermute_b32 v11, v7, v5
	v_cndmask_b32_e32 v4, v4, v6, vcc
	;; [unrolled: 12-line block ×3, first 2 shown]
	v_add_u32_e32 v13, 16, v9
	v_cmp_lt_u32_e32 vcc, v13, v8
	s_waitcnt lgkmcnt(0)
	v_lshl_add_u64 v[6:7], v[10:11], 0, v[4:5]
	v_lshlrev_b32_e32 v10, 2, v1
	v_cndmask_b32_e32 v13, v5, v7, vcc
	v_cndmask_b32_e32 v11, v12, v6, vcc
	v_or_b32_e32 v12, 0x80, v10
	ds_bpermute_b32 v11, v12, v11
	ds_bpermute_b32 v12, v12, v13
	s_and_saveexec_b64 s[6:7], s[4:5]
	s_cbranch_execz .LBB27_508
; %bb.507:
	v_add_u32_e32 v9, 32, v9
	v_cndmask_b32_e32 v3, v5, v7, vcc
	v_cndmask_b32_e32 v2, v4, v6, vcc
	v_cmp_lt_u32_e32 vcc, v9, v8
	s_waitcnt lgkmcnt(0)
	s_nop 0
	v_cndmask_b32_e32 v5, 0, v12, vcc
	v_cndmask_b32_e32 v4, 0, v11, vcc
	v_lshl_add_u64 v[2:3], v[4:5], 0, v[2:3]
.LBB27_508:
	s_or_b64 exec, exec, s[6:7]
	v_cmp_eq_u32_e32 vcc, 0, v1
	s_and_saveexec_b64 s[4:5], vcc
; %bb.509:
	v_lshrrev_b32_e32 v4, 3, v0
	v_and_b32_e32 v4, 24, v4
	ds_write_b64 v4, v[2:3] offset:256
; %bb.510:
	s_or_b64 exec, exec, s[4:5]
	v_cmp_gt_u32_e32 vcc, 4, v0
	s_waitcnt lgkmcnt(0)
	s_barrier
	s_and_saveexec_b64 s[4:5], vcc
	s_cbranch_execz .LBB27_514
; %bb.511:
	v_lshlrev_b32_e32 v2, 3, v1
	ds_read_b64 v[2:3], v2 offset:256
	v_and_b32_e32 v6, 3, v1
	v_cmp_ne_u32_e32 vcc, 3, v6
	v_mov_b32_e32 v8, 0
	s_add_i32 s8, s8, 63
	v_addc_co_u32_e32 v1, vcc, 0, v1, vcc
	v_lshlrev_b32_e32 v1, 2, v1
	s_waitcnt lgkmcnt(0)
	ds_bpermute_b32 v4, v1, v2
	ds_bpermute_b32 v9, v1, v3
	v_mov_b32_e32 v5, v8
	s_lshr_b32 s8, s8, 6
	v_add_u32_e32 v1, 1, v6
	s_waitcnt lgkmcnt(1)
	v_lshl_add_u64 v[12:13], v[2:3], 0, v[4:5]
	s_waitcnt lgkmcnt(0)
	v_lshl_add_u64 v[4:5], v[8:9], 0, v[12:13]
	v_cmp_gt_u32_e32 vcc, s8, v1
	v_or_b32_e32 v8, 8, v10
	s_nop 0
	v_cndmask_b32_e32 v7, v3, v5, vcc
	v_cndmask_b32_e32 v1, v2, v12, vcc
	ds_bpermute_b32 v1, v8, v1
	ds_bpermute_b32 v7, v8, v7
	s_and_saveexec_b64 s[6:7], vcc
	s_cbranch_execz .LBB27_513
; %bb.512:
	v_add_u32_e32 v2, 2, v6
	v_cmp_gt_u32_e32 vcc, s8, v2
	s_waitcnt lgkmcnt(0)
	s_nop 0
	v_cndmask_b32_e32 v3, 0, v7, vcc
	v_cndmask_b32_e32 v2, 0, v1, vcc
	v_lshl_add_u64 v[2:3], v[2:3], 0, v[4:5]
.LBB27_513:
	s_or_b64 exec, exec, s[6:7]
.LBB27_514:
	s_or_b64 exec, exec, s[4:5]
.LBB27_515:
	v_cmp_eq_u32_e64 s[4:5], 0, v0
	v_mov_b64_e32 v[4:5], s[2:3]
	s_branch .LBB27_567
.LBB27_516:
	s_cmp_eq_u32 s33, 16
                                        ; implicit-def: $vgpr2_vgpr3
                                        ; implicit-def: $vgpr4_vgpr5
	s_cbranch_scc0 .LBB27_567
; %bb.517:
	s_lshl_b32 s6, s2, 12
	s_lshr_b64 s[4:5], s[36:37], 12
	s_add_u32 s34, s40, s6
	s_mov_b32 s3, 0
	s_addc_u32 s35, s41, 0
	s_cmp_lg_u64 s[4:5], s[2:3]
	s_cbranch_scc0 .LBB27_523
; %bb.518:
	global_load_ubyte v2, v0, s[34:35] offset:768
	global_load_ubyte v5, v0, s[34:35] offset:1024
	;; [unrolled: 1-line block ×14, first 2 shown]
	global_load_ubyte v35, v0, s[34:35]
	global_load_ubyte v37, v0, s[34:35] offset:512
	v_mov_b32_e32 v3, s3
	v_mov_b32_e32 v31, 0
	s_waitcnt lgkmcnt(0)
	v_mov_b32_e32 v7, s3
	v_mov_b32_e32 v9, s3
	v_mov_b32_e32 v11, s3
	v_mov_b32_e32 v13, s3
	v_mov_b32_e32 v15, s3
	v_mov_b32_e32 v17, s3
	v_mov_b32_e32 v19, s3
	v_mov_b32_e32 v21, s3
	v_mov_b32_e32 v23, s3
	v_mov_b32_e32 v25, s3
	v_mov_b32_e32 v27, s3
	v_mov_b32_e32 v29, s3
	v_mov_b32_dpp v33, v31 quad_perm:[1,0,3,2] row_mask:0xf bank_mask:0xf bound_ctrl:1
	v_mov_b32_e32 v32, v31
	v_mov_b32_e32 v34, v31
	;; [unrolled: 1-line block ×4, first 2 shown]
	v_mbcnt_lo_u32_b32 v1, -1, 0
	v_mov_b32_e32 v40, v31
	v_mbcnt_hi_u32_b32 v1, -1, v1
	v_lshlrev_b32_e32 v4, 2, v1
	v_or_b32_e32 v42, 0xfc, v4
	s_waitcnt vmcnt(15)
	v_cmp_ne_u16_e32 vcc, 0, v2
	s_nop 1
	v_cndmask_b32_e64 v2, 0, 1, vcc
	s_waitcnt vmcnt(14)
	v_cmp_ne_u16_e32 vcc, 0, v5
	s_nop 1
	v_cndmask_b32_e64 v6, 0, 1, vcc
	;; [unrolled: 4-line block ×15, first 2 shown]
	s_waitcnt vmcnt(0)
	v_cmp_ne_u16_e32 vcc, 0, v37
	s_nop 1
	v_addc_co_u32_e32 v30, vcc, v5, v30, vcc
	v_lshl_add_u64 v[2:3], v[30:31], 0, v[2:3]
	v_lshl_add_u64 v[2:3], v[2:3], 0, v[6:7]
	;; [unrolled: 1-line block ×13, first 2 shown]
	v_cmp_eq_u32_e32 vcc, 0, v1
	s_nop 0
	v_mov_b32_dpp v30, v2 quad_perm:[1,0,3,2] row_mask:0xf bank_mask:0xf bound_ctrl:1
	v_lshl_add_u64 v[2:3], v[2:3], 0, v[30:31]
	v_lshl_add_u64 v[6:7], v[32:33], 0, v[2:3]
	s_nop 0
	v_mov_b32_dpp v30, v2 quad_perm:[2,3,0,1] row_mask:0xf bank_mask:0xf bound_ctrl:1
	v_mov_b32_dpp v35, v7 quad_perm:[2,3,0,1] row_mask:0xf bank_mask:0xf bound_ctrl:1
	v_lshl_add_u64 v[2:3], v[6:7], 0, v[30:31]
	v_lshl_add_u64 v[6:7], v[2:3], 0, v[34:35]
	s_nop 0
	v_mov_b32_dpp v30, v2 row_ror:4 row_mask:0xf bank_mask:0xf bound_ctrl:1
	v_mov_b32_dpp v37, v7 row_ror:4 row_mask:0xf bank_mask:0xf bound_ctrl:1
	v_lshl_add_u64 v[2:3], v[6:7], 0, v[30:31]
	v_lshl_add_u64 v[6:7], v[2:3], 0, v[36:37]
	s_nop 0
	v_mov_b32_dpp v30, v2 row_ror:8 row_mask:0xf bank_mask:0xf bound_ctrl:1
	v_mov_b32_dpp v39, v7 row_ror:8 row_mask:0xf bank_mask:0xf bound_ctrl:1
	v_lshl_add_u64 v[2:3], v[6:7], 0, v[30:31]
	v_lshl_add_u64 v[6:7], v[2:3], 0, v[38:39]
	s_nop 0
	v_mov_b32_dpp v30, v2 row_bcast:15 row_mask:0xf bank_mask:0xf bound_ctrl:1
	v_mov_b32_dpp v41, v7 row_bcast:15 row_mask:0xf bank_mask:0xf bound_ctrl:1
	v_lshl_add_u64 v[2:3], v[6:7], 0, v[30:31]
	v_lshl_add_u64 v[6:7], v[2:3], 0, v[40:41]
	s_nop 0
	v_mov_b32_dpp v30, v2 row_bcast:31 row_mask:0xf bank_mask:0xf bound_ctrl:1
	v_lshl_add_u64 v[2:3], v[6:7], 0, v[30:31]
	ds_bpermute_b32 v2, v42, v2
	s_nop 0
	v_add_u32_dpp v3, v7, v3 row_bcast:31 row_mask:0xf bank_mask:0xf bound_ctrl:1
	ds_bpermute_b32 v3, v42, v3
	s_and_saveexec_b64 s[4:5], vcc
	s_cbranch_execz .LBB27_520
; %bb.519:
	v_lshrrev_b32_e32 v5, 3, v0
	v_and_b32_e32 v5, 24, v5
	s_waitcnt lgkmcnt(0)
	ds_write_b64 v5, v[2:3] offset:32
.LBB27_520:
	s_or_b64 exec, exec, s[4:5]
	v_cmp_gt_u32_e32 vcc, 64, v0
	s_waitcnt lgkmcnt(0)
	s_barrier
	s_and_saveexec_b64 s[4:5], vcc
	s_cbranch_execz .LBB27_522
; %bb.521:
	v_and_b32_e32 v5, 3, v1
	v_lshlrev_b32_e32 v2, 3, v5
	ds_read_b64 v[2:3], v2 offset:32
	v_cmp_ne_u32_e32 vcc, 3, v5
	v_mov_b32_e32 v8, 0
	v_mov_b32_e32 v7, v8
	v_addc_co_u32_e32 v1, vcc, 0, v1, vcc
	v_lshlrev_b32_e32 v1, 2, v1
	s_waitcnt lgkmcnt(0)
	ds_bpermute_b32 v6, v1, v2
	ds_bpermute_b32 v9, v1, v3
	v_or_b32_e32 v1, 8, v4
	s_waitcnt lgkmcnt(1)
	v_lshl_add_u64 v[2:3], v[2:3], 0, v[6:7]
	s_waitcnt lgkmcnt(0)
	v_lshl_add_u64 v[4:5], v[8:9], 0, v[2:3]
	ds_bpermute_b32 v2, v1, v2
	ds_bpermute_b32 v9, v1, v5
	v_mov_b32_e32 v3, v8
	s_waitcnt lgkmcnt(1)
	v_lshl_add_u64 v[2:3], v[4:5], 0, v[2:3]
	s_waitcnt lgkmcnt(0)
	v_lshl_add_u64 v[2:3], v[2:3], 0, v[8:9]
.LBB27_522:
	s_or_b64 exec, exec, s[4:5]
	s_mov_b64 s[4:5], 0
	s_branch .LBB27_524
.LBB27_523:
	s_mov_b64 s[4:5], -1
                                        ; implicit-def: $vgpr2_vgpr3
.LBB27_524:
	s_and_b64 vcc, exec, s[4:5]
	s_cbranch_vccz .LBB27_566
; %bb.525:
	s_sub_i32 s44, s36, s6
	v_mov_b32_e32 v2, 0
	v_cmp_gt_u32_e32 vcc, s44, v0
	v_mov_b32_e32 v3, v2
	v_mov_b32_e32 v4, v2
	;; [unrolled: 1-line block ×4, first 2 shown]
	s_waitcnt lgkmcnt(0)
	v_mov_b32_e32 v7, v2
	v_mov_b32_e32 v8, v2
	;; [unrolled: 1-line block ×27, first 2 shown]
	s_and_saveexec_b64 s[4:5], vcc
	s_cbranch_execz .LBB27_527
; %bb.526:
	global_load_ubyte v1, v0, s[34:35]
	v_mov_b32_e32 v3, v2
	v_mov_b32_e32 v4, v2
	;; [unrolled: 1-line block ×31, first 2 shown]
	s_waitcnt vmcnt(0)
	v_cmp_ne_u16_e32 vcc, 0, v1
	s_nop 1
	v_cndmask_b32_e64 v2, 0, 1, vcc
.LBB27_527:
	s_or_b64 exec, exec, s[4:5]
	v_or_b32_e32 v1, 0x100, v0
	v_cmp_gt_u32_e32 vcc, s44, v1
	s_and_saveexec_b64 s[6:7], vcc
	s_cbranch_execz .LBB27_529
; %bb.528:
	global_load_ubyte v1, v0, s[34:35] offset:256
	s_mov_b32 s8, 0
	v_mov_b32_e32 v5, s8
	s_waitcnt vmcnt(0)
	v_cmp_ne_u16_e64 s[4:5], 0, v1
	s_nop 1
	v_cndmask_b32_e64 v4, 0, 1, s[4:5]
.LBB27_529:
	s_or_b64 exec, exec, s[6:7]
	v_or_b32_e32 v1, 0x200, v0
	v_cmp_gt_u32_e64 s[4:5], s44, v1
	s_and_saveexec_b64 s[8:9], s[4:5]
	s_cbranch_execz .LBB27_531
; %bb.530:
	global_load_ubyte v1, v0, s[34:35] offset:512
	s_mov_b32 s10, 0
	v_mov_b32_e32 v7, s10
	s_waitcnt vmcnt(0)
	v_cmp_ne_u16_e64 s[6:7], 0, v1
	s_nop 1
	v_cndmask_b32_e64 v6, 0, 1, s[6:7]
.LBB27_531:
	s_or_b64 exec, exec, s[8:9]
	v_or_b32_e32 v1, 0x300, v0
	v_cmp_gt_u32_e64 s[6:7], s44, v1
	s_and_saveexec_b64 s[10:11], s[6:7]
	;; [unrolled: 14-line block ×14, first 2 shown]
	s_cbranch_execz .LBB27_557
; %bb.556:
	global_load_ubyte v1, v0, s[34:35] offset:3840
	s_mov_b32 s45, 0
	v_mov_b32_e32 v33, s45
	s_waitcnt vmcnt(0)
	v_cmp_ne_u16_e64 s[34:35], 0, v1
	s_nop 1
	v_cndmask_b32_e64 v32, 0, 1, s[34:35]
.LBB27_557:
	s_or_b64 exec, exec, s[42:43]
	v_cndmask_b32_e32 v5, 0, v5, vcc
	v_cndmask_b32_e32 v4, 0, v4, vcc
	v_lshl_add_u64 v[2:3], v[4:5], 0, v[2:3]
	v_cndmask_b32_e64 v5, 0, v7, s[4:5]
	v_cndmask_b32_e64 v4, 0, v6, s[4:5]
	v_lshl_add_u64 v[2:3], v[2:3], 0, v[4:5]
	v_cndmask_b32_e64 v5, 0, v9, s[6:7]
	v_cndmask_b32_e64 v4, 0, v8, s[6:7]
	;; [unrolled: 3-line block ×12, first 2 shown]
	v_mbcnt_lo_u32_b32 v1, -1, 0
	v_lshl_add_u64 v[2:3], v[2:3], 0, v[4:5]
	v_cndmask_b32_e64 v5, 0, v31, s[28:29]
	v_cndmask_b32_e64 v4, 0, v30, s[28:29]
	v_mbcnt_hi_u32_b32 v1, -1, v1
	v_lshl_add_u64 v[2:3], v[2:3], 0, v[4:5]
	v_cndmask_b32_e64 v5, 0, v33, s[30:31]
	v_cndmask_b32_e64 v4, 0, v32, s[30:31]
	v_and_b32_e32 v9, 63, v1
	v_lshl_add_u64 v[2:3], v[2:3], 0, v[4:5]
	s_min_u32 s8, s44, 0x100
	v_and_b32_e32 v4, 0xc0, v0
	v_cmp_ne_u32_e32 vcc, 63, v9
	v_sub_u32_e64 v8, s8, v4 clamp
	v_mov_b32_e32 v6, 0
	v_addc_co_u32_e32 v4, vcc, 0, v1, vcc
	v_lshlrev_b32_e32 v5, 2, v4
	ds_bpermute_b32 v4, v5, v2
	ds_bpermute_b32 v7, v5, v3
	v_add_u32_e32 v10, 1, v9
	v_mov_b32_e32 v5, v6
	v_cmp_lt_u32_e64 s[4:5], v10, v8
	s_waitcnt lgkmcnt(1)
	v_lshl_add_u64 v[4:5], v[2:3], 0, v[4:5]
	v_cmp_gt_u32_e32 vcc, 62, v9
	s_waitcnt lgkmcnt(0)
	v_lshl_add_u64 v[6:7], v[4:5], 0, v[6:7]
	v_cndmask_b32_e64 v12, v2, v4, s[4:5]
	v_cndmask_b32_e64 v4, 0, 2, vcc
	v_cndmask_b32_e64 v5, v3, v7, s[4:5]
	v_add_lshl_u32 v4, v4, v1, 2
	ds_bpermute_b32 v10, v4, v12
	ds_bpermute_b32 v11, v4, v5
	v_cndmask_b32_e64 v4, v2, v6, s[4:5]
	v_add_u32_e32 v13, 2, v9
	v_cmp_lt_u32_e32 vcc, v13, v8
	v_cmp_gt_u32_e64 s[6:7], 60, v9
	s_waitcnt lgkmcnt(0)
	v_lshl_add_u64 v[6:7], v[10:11], 0, v[4:5]
	v_cndmask_b32_e32 v5, v5, v7, vcc
	v_cndmask_b32_e64 v7, 0, 4, s[6:7]
	v_cndmask_b32_e32 v12, v12, v6, vcc
	v_add_lshl_u32 v7, v7, v1, 2
	ds_bpermute_b32 v10, v7, v12
	ds_bpermute_b32 v11, v7, v5
	v_cndmask_b32_e32 v4, v4, v6, vcc
	v_add_u32_e32 v13, 4, v9
	v_cmp_lt_u32_e32 vcc, v13, v8
	v_cmp_gt_u32_e64 s[6:7], 56, v9
	s_waitcnt lgkmcnt(0)
	v_lshl_add_u64 v[6:7], v[10:11], 0, v[4:5]
	v_cndmask_b32_e32 v5, v5, v7, vcc
	v_cndmask_b32_e64 v7, 0, 8, s[6:7]
	v_cndmask_b32_e32 v12, v12, v6, vcc
	v_add_lshl_u32 v7, v7, v1, 2
	ds_bpermute_b32 v10, v7, v12
	ds_bpermute_b32 v11, v7, v5
	v_cndmask_b32_e32 v4, v4, v6, vcc
	;; [unrolled: 12-line block ×3, first 2 shown]
	v_add_u32_e32 v13, 16, v9
	v_cmp_lt_u32_e32 vcc, v13, v8
	s_waitcnt lgkmcnt(0)
	v_lshl_add_u64 v[6:7], v[10:11], 0, v[4:5]
	v_lshlrev_b32_e32 v10, 2, v1
	v_cndmask_b32_e32 v13, v5, v7, vcc
	v_cndmask_b32_e32 v11, v12, v6, vcc
	v_or_b32_e32 v12, 0x80, v10
	ds_bpermute_b32 v11, v12, v11
	ds_bpermute_b32 v12, v12, v13
	s_and_saveexec_b64 s[6:7], s[4:5]
	s_cbranch_execz .LBB27_559
; %bb.558:
	v_add_u32_e32 v9, 32, v9
	v_cndmask_b32_e32 v3, v5, v7, vcc
	v_cndmask_b32_e32 v2, v4, v6, vcc
	v_cmp_lt_u32_e32 vcc, v9, v8
	s_waitcnt lgkmcnt(0)
	s_nop 0
	v_cndmask_b32_e32 v5, 0, v12, vcc
	v_cndmask_b32_e32 v4, 0, v11, vcc
	v_lshl_add_u64 v[2:3], v[2:3], 0, v[4:5]
.LBB27_559:
	s_or_b64 exec, exec, s[6:7]
	v_cmp_eq_u32_e32 vcc, 0, v1
	s_and_saveexec_b64 s[4:5], vcc
; %bb.560:
	v_lshrrev_b32_e32 v4, 3, v0
	v_and_b32_e32 v4, 24, v4
	ds_write_b64 v4, v[2:3] offset:256
; %bb.561:
	s_or_b64 exec, exec, s[4:5]
	v_cmp_gt_u32_e32 vcc, 4, v0
	s_waitcnt lgkmcnt(0)
	s_barrier
	s_and_saveexec_b64 s[4:5], vcc
	s_cbranch_execz .LBB27_565
; %bb.562:
	v_lshlrev_b32_e32 v2, 3, v1
	ds_read_b64 v[2:3], v2 offset:256
	v_and_b32_e32 v6, 3, v1
	v_cmp_ne_u32_e32 vcc, 3, v6
	v_mov_b32_e32 v8, 0
	s_add_i32 s8, s8, 63
	v_addc_co_u32_e32 v1, vcc, 0, v1, vcc
	v_lshlrev_b32_e32 v1, 2, v1
	s_waitcnt lgkmcnt(0)
	ds_bpermute_b32 v4, v1, v2
	ds_bpermute_b32 v9, v1, v3
	v_mov_b32_e32 v5, v8
	s_lshr_b32 s8, s8, 6
	v_add_u32_e32 v1, 1, v6
	s_waitcnt lgkmcnt(1)
	v_lshl_add_u64 v[12:13], v[2:3], 0, v[4:5]
	s_waitcnt lgkmcnt(0)
	v_lshl_add_u64 v[4:5], v[8:9], 0, v[12:13]
	v_cmp_gt_u32_e32 vcc, s8, v1
	v_or_b32_e32 v8, 8, v10
	s_nop 0
	v_cndmask_b32_e32 v7, v3, v5, vcc
	v_cndmask_b32_e32 v1, v2, v12, vcc
	ds_bpermute_b32 v1, v8, v1
	ds_bpermute_b32 v7, v8, v7
	s_and_saveexec_b64 s[6:7], vcc
	s_cbranch_execz .LBB27_564
; %bb.563:
	v_add_u32_e32 v2, 2, v6
	v_cmp_gt_u32_e32 vcc, s8, v2
	s_waitcnt lgkmcnt(0)
	s_nop 0
	v_cndmask_b32_e32 v3, 0, v7, vcc
	v_cndmask_b32_e32 v2, 0, v1, vcc
	v_lshl_add_u64 v[2:3], v[2:3], 0, v[4:5]
.LBB27_564:
	s_or_b64 exec, exec, s[6:7]
.LBB27_565:
	s_or_b64 exec, exec, s[4:5]
.LBB27_566:
	v_cmp_eq_u32_e64 s[4:5], 0, v0
	v_mov_b64_e32 v[4:5], s[2:3]
.LBB27_567:
	s_branch .LBB27_683
.LBB27_568:
	s_cmp_gt_i32 s33, 3
	s_cbranch_scc0 .LBB27_577
; %bb.569:
	s_cmp_gt_i32 s33, 7
	s_cbranch_scc0 .LBB27_578
; %bb.570:
	s_cmp_eq_u32 s33, 8
                                        ; implicit-def: $vgpr2_vgpr3
                                        ; implicit-def: $vgpr4_vgpr5
	s_cbranch_scc0 .LBB27_579
; %bb.571:
	s_lshl_b32 s6, s2, 11
	s_lshr_b64 s[4:5], s[36:37], 11
	s_add_u32 s16, s40, s6
	s_mov_b32 s3, 0
	s_addc_u32 s17, s41, 0
	s_cmp_lg_u64 s[4:5], s[2:3]
	s_cbranch_scc0 .LBB27_580
; %bb.572:
	global_load_ubyte v2, v0, s[16:17] offset:768
	global_load_ubyte v5, v0, s[16:17] offset:1024
	;; [unrolled: 1-line block ×6, first 2 shown]
	global_load_ubyte v19, v0, s[16:17]
	global_load_ubyte v21, v0, s[16:17] offset:512
	v_mov_b32_e32 v3, s3
	v_mov_b32_e32 v15, 0
	s_waitcnt lgkmcnt(0)
	v_mov_b32_e32 v7, s3
	v_mov_b32_e32 v9, s3
	;; [unrolled: 1-line block ×4, first 2 shown]
	v_mov_b32_dpp v17, v15 quad_perm:[1,0,3,2] row_mask:0xf bank_mask:0xf bound_ctrl:1
	v_mov_b32_e32 v16, v15
	v_mov_b32_e32 v18, v15
	;; [unrolled: 1-line block ×4, first 2 shown]
	v_mbcnt_lo_u32_b32 v1, -1, 0
	v_mov_b32_e32 v24, v15
	v_mbcnt_hi_u32_b32 v1, -1, v1
	v_lshlrev_b32_e32 v4, 2, v1
	v_or_b32_e32 v26, 0xfc, v4
	s_waitcnt vmcnt(7)
	v_cmp_ne_u16_e32 vcc, 0, v2
	s_nop 1
	v_cndmask_b32_e64 v2, 0, 1, vcc
	s_waitcnt vmcnt(6)
	v_cmp_ne_u16_e32 vcc, 0, v5
	s_nop 1
	v_cndmask_b32_e64 v6, 0, 1, vcc
	;; [unrolled: 4-line block ×7, first 2 shown]
	s_waitcnt vmcnt(0)
	v_cmp_ne_u16_e32 vcc, 0, v21
	s_nop 1
	v_addc_co_u32_e32 v14, vcc, v5, v14, vcc
	v_lshl_add_u64 v[2:3], v[14:15], 0, v[2:3]
	v_lshl_add_u64 v[2:3], v[2:3], 0, v[6:7]
	;; [unrolled: 1-line block ×5, first 2 shown]
	v_cmp_eq_u32_e32 vcc, 0, v1
	s_nop 0
	v_mov_b32_dpp v14, v2 quad_perm:[1,0,3,2] row_mask:0xf bank_mask:0xf bound_ctrl:1
	v_lshl_add_u64 v[2:3], v[2:3], 0, v[14:15]
	v_lshl_add_u64 v[6:7], v[16:17], 0, v[2:3]
	s_nop 0
	v_mov_b32_dpp v14, v2 quad_perm:[2,3,0,1] row_mask:0xf bank_mask:0xf bound_ctrl:1
	v_mov_b32_dpp v19, v7 quad_perm:[2,3,0,1] row_mask:0xf bank_mask:0xf bound_ctrl:1
	v_lshl_add_u64 v[2:3], v[6:7], 0, v[14:15]
	v_lshl_add_u64 v[6:7], v[2:3], 0, v[18:19]
	s_nop 0
	v_mov_b32_dpp v14, v2 row_ror:4 row_mask:0xf bank_mask:0xf bound_ctrl:1
	v_mov_b32_dpp v21, v7 row_ror:4 row_mask:0xf bank_mask:0xf bound_ctrl:1
	v_lshl_add_u64 v[2:3], v[6:7], 0, v[14:15]
	v_lshl_add_u64 v[6:7], v[2:3], 0, v[20:21]
	s_nop 0
	v_mov_b32_dpp v14, v2 row_ror:8 row_mask:0xf bank_mask:0xf bound_ctrl:1
	v_mov_b32_dpp v23, v7 row_ror:8 row_mask:0xf bank_mask:0xf bound_ctrl:1
	v_lshl_add_u64 v[2:3], v[6:7], 0, v[14:15]
	v_lshl_add_u64 v[6:7], v[2:3], 0, v[22:23]
	s_nop 0
	v_mov_b32_dpp v14, v2 row_bcast:15 row_mask:0xf bank_mask:0xf bound_ctrl:1
	v_mov_b32_dpp v25, v7 row_bcast:15 row_mask:0xf bank_mask:0xf bound_ctrl:1
	v_lshl_add_u64 v[2:3], v[6:7], 0, v[14:15]
	v_lshl_add_u64 v[6:7], v[2:3], 0, v[24:25]
	s_nop 0
	v_mov_b32_dpp v14, v2 row_bcast:31 row_mask:0xf bank_mask:0xf bound_ctrl:1
	v_lshl_add_u64 v[2:3], v[6:7], 0, v[14:15]
	ds_bpermute_b32 v2, v26, v2
	s_nop 0
	v_add_u32_dpp v3, v7, v3 row_bcast:31 row_mask:0xf bank_mask:0xf bound_ctrl:1
	ds_bpermute_b32 v3, v26, v3
	s_and_saveexec_b64 s[4:5], vcc
	s_cbranch_execz .LBB27_574
; %bb.573:
	v_lshrrev_b32_e32 v5, 3, v0
	v_and_b32_e32 v5, 24, v5
	s_waitcnt lgkmcnt(0)
	ds_write_b64 v5, v[2:3] offset:224
.LBB27_574:
	s_or_b64 exec, exec, s[4:5]
	v_cmp_gt_u32_e32 vcc, 64, v0
	s_waitcnt lgkmcnt(0)
	s_barrier
	s_and_saveexec_b64 s[4:5], vcc
	s_cbranch_execz .LBB27_576
; %bb.575:
	v_and_b32_e32 v5, 3, v1
	v_lshlrev_b32_e32 v2, 3, v5
	ds_read_b64 v[2:3], v2 offset:224
	v_cmp_ne_u32_e32 vcc, 3, v5
	v_mov_b32_e32 v8, 0
	v_mov_b32_e32 v7, v8
	v_addc_co_u32_e32 v1, vcc, 0, v1, vcc
	v_lshlrev_b32_e32 v1, 2, v1
	s_waitcnt lgkmcnt(0)
	ds_bpermute_b32 v6, v1, v2
	ds_bpermute_b32 v9, v1, v3
	v_or_b32_e32 v1, 8, v4
	s_waitcnt lgkmcnt(1)
	v_lshl_add_u64 v[2:3], v[2:3], 0, v[6:7]
	s_waitcnt lgkmcnt(0)
	v_lshl_add_u64 v[4:5], v[8:9], 0, v[2:3]
	ds_bpermute_b32 v2, v1, v2
	ds_bpermute_b32 v9, v1, v5
	v_mov_b32_e32 v3, v8
	s_waitcnt lgkmcnt(1)
	v_lshl_add_u64 v[2:3], v[4:5], 0, v[2:3]
	s_waitcnt lgkmcnt(0)
	v_lshl_add_u64 v[2:3], v[2:3], 0, v[8:9]
.LBB27_576:
	s_or_b64 exec, exec, s[4:5]
	s_mov_b64 s[4:5], 0
	s_branch .LBB27_581
.LBB27_577:
                                        ; implicit-def: $vgpr2_vgpr3
                                        ; implicit-def: $vgpr4_vgpr5
	s_cbranch_execnz .LBB27_636
	s_branch .LBB27_683
.LBB27_578:
                                        ; implicit-def: $vgpr2_vgpr3
                                        ; implicit-def: $vgpr4_vgpr5
	s_cbranch_execnz .LBB27_608
	s_branch .LBB27_635
.LBB27_579:
	s_branch .LBB27_635
.LBB27_580:
	s_mov_b64 s[4:5], -1
                                        ; implicit-def: $vgpr2_vgpr3
.LBB27_581:
	s_and_b64 vcc, exec, s[4:5]
	s_cbranch_vccz .LBB27_607
; %bb.582:
	s_sub_i32 s20, s36, s6
	v_mov_b32_e32 v2, 0
	v_cmp_gt_u32_e32 vcc, s20, v0
	v_mov_b32_e32 v3, v2
	v_mov_b32_e32 v4, v2
	;; [unrolled: 1-line block ×4, first 2 shown]
	s_waitcnt lgkmcnt(0)
	v_mov_b32_e32 v7, v2
	v_mov_b32_e32 v8, v2
	;; [unrolled: 1-line block ×11, first 2 shown]
	s_and_saveexec_b64 s[4:5], vcc
	s_cbranch_execz .LBB27_584
; %bb.583:
	global_load_ubyte v1, v0, s[16:17]
	v_mov_b32_e32 v5, v2
	v_mov_b32_e32 v6, v2
	;; [unrolled: 1-line block ×15, first 2 shown]
	s_waitcnt vmcnt(0)
	v_cmp_ne_u16_e32 vcc, 0, v1
	s_nop 1
	v_cndmask_b32_e64 v1, 0, 1, vcc
	v_and_b32_e32 v4, 0xffff, v1
	v_mov_b64_e32 v[2:3], v[4:5]
	v_mov_b64_e32 v[4:5], v[6:7]
	;; [unrolled: 1-line block ×8, first 2 shown]
.LBB27_584:
	s_or_b64 exec, exec, s[4:5]
	v_or_b32_e32 v1, 0x100, v0
	v_cmp_gt_u32_e32 vcc, s20, v1
	s_and_saveexec_b64 s[6:7], vcc
	s_cbranch_execz .LBB27_586
; %bb.585:
	global_load_ubyte v1, v0, s[16:17] offset:256
	s_mov_b32 s8, 0
	v_mov_b32_e32 v5, s8
	s_waitcnt vmcnt(0)
	v_cmp_ne_u16_e64 s[4:5], 0, v1
	s_nop 1
	v_cndmask_b32_e64 v4, 0, 1, s[4:5]
.LBB27_586:
	s_or_b64 exec, exec, s[6:7]
	v_or_b32_e32 v1, 0x200, v0
	v_cmp_gt_u32_e64 s[4:5], s20, v1
	s_and_saveexec_b64 s[8:9], s[4:5]
	s_cbranch_execz .LBB27_588
; %bb.587:
	global_load_ubyte v1, v0, s[16:17] offset:512
	s_mov_b32 s10, 0
	v_mov_b32_e32 v7, s10
	s_waitcnt vmcnt(0)
	v_cmp_ne_u16_e64 s[6:7], 0, v1
	s_nop 1
	v_cndmask_b32_e64 v6, 0, 1, s[6:7]
.LBB27_588:
	s_or_b64 exec, exec, s[8:9]
	v_or_b32_e32 v1, 0x300, v0
	v_cmp_gt_u32_e64 s[6:7], s20, v1
	s_and_saveexec_b64 s[10:11], s[6:7]
	s_cbranch_execz .LBB27_590
; %bb.589:
	global_load_ubyte v1, v0, s[16:17] offset:768
	s_mov_b32 s12, 0
	v_mov_b32_e32 v9, s12
	s_waitcnt vmcnt(0)
	v_cmp_ne_u16_e64 s[8:9], 0, v1
	s_nop 1
	v_cndmask_b32_e64 v8, 0, 1, s[8:9]
.LBB27_590:
	s_or_b64 exec, exec, s[10:11]
	v_or_b32_e32 v1, 0x400, v0
	v_cmp_gt_u32_e64 s[8:9], s20, v1
	s_and_saveexec_b64 s[12:13], s[8:9]
	s_cbranch_execz .LBB27_592
; %bb.591:
	global_load_ubyte v1, v0, s[16:17] offset:1024
	s_mov_b32 s14, 0
	v_mov_b32_e32 v11, s14
	s_waitcnt vmcnt(0)
	v_cmp_ne_u16_e64 s[10:11], 0, v1
	s_nop 1
	v_cndmask_b32_e64 v10, 0, 1, s[10:11]
.LBB27_592:
	s_or_b64 exec, exec, s[12:13]
	v_or_b32_e32 v1, 0x500, v0
	v_cmp_gt_u32_e64 s[10:11], s20, v1
	s_and_saveexec_b64 s[14:15], s[10:11]
	s_cbranch_execz .LBB27_594
; %bb.593:
	global_load_ubyte v1, v0, s[16:17] offset:1280
	s_mov_b32 s18, 0
	v_mov_b32_e32 v13, s18
	s_waitcnt vmcnt(0)
	v_cmp_ne_u16_e64 s[12:13], 0, v1
	s_nop 1
	v_cndmask_b32_e64 v12, 0, 1, s[12:13]
.LBB27_594:
	s_or_b64 exec, exec, s[14:15]
	v_or_b32_e32 v1, 0x600, v0
	v_cmp_gt_u32_e64 s[12:13], s20, v1
	s_and_saveexec_b64 s[18:19], s[12:13]
	s_cbranch_execz .LBB27_596
; %bb.595:
	global_load_ubyte v1, v0, s[16:17] offset:1536
	s_mov_b32 s21, 0
	v_mov_b32_e32 v15, s21
	s_waitcnt vmcnt(0)
	v_cmp_ne_u16_e64 s[14:15], 0, v1
	s_nop 1
	v_cndmask_b32_e64 v14, 0, 1, s[14:15]
.LBB27_596:
	s_or_b64 exec, exec, s[18:19]
	v_or_b32_e32 v1, 0x700, v0
	v_cmp_gt_u32_e64 s[14:15], s20, v1
	s_and_saveexec_b64 s[18:19], s[14:15]
	s_cbranch_execz .LBB27_598
; %bb.597:
	global_load_ubyte v1, v0, s[16:17] offset:1792
	s_mov_b32 s21, 0
	v_mov_b32_e32 v17, s21
	s_waitcnt vmcnt(0)
	v_cmp_ne_u16_e64 s[16:17], 0, v1
	s_nop 1
	v_cndmask_b32_e64 v16, 0, 1, s[16:17]
.LBB27_598:
	s_or_b64 exec, exec, s[18:19]
	v_cndmask_b32_e32 v5, 0, v5, vcc
	v_cndmask_b32_e32 v4, 0, v4, vcc
	v_lshl_add_u64 v[2:3], v[4:5], 0, v[2:3]
	v_cndmask_b32_e64 v5, 0, v7, s[4:5]
	v_cndmask_b32_e64 v4, 0, v6, s[4:5]
	v_lshl_add_u64 v[2:3], v[2:3], 0, v[4:5]
	v_cndmask_b32_e64 v5, 0, v9, s[6:7]
	v_cndmask_b32_e64 v4, 0, v8, s[6:7]
	;; [unrolled: 3-line block ×4, first 2 shown]
	v_mbcnt_lo_u32_b32 v1, -1, 0
	v_lshl_add_u64 v[2:3], v[2:3], 0, v[4:5]
	v_cndmask_b32_e64 v5, 0, v15, s[12:13]
	v_cndmask_b32_e64 v4, 0, v14, s[12:13]
	v_mbcnt_hi_u32_b32 v1, -1, v1
	v_lshl_add_u64 v[2:3], v[2:3], 0, v[4:5]
	v_cndmask_b32_e64 v5, 0, v17, s[14:15]
	v_cndmask_b32_e64 v4, 0, v16, s[14:15]
	v_and_b32_e32 v9, 63, v1
	v_lshl_add_u64 v[2:3], v[2:3], 0, v[4:5]
	s_min_u32 s8, s20, 0x100
	v_and_b32_e32 v4, 0xc0, v0
	v_cmp_ne_u32_e32 vcc, 63, v9
	v_sub_u32_e64 v8, s8, v4 clamp
	v_mov_b32_e32 v6, 0
	v_addc_co_u32_e32 v4, vcc, 0, v1, vcc
	v_lshlrev_b32_e32 v5, 2, v4
	ds_bpermute_b32 v4, v5, v2
	ds_bpermute_b32 v7, v5, v3
	v_add_u32_e32 v10, 1, v9
	v_mov_b32_e32 v5, v6
	v_cmp_lt_u32_e64 s[4:5], v10, v8
	s_waitcnt lgkmcnt(1)
	v_lshl_add_u64 v[4:5], v[2:3], 0, v[4:5]
	v_cmp_gt_u32_e32 vcc, 62, v9
	s_waitcnt lgkmcnt(0)
	v_lshl_add_u64 v[6:7], v[4:5], 0, v[6:7]
	v_cndmask_b32_e64 v12, v2, v4, s[4:5]
	v_cndmask_b32_e64 v4, 0, 2, vcc
	v_cndmask_b32_e64 v5, v3, v7, s[4:5]
	v_add_lshl_u32 v4, v4, v1, 2
	ds_bpermute_b32 v10, v4, v12
	ds_bpermute_b32 v11, v4, v5
	v_cndmask_b32_e64 v4, v2, v6, s[4:5]
	v_add_u32_e32 v13, 2, v9
	v_cmp_lt_u32_e32 vcc, v13, v8
	v_cmp_gt_u32_e64 s[6:7], 60, v9
	s_waitcnt lgkmcnt(0)
	v_lshl_add_u64 v[6:7], v[10:11], 0, v[4:5]
	v_cndmask_b32_e32 v5, v5, v7, vcc
	v_cndmask_b32_e64 v7, 0, 4, s[6:7]
	v_cndmask_b32_e32 v12, v12, v6, vcc
	v_add_lshl_u32 v7, v7, v1, 2
	ds_bpermute_b32 v10, v7, v12
	ds_bpermute_b32 v11, v7, v5
	v_cndmask_b32_e32 v4, v4, v6, vcc
	v_add_u32_e32 v13, 4, v9
	v_cmp_lt_u32_e32 vcc, v13, v8
	v_cmp_gt_u32_e64 s[6:7], 56, v9
	s_waitcnt lgkmcnt(0)
	v_lshl_add_u64 v[6:7], v[10:11], 0, v[4:5]
	v_cndmask_b32_e32 v5, v5, v7, vcc
	v_cndmask_b32_e64 v7, 0, 8, s[6:7]
	v_cndmask_b32_e32 v12, v12, v6, vcc
	v_add_lshl_u32 v7, v7, v1, 2
	ds_bpermute_b32 v10, v7, v12
	ds_bpermute_b32 v11, v7, v5
	v_cndmask_b32_e32 v4, v4, v6, vcc
	;; [unrolled: 12-line block ×3, first 2 shown]
	v_add_u32_e32 v13, 16, v9
	v_cmp_lt_u32_e32 vcc, v13, v8
	s_waitcnt lgkmcnt(0)
	v_lshl_add_u64 v[6:7], v[10:11], 0, v[4:5]
	v_lshlrev_b32_e32 v10, 2, v1
	v_cndmask_b32_e32 v13, v5, v7, vcc
	v_cndmask_b32_e32 v11, v12, v6, vcc
	v_or_b32_e32 v12, 0x80, v10
	ds_bpermute_b32 v11, v12, v11
	ds_bpermute_b32 v12, v12, v13
	s_and_saveexec_b64 s[6:7], s[4:5]
	s_cbranch_execz .LBB27_600
; %bb.599:
	v_add_u32_e32 v9, 32, v9
	v_cndmask_b32_e32 v3, v5, v7, vcc
	v_cndmask_b32_e32 v2, v4, v6, vcc
	v_cmp_lt_u32_e32 vcc, v9, v8
	s_waitcnt lgkmcnt(0)
	s_nop 0
	v_cndmask_b32_e32 v5, 0, v12, vcc
	v_cndmask_b32_e32 v4, 0, v11, vcc
	v_lshl_add_u64 v[2:3], v[2:3], 0, v[4:5]
.LBB27_600:
	s_or_b64 exec, exec, s[6:7]
	v_cmp_eq_u32_e32 vcc, 0, v1
	s_and_saveexec_b64 s[4:5], vcc
; %bb.601:
	v_lshrrev_b32_e32 v4, 3, v0
	v_and_b32_e32 v4, 24, v4
	ds_write_b64 v4, v[2:3] offset:256
; %bb.602:
	s_or_b64 exec, exec, s[4:5]
	v_cmp_gt_u32_e32 vcc, 4, v0
	s_waitcnt lgkmcnt(0)
	s_barrier
	s_and_saveexec_b64 s[4:5], vcc
	s_cbranch_execz .LBB27_606
; %bb.603:
	v_lshlrev_b32_e32 v2, 3, v1
	ds_read_b64 v[2:3], v2 offset:256
	v_and_b32_e32 v6, 3, v1
	v_cmp_ne_u32_e32 vcc, 3, v6
	v_mov_b32_e32 v8, 0
	s_add_i32 s8, s8, 63
	v_addc_co_u32_e32 v1, vcc, 0, v1, vcc
	v_lshlrev_b32_e32 v1, 2, v1
	s_waitcnt lgkmcnt(0)
	ds_bpermute_b32 v4, v1, v2
	ds_bpermute_b32 v9, v1, v3
	v_mov_b32_e32 v5, v8
	s_lshr_b32 s8, s8, 6
	v_add_u32_e32 v1, 1, v6
	s_waitcnt lgkmcnt(1)
	v_lshl_add_u64 v[12:13], v[2:3], 0, v[4:5]
	s_waitcnt lgkmcnt(0)
	v_lshl_add_u64 v[4:5], v[8:9], 0, v[12:13]
	v_cmp_gt_u32_e32 vcc, s8, v1
	v_or_b32_e32 v8, 8, v10
	s_nop 0
	v_cndmask_b32_e32 v7, v3, v5, vcc
	v_cndmask_b32_e32 v1, v2, v12, vcc
	ds_bpermute_b32 v1, v8, v1
	ds_bpermute_b32 v7, v8, v7
	s_and_saveexec_b64 s[6:7], vcc
	s_cbranch_execz .LBB27_605
; %bb.604:
	v_add_u32_e32 v2, 2, v6
	v_cmp_gt_u32_e32 vcc, s8, v2
	s_waitcnt lgkmcnt(0)
	s_nop 0
	v_cndmask_b32_e32 v3, 0, v7, vcc
	v_cndmask_b32_e32 v2, 0, v1, vcc
	v_lshl_add_u64 v[2:3], v[2:3], 0, v[4:5]
.LBB27_605:
	s_or_b64 exec, exec, s[6:7]
.LBB27_606:
	s_or_b64 exec, exec, s[4:5]
.LBB27_607:
	v_cmp_eq_u32_e64 s[4:5], 0, v0
	v_mov_b64_e32 v[4:5], s[2:3]
	s_branch .LBB27_635
.LBB27_608:
	s_cmp_eq_u32 s33, 4
                                        ; implicit-def: $vgpr2_vgpr3
                                        ; implicit-def: $vgpr4_vgpr5
	s_cbranch_scc0 .LBB27_635
; %bb.609:
	s_lshl_b32 s6, s2, 10
	s_lshr_b64 s[4:5], s[36:37], 10
	s_add_u32 s8, s40, s6
	s_mov_b32 s3, 0
	s_addc_u32 s9, s41, 0
	s_cmp_lg_u64 s[4:5], s[2:3]
	s_cbranch_scc0 .LBB27_615
; %bb.610:
	global_load_ubyte v2, v0, s[8:9] offset:768
	global_load_ubyte v5, v0, s[8:9] offset:256
	global_load_ubyte v6, v0, s[8:9]
	global_load_ubyte v11, v0, s[8:9] offset:512
	v_mov_b32_e32 v3, s3
	s_waitcnt lgkmcnt(0)
	v_mov_b32_e32 v7, 0
	v_mov_b32_e32 v8, v7
	;; [unrolled: 1-line block ×3, first 2 shown]
	v_mov_b32_dpp v9, v7 quad_perm:[1,0,3,2] row_mask:0xf bank_mask:0xf bound_ctrl:1
	v_mov_b32_e32 v12, v7
	v_mov_b32_e32 v14, v7
	v_mbcnt_lo_u32_b32 v1, -1, 0
	v_mov_b32_e32 v16, v7
	v_mbcnt_hi_u32_b32 v1, -1, v1
	v_lshlrev_b32_e32 v4, 2, v1
	v_or_b32_e32 v18, 0xfc, v4
	s_waitcnt vmcnt(3)
	v_cmp_ne_u16_e32 vcc, 0, v2
	s_nop 1
	v_cndmask_b32_e64 v2, 0, 1, vcc
	s_waitcnt vmcnt(2)
	v_cmp_ne_u16_e32 vcc, 0, v5
	s_nop 1
	v_cndmask_b32_e64 v5, 0, 1, vcc
	s_waitcnt vmcnt(1)
	v_cmp_ne_u16_e32 vcc, 0, v6
	s_nop 1
	v_cndmask_b32_e64 v6, 0, 1, vcc
	s_waitcnt vmcnt(0)
	v_cmp_ne_u16_e32 vcc, 0, v11
	s_nop 1
	v_addc_co_u32_e32 v6, vcc, v5, v6, vcc
	v_lshl_add_u64 v[2:3], v[6:7], 0, v[2:3]
	v_cmp_eq_u32_e32 vcc, 0, v1
	s_nop 0
	v_mov_b32_dpp v6, v2 quad_perm:[1,0,3,2] row_mask:0xf bank_mask:0xf bound_ctrl:1
	v_lshl_add_u64 v[2:3], v[2:3], 0, v[6:7]
	v_lshl_add_u64 v[8:9], v[8:9], 0, v[2:3]
	s_nop 0
	v_mov_b32_dpp v6, v2 quad_perm:[2,3,0,1] row_mask:0xf bank_mask:0xf bound_ctrl:1
	v_mov_b32_dpp v11, v9 quad_perm:[2,3,0,1] row_mask:0xf bank_mask:0xf bound_ctrl:1
	v_lshl_add_u64 v[2:3], v[8:9], 0, v[6:7]
	v_lshl_add_u64 v[8:9], v[2:3], 0, v[10:11]
	s_nop 0
	v_mov_b32_dpp v6, v2 row_ror:4 row_mask:0xf bank_mask:0xf bound_ctrl:1
	v_mov_b32_dpp v13, v9 row_ror:4 row_mask:0xf bank_mask:0xf bound_ctrl:1
	v_lshl_add_u64 v[2:3], v[8:9], 0, v[6:7]
	v_lshl_add_u64 v[8:9], v[2:3], 0, v[12:13]
	s_nop 0
	v_mov_b32_dpp v6, v2 row_ror:8 row_mask:0xf bank_mask:0xf bound_ctrl:1
	v_mov_b32_dpp v15, v9 row_ror:8 row_mask:0xf bank_mask:0xf bound_ctrl:1
	v_lshl_add_u64 v[2:3], v[8:9], 0, v[6:7]
	v_lshl_add_u64 v[8:9], v[2:3], 0, v[14:15]
	s_nop 0
	v_mov_b32_dpp v6, v2 row_bcast:15 row_mask:0xf bank_mask:0xf bound_ctrl:1
	v_mov_b32_dpp v17, v9 row_bcast:15 row_mask:0xf bank_mask:0xf bound_ctrl:1
	v_lshl_add_u64 v[2:3], v[8:9], 0, v[6:7]
	v_lshl_add_u64 v[8:9], v[2:3], 0, v[16:17]
	s_nop 0
	v_mov_b32_dpp v6, v2 row_bcast:31 row_mask:0xf bank_mask:0xf bound_ctrl:1
	v_lshl_add_u64 v[2:3], v[8:9], 0, v[6:7]
	ds_bpermute_b32 v2, v18, v2
	s_nop 0
	v_add_u32_dpp v3, v9, v3 row_bcast:31 row_mask:0xf bank_mask:0xf bound_ctrl:1
	ds_bpermute_b32 v3, v18, v3
	s_and_saveexec_b64 s[4:5], vcc
	s_cbranch_execz .LBB27_612
; %bb.611:
	v_lshrrev_b32_e32 v5, 3, v0
	v_and_b32_e32 v5, 24, v5
	s_waitcnt lgkmcnt(0)
	ds_write_b64 v5, v[2:3] offset:160
.LBB27_612:
	s_or_b64 exec, exec, s[4:5]
	v_cmp_gt_u32_e32 vcc, 64, v0
	s_waitcnt lgkmcnt(0)
	s_barrier
	s_and_saveexec_b64 s[4:5], vcc
	s_cbranch_execz .LBB27_614
; %bb.613:
	v_and_b32_e32 v5, 3, v1
	v_lshlrev_b32_e32 v2, 3, v5
	ds_read_b64 v[2:3], v2 offset:160
	v_cmp_ne_u32_e32 vcc, 3, v5
	v_mov_b32_e32 v8, 0
	v_mov_b32_e32 v7, v8
	v_addc_co_u32_e32 v1, vcc, 0, v1, vcc
	v_lshlrev_b32_e32 v1, 2, v1
	s_waitcnt lgkmcnt(0)
	ds_bpermute_b32 v6, v1, v2
	ds_bpermute_b32 v9, v1, v3
	v_or_b32_e32 v1, 8, v4
	s_waitcnt lgkmcnt(1)
	v_lshl_add_u64 v[2:3], v[2:3], 0, v[6:7]
	s_waitcnt lgkmcnt(0)
	v_lshl_add_u64 v[4:5], v[8:9], 0, v[2:3]
	ds_bpermute_b32 v2, v1, v2
	ds_bpermute_b32 v9, v1, v5
	v_mov_b32_e32 v3, v8
	s_waitcnt lgkmcnt(1)
	v_lshl_add_u64 v[2:3], v[4:5], 0, v[2:3]
	s_waitcnt lgkmcnt(0)
	v_lshl_add_u64 v[2:3], v[2:3], 0, v[8:9]
.LBB27_614:
	s_or_b64 exec, exec, s[4:5]
	s_mov_b64 s[4:5], 0
	s_branch .LBB27_616
.LBB27_615:
	s_mov_b64 s[4:5], -1
                                        ; implicit-def: $vgpr2_vgpr3
.LBB27_616:
	s_and_b64 vcc, exec, s[4:5]
	s_cbranch_vccz .LBB27_634
; %bb.617:
	s_sub_i32 s12, s36, s6
	v_mov_b32_e32 v2, 0
	v_cmp_gt_u32_e32 vcc, s12, v0
	v_mov_b32_e32 v3, v2
	v_mov_b32_e32 v4, v2
	v_mov_b32_e32 v5, v2
	v_mov_b32_e32 v6, v2
	s_waitcnt lgkmcnt(0)
	v_mov_b32_e32 v7, v2
	v_mov_b32_e32 v8, v2
	v_mov_b32_e32 v9, v2
	s_and_saveexec_b64 s[4:5], vcc
	s_cbranch_execz .LBB27_619
; %bb.618:
	global_load_ubyte v1, v0, s[8:9]
	v_mov_b32_e32 v5, v2
	v_mov_b32_e32 v6, v2
	;; [unrolled: 1-line block ×7, first 2 shown]
	s_waitcnt vmcnt(0)
	v_cmp_ne_u16_e32 vcc, 0, v1
	s_nop 1
	v_cndmask_b32_e64 v1, 0, 1, vcc
	v_and_b32_e32 v4, 0xffff, v1
	v_mov_b64_e32 v[2:3], v[4:5]
	v_mov_b64_e32 v[4:5], v[6:7]
	;; [unrolled: 1-line block ×4, first 2 shown]
.LBB27_619:
	s_or_b64 exec, exec, s[4:5]
	v_or_b32_e32 v1, 0x100, v0
	v_cmp_gt_u32_e32 vcc, s12, v1
	s_and_saveexec_b64 s[6:7], vcc
	s_cbranch_execz .LBB27_621
; %bb.620:
	global_load_ubyte v1, v0, s[8:9] offset:256
	s_mov_b32 s10, 0
	v_mov_b32_e32 v5, s10
	s_waitcnt vmcnt(0)
	v_cmp_ne_u16_e64 s[4:5], 0, v1
	s_nop 1
	v_cndmask_b32_e64 v4, 0, 1, s[4:5]
.LBB27_621:
	s_or_b64 exec, exec, s[6:7]
	v_or_b32_e32 v1, 0x200, v0
	v_cmp_gt_u32_e64 s[4:5], s12, v1
	s_and_saveexec_b64 s[10:11], s[4:5]
	s_cbranch_execz .LBB27_623
; %bb.622:
	global_load_ubyte v1, v0, s[8:9] offset:512
	s_mov_b32 s13, 0
	v_mov_b32_e32 v7, s13
	s_waitcnt vmcnt(0)
	v_cmp_ne_u16_e64 s[6:7], 0, v1
	s_nop 1
	v_cndmask_b32_e64 v6, 0, 1, s[6:7]
.LBB27_623:
	s_or_b64 exec, exec, s[10:11]
	v_or_b32_e32 v1, 0x300, v0
	v_cmp_gt_u32_e64 s[6:7], s12, v1
	s_and_saveexec_b64 s[10:11], s[6:7]
	s_cbranch_execz .LBB27_625
; %bb.624:
	global_load_ubyte v1, v0, s[8:9] offset:768
	s_mov_b32 s13, 0
	v_mov_b32_e32 v9, s13
	s_waitcnt vmcnt(0)
	v_cmp_ne_u16_e64 s[8:9], 0, v1
	s_nop 1
	v_cndmask_b32_e64 v8, 0, 1, s[8:9]
.LBB27_625:
	s_or_b64 exec, exec, s[10:11]
	v_cndmask_b32_e32 v5, 0, v5, vcc
	v_cndmask_b32_e32 v4, 0, v4, vcc
	v_mbcnt_lo_u32_b32 v1, -1, 0
	v_lshl_add_u64 v[2:3], v[4:5], 0, v[2:3]
	v_cndmask_b32_e64 v5, 0, v7, s[4:5]
	v_cndmask_b32_e64 v4, 0, v6, s[4:5]
	v_mbcnt_hi_u32_b32 v1, -1, v1
	v_lshl_add_u64 v[2:3], v[2:3], 0, v[4:5]
	v_cndmask_b32_e64 v5, 0, v9, s[6:7]
	v_cndmask_b32_e64 v4, 0, v8, s[6:7]
	v_and_b32_e32 v9, 63, v1
	v_lshl_add_u64 v[2:3], v[2:3], 0, v[4:5]
	s_min_u32 s8, s12, 0x100
	v_and_b32_e32 v4, 0xc0, v0
	v_cmp_ne_u32_e32 vcc, 63, v9
	v_sub_u32_e64 v8, s8, v4 clamp
	v_mov_b32_e32 v6, 0
	v_addc_co_u32_e32 v4, vcc, 0, v1, vcc
	v_lshlrev_b32_e32 v5, 2, v4
	ds_bpermute_b32 v4, v5, v2
	ds_bpermute_b32 v7, v5, v3
	v_add_u32_e32 v10, 1, v9
	v_mov_b32_e32 v5, v6
	v_cmp_lt_u32_e64 s[4:5], v10, v8
	s_waitcnt lgkmcnt(1)
	v_lshl_add_u64 v[4:5], v[2:3], 0, v[4:5]
	v_cmp_gt_u32_e32 vcc, 62, v9
	s_waitcnt lgkmcnt(0)
	v_lshl_add_u64 v[6:7], v[6:7], 0, v[4:5]
	v_cndmask_b32_e64 v12, v2, v4, s[4:5]
	v_cndmask_b32_e64 v4, 0, 2, vcc
	v_cndmask_b32_e64 v5, v3, v7, s[4:5]
	v_add_lshl_u32 v4, v4, v1, 2
	ds_bpermute_b32 v10, v4, v12
	ds_bpermute_b32 v11, v4, v5
	v_cndmask_b32_e64 v4, v2, v6, s[4:5]
	v_add_u32_e32 v13, 2, v9
	v_cmp_lt_u32_e32 vcc, v13, v8
	v_cmp_gt_u32_e64 s[6:7], 60, v9
	s_waitcnt lgkmcnt(0)
	v_lshl_add_u64 v[6:7], v[10:11], 0, v[4:5]
	v_cndmask_b32_e32 v5, v5, v7, vcc
	v_cndmask_b32_e64 v7, 0, 4, s[6:7]
	v_cndmask_b32_e32 v12, v12, v6, vcc
	v_add_lshl_u32 v7, v7, v1, 2
	ds_bpermute_b32 v10, v7, v12
	ds_bpermute_b32 v11, v7, v5
	v_cndmask_b32_e32 v4, v4, v6, vcc
	v_add_u32_e32 v13, 4, v9
	v_cmp_lt_u32_e32 vcc, v13, v8
	v_cmp_gt_u32_e64 s[6:7], 56, v9
	s_waitcnt lgkmcnt(0)
	v_lshl_add_u64 v[6:7], v[10:11], 0, v[4:5]
	v_cndmask_b32_e32 v5, v5, v7, vcc
	v_cndmask_b32_e64 v7, 0, 8, s[6:7]
	v_cndmask_b32_e32 v12, v12, v6, vcc
	v_add_lshl_u32 v7, v7, v1, 2
	ds_bpermute_b32 v10, v7, v12
	ds_bpermute_b32 v11, v7, v5
	v_cndmask_b32_e32 v4, v4, v6, vcc
	;; [unrolled: 12-line block ×3, first 2 shown]
	v_add_u32_e32 v13, 16, v9
	v_cmp_lt_u32_e32 vcc, v13, v8
	s_waitcnt lgkmcnt(0)
	v_lshl_add_u64 v[6:7], v[10:11], 0, v[4:5]
	v_lshlrev_b32_e32 v10, 2, v1
	v_cndmask_b32_e32 v13, v5, v7, vcc
	v_cndmask_b32_e32 v11, v12, v6, vcc
	v_or_b32_e32 v12, 0x80, v10
	ds_bpermute_b32 v11, v12, v11
	ds_bpermute_b32 v12, v12, v13
	s_and_saveexec_b64 s[6:7], s[4:5]
	s_cbranch_execz .LBB27_627
; %bb.626:
	v_add_u32_e32 v9, 32, v9
	v_cndmask_b32_e32 v3, v5, v7, vcc
	v_cndmask_b32_e32 v2, v4, v6, vcc
	v_cmp_lt_u32_e32 vcc, v9, v8
	s_waitcnt lgkmcnt(0)
	s_nop 0
	v_cndmask_b32_e32 v5, 0, v12, vcc
	v_cndmask_b32_e32 v4, 0, v11, vcc
	v_lshl_add_u64 v[2:3], v[4:5], 0, v[2:3]
.LBB27_627:
	s_or_b64 exec, exec, s[6:7]
	v_cmp_eq_u32_e32 vcc, 0, v1
	s_and_saveexec_b64 s[4:5], vcc
; %bb.628:
	v_lshrrev_b32_e32 v4, 3, v0
	v_and_b32_e32 v4, 24, v4
	ds_write_b64 v4, v[2:3] offset:256
; %bb.629:
	s_or_b64 exec, exec, s[4:5]
	v_cmp_gt_u32_e32 vcc, 4, v0
	s_waitcnt lgkmcnt(0)
	s_barrier
	s_and_saveexec_b64 s[4:5], vcc
	s_cbranch_execz .LBB27_633
; %bb.630:
	v_lshlrev_b32_e32 v2, 3, v1
	ds_read_b64 v[2:3], v2 offset:256
	v_and_b32_e32 v6, 3, v1
	v_cmp_ne_u32_e32 vcc, 3, v6
	v_mov_b32_e32 v8, 0
	s_add_i32 s8, s8, 63
	v_addc_co_u32_e32 v1, vcc, 0, v1, vcc
	v_lshlrev_b32_e32 v1, 2, v1
	s_waitcnt lgkmcnt(0)
	ds_bpermute_b32 v4, v1, v2
	ds_bpermute_b32 v9, v1, v3
	v_mov_b32_e32 v5, v8
	s_lshr_b32 s8, s8, 6
	v_add_u32_e32 v1, 1, v6
	s_waitcnt lgkmcnt(1)
	v_lshl_add_u64 v[12:13], v[2:3], 0, v[4:5]
	s_waitcnt lgkmcnt(0)
	v_lshl_add_u64 v[4:5], v[8:9], 0, v[12:13]
	v_cmp_gt_u32_e32 vcc, s8, v1
	v_or_b32_e32 v8, 8, v10
	s_nop 0
	v_cndmask_b32_e32 v7, v3, v5, vcc
	v_cndmask_b32_e32 v1, v2, v12, vcc
	ds_bpermute_b32 v1, v8, v1
	ds_bpermute_b32 v7, v8, v7
	s_and_saveexec_b64 s[6:7], vcc
	s_cbranch_execz .LBB27_632
; %bb.631:
	v_add_u32_e32 v2, 2, v6
	v_cmp_gt_u32_e32 vcc, s8, v2
	s_waitcnt lgkmcnt(0)
	s_nop 0
	v_cndmask_b32_e32 v3, 0, v7, vcc
	v_cndmask_b32_e32 v2, 0, v1, vcc
	v_lshl_add_u64 v[2:3], v[2:3], 0, v[4:5]
.LBB27_632:
	s_or_b64 exec, exec, s[6:7]
.LBB27_633:
	s_or_b64 exec, exec, s[4:5]
.LBB27_634:
	v_cmp_eq_u32_e64 s[4:5], 0, v0
	v_mov_b64_e32 v[4:5], s[2:3]
.LBB27_635:
	s_branch .LBB27_683
.LBB27_636:
	s_cmp_gt_i32 s33, 1
	s_cbranch_scc0 .LBB27_644
; %bb.637:
	s_cmp_eq_u32 s33, 2
                                        ; implicit-def: $vgpr2_vgpr3
                                        ; implicit-def: $vgpr4_vgpr5
	s_cbranch_scc0 .LBB27_645
; %bb.638:
	s_lshl_b32 s8, s2, 9
	s_lshr_b64 s[6:7], s[36:37], 9
	s_add_u32 s4, s40, s8
	s_mov_b32 s3, 0
	s_addc_u32 s5, s41, 0
	s_cmp_lg_u64 s[6:7], s[2:3]
	s_cbranch_scc0 .LBB27_646
; %bb.639:
	global_load_ubyte v2, v0, s[4:5]
	global_load_ubyte v5, v0, s[4:5] offset:256
	v_mov_b32_e32 v3, 0
	v_mov_b32_e32 v9, v3
	v_mov_b32_e32 v6, v3
	s_waitcnt lgkmcnt(0)
	v_mov_b32_dpp v7, v3 quad_perm:[1,0,3,2] row_mask:0xf bank_mask:0xf bound_ctrl:1
	v_mov_b32_e32 v10, v3
	v_mov_b32_e32 v12, v3
	;; [unrolled: 1-line block ×3, first 2 shown]
	v_mbcnt_lo_u32_b32 v1, -1, 0
	v_mov_b32_e32 v16, v3
	v_mbcnt_hi_u32_b32 v1, -1, v1
	v_lshlrev_b32_e32 v4, 2, v1
	v_or_b32_e32 v18, 0xfc, v4
	s_waitcnt vmcnt(1)
	v_cmp_ne_u16_e32 vcc, 0, v2
	s_nop 1
	v_cndmask_b32_e64 v2, 0, 1, vcc
	s_waitcnt vmcnt(0)
	v_cmp_ne_u16_e32 vcc, 0, v5
	s_nop 1
	v_addc_co_u32_e32 v2, vcc, 0, v2, vcc
	v_cmp_eq_u32_e32 vcc, 0, v1
	s_nop 0
	v_mov_b32_dpp v8, v2 quad_perm:[1,0,3,2] row_mask:0xf bank_mask:0xf bound_ctrl:1
	v_lshl_add_u64 v[8:9], v[2:3], 0, v[8:9]
	v_lshl_add_u64 v[6:7], v[6:7], 0, v[8:9]
	s_nop 0
	v_mov_b32_dpp v2, v8 quad_perm:[2,3,0,1] row_mask:0xf bank_mask:0xf bound_ctrl:1
	v_mov_b32_dpp v11, v7 quad_perm:[2,3,0,1] row_mask:0xf bank_mask:0xf bound_ctrl:1
	v_lshl_add_u64 v[6:7], v[6:7], 0, v[2:3]
	v_lshl_add_u64 v[8:9], v[6:7], 0, v[10:11]
	s_nop 0
	v_mov_b32_dpp v2, v6 row_ror:4 row_mask:0xf bank_mask:0xf bound_ctrl:1
	v_mov_b32_dpp v13, v9 row_ror:4 row_mask:0xf bank_mask:0xf bound_ctrl:1
	v_lshl_add_u64 v[6:7], v[8:9], 0, v[2:3]
	v_lshl_add_u64 v[8:9], v[6:7], 0, v[12:13]
	s_nop 0
	v_mov_b32_dpp v2, v6 row_ror:8 row_mask:0xf bank_mask:0xf bound_ctrl:1
	v_mov_b32_dpp v15, v9 row_ror:8 row_mask:0xf bank_mask:0xf bound_ctrl:1
	v_lshl_add_u64 v[6:7], v[8:9], 0, v[2:3]
	v_lshl_add_u64 v[8:9], v[6:7], 0, v[14:15]
	s_nop 0
	v_mov_b32_dpp v2, v6 row_bcast:15 row_mask:0xf bank_mask:0xf bound_ctrl:1
	v_mov_b32_dpp v17, v9 row_bcast:15 row_mask:0xf bank_mask:0xf bound_ctrl:1
	v_lshl_add_u64 v[6:7], v[8:9], 0, v[2:3]
	v_lshl_add_u64 v[8:9], v[6:7], 0, v[16:17]
	s_nop 0
	v_mov_b32_dpp v2, v6 row_bcast:31 row_mask:0xf bank_mask:0xf bound_ctrl:1
	v_lshl_add_u64 v[2:3], v[8:9], 0, v[2:3]
	ds_bpermute_b32 v2, v18, v2
	s_nop 0
	v_add_u32_dpp v3, v9, v3 row_bcast:31 row_mask:0xf bank_mask:0xf bound_ctrl:1
	ds_bpermute_b32 v3, v18, v3
	s_and_saveexec_b64 s[6:7], vcc
	s_cbranch_execz .LBB27_641
; %bb.640:
	v_lshrrev_b32_e32 v5, 3, v0
	v_and_b32_e32 v5, 24, v5
	s_waitcnt lgkmcnt(0)
	ds_write_b64 v5, v[2:3] offset:96
.LBB27_641:
	s_or_b64 exec, exec, s[6:7]
	v_cmp_gt_u32_e32 vcc, 64, v0
	s_waitcnt lgkmcnt(0)
	s_barrier
	s_and_saveexec_b64 s[6:7], vcc
	s_cbranch_execz .LBB27_643
; %bb.642:
	v_and_b32_e32 v5, 3, v1
	v_lshlrev_b32_e32 v2, 3, v5
	ds_read_b64 v[2:3], v2 offset:96
	v_cmp_ne_u32_e32 vcc, 3, v5
	v_mov_b32_e32 v8, 0
	v_mov_b32_e32 v7, v8
	v_addc_co_u32_e32 v1, vcc, 0, v1, vcc
	v_lshlrev_b32_e32 v1, 2, v1
	s_waitcnt lgkmcnt(0)
	ds_bpermute_b32 v6, v1, v2
	ds_bpermute_b32 v9, v1, v3
	v_or_b32_e32 v1, 8, v4
	s_waitcnt lgkmcnt(1)
	v_lshl_add_u64 v[2:3], v[2:3], 0, v[6:7]
	s_waitcnt lgkmcnt(0)
	v_lshl_add_u64 v[4:5], v[8:9], 0, v[2:3]
	ds_bpermute_b32 v2, v1, v2
	ds_bpermute_b32 v9, v1, v5
	v_mov_b32_e32 v3, v8
	s_waitcnt lgkmcnt(1)
	v_lshl_add_u64 v[2:3], v[4:5], 0, v[2:3]
	s_waitcnt lgkmcnt(0)
	v_lshl_add_u64 v[2:3], v[2:3], 0, v[8:9]
.LBB27_643:
	s_or_b64 exec, exec, s[6:7]
	s_mov_b64 s[6:7], 0
	s_branch .LBB27_647
.LBB27_644:
                                        ; implicit-def: $vgpr2_vgpr3
                                        ; implicit-def: $vgpr4_vgpr5
	s_cbranch_execnz .LBB27_662
	s_branch .LBB27_683
.LBB27_645:
	s_branch .LBB27_683
.LBB27_646:
	s_mov_b64 s[6:7], -1
                                        ; implicit-def: $vgpr2_vgpr3
.LBB27_647:
	s_and_b64 vcc, exec, s[6:7]
	s_cbranch_vccz .LBB27_661
; %bb.648:
	s_sub_i32 s8, s36, s8
	v_mov_b32_e32 v2, 0
	v_cmp_gt_u32_e32 vcc, s8, v0
	v_mov_b32_e32 v3, v2
	v_mov_b32_e32 v4, v2
	;; [unrolled: 1-line block ×3, first 2 shown]
	s_and_saveexec_b64 s[6:7], vcc
	s_cbranch_execz .LBB27_650
; %bb.649:
	s_waitcnt lgkmcnt(1)
	global_load_ubyte v1, v0, s[4:5]
	v_mov_b32_e32 v5, v2
	v_mov_b32_e32 v6, v2
	s_waitcnt lgkmcnt(0)
	v_mov_b32_e32 v7, v2
	s_waitcnt vmcnt(0)
	v_cmp_ne_u16_e32 vcc, 0, v1
	s_nop 1
	v_cndmask_b32_e64 v1, 0, 1, vcc
	v_and_b32_e32 v4, 0xffff, v1
	v_mov_b64_e32 v[2:3], v[4:5]
	v_mov_b64_e32 v[4:5], v[6:7]
.LBB27_650:
	s_or_b64 exec, exec, s[6:7]
	s_waitcnt lgkmcnt(1)
	v_or_b32_e32 v1, 0x100, v0
	v_cmp_gt_u32_e32 vcc, s8, v1
	s_and_saveexec_b64 s[6:7], vcc
	s_cbranch_execz .LBB27_652
; %bb.651:
	global_load_ubyte v1, v0, s[4:5] offset:256
	s_mov_b32 s9, 0
	v_mov_b32_e32 v5, s9
	s_waitcnt vmcnt(0)
	v_cmp_ne_u16_e64 s[4:5], 0, v1
	s_nop 1
	v_cndmask_b32_e64 v4, 0, 1, s[4:5]
.LBB27_652:
	s_or_b64 exec, exec, s[6:7]
	v_mbcnt_lo_u32_b32 v1, -1, 0
	v_mbcnt_hi_u32_b32 v1, -1, v1
	v_cndmask_b32_e32 v5, 0, v5, vcc
	v_cndmask_b32_e32 v4, 0, v4, vcc
	v_and_b32_e32 v9, 63, v1
	v_lshl_add_u64 v[2:3], v[4:5], 0, v[2:3]
	s_min_u32 s8, s8, 0x100
	v_and_b32_e32 v4, 0xc0, v0
	v_cmp_ne_u32_e32 vcc, 63, v9
	v_sub_u32_e64 v8, s8, v4 clamp
	v_mov_b32_e32 v6, 0
	v_addc_co_u32_e32 v4, vcc, 0, v1, vcc
	v_lshlrev_b32_e32 v5, 2, v4
	ds_bpermute_b32 v4, v5, v2
	s_waitcnt lgkmcnt(1)
	ds_bpermute_b32 v7, v5, v3
	v_add_u32_e32 v10, 1, v9
	v_mov_b32_e32 v5, v6
	v_cmp_lt_u32_e64 s[4:5], v10, v8
	s_waitcnt lgkmcnt(1)
	v_lshl_add_u64 v[4:5], v[2:3], 0, v[4:5]
	v_cmp_gt_u32_e32 vcc, 62, v9
	s_waitcnt lgkmcnt(0)
	v_lshl_add_u64 v[6:7], v[6:7], 0, v[4:5]
	v_cndmask_b32_e64 v12, v2, v4, s[4:5]
	v_cndmask_b32_e64 v4, 0, 2, vcc
	v_cndmask_b32_e64 v5, v3, v7, s[4:5]
	v_add_lshl_u32 v4, v4, v1, 2
	ds_bpermute_b32 v10, v4, v12
	ds_bpermute_b32 v11, v4, v5
	v_cndmask_b32_e64 v4, v2, v6, s[4:5]
	v_add_u32_e32 v13, 2, v9
	v_cmp_lt_u32_e32 vcc, v13, v8
	v_cmp_gt_u32_e64 s[6:7], 60, v9
	s_waitcnt lgkmcnt(0)
	v_lshl_add_u64 v[6:7], v[10:11], 0, v[4:5]
	v_cndmask_b32_e32 v5, v5, v7, vcc
	v_cndmask_b32_e64 v7, 0, 4, s[6:7]
	v_cndmask_b32_e32 v12, v12, v6, vcc
	v_add_lshl_u32 v7, v7, v1, 2
	ds_bpermute_b32 v10, v7, v12
	ds_bpermute_b32 v11, v7, v5
	v_cndmask_b32_e32 v4, v4, v6, vcc
	v_add_u32_e32 v13, 4, v9
	v_cmp_lt_u32_e32 vcc, v13, v8
	v_cmp_gt_u32_e64 s[6:7], 56, v9
	s_waitcnt lgkmcnt(0)
	v_lshl_add_u64 v[6:7], v[10:11], 0, v[4:5]
	v_cndmask_b32_e32 v5, v5, v7, vcc
	v_cndmask_b32_e64 v7, 0, 8, s[6:7]
	v_cndmask_b32_e32 v12, v12, v6, vcc
	v_add_lshl_u32 v7, v7, v1, 2
	ds_bpermute_b32 v10, v7, v12
	ds_bpermute_b32 v11, v7, v5
	v_cndmask_b32_e32 v4, v4, v6, vcc
	;; [unrolled: 12-line block ×3, first 2 shown]
	v_add_u32_e32 v13, 16, v9
	v_cmp_lt_u32_e32 vcc, v13, v8
	s_waitcnt lgkmcnt(0)
	v_lshl_add_u64 v[6:7], v[10:11], 0, v[4:5]
	v_lshlrev_b32_e32 v10, 2, v1
	v_cndmask_b32_e32 v13, v5, v7, vcc
	v_cndmask_b32_e32 v11, v12, v6, vcc
	v_or_b32_e32 v12, 0x80, v10
	ds_bpermute_b32 v11, v12, v11
	ds_bpermute_b32 v12, v12, v13
	s_and_saveexec_b64 s[6:7], s[4:5]
	s_cbranch_execz .LBB27_654
; %bb.653:
	v_add_u32_e32 v9, 32, v9
	v_cndmask_b32_e32 v3, v5, v7, vcc
	v_cndmask_b32_e32 v2, v4, v6, vcc
	v_cmp_lt_u32_e32 vcc, v9, v8
	s_waitcnt lgkmcnt(0)
	s_nop 0
	v_cndmask_b32_e32 v5, 0, v12, vcc
	v_cndmask_b32_e32 v4, 0, v11, vcc
	v_lshl_add_u64 v[2:3], v[4:5], 0, v[2:3]
.LBB27_654:
	s_or_b64 exec, exec, s[6:7]
	v_cmp_eq_u32_e32 vcc, 0, v1
	s_and_saveexec_b64 s[4:5], vcc
; %bb.655:
	v_lshrrev_b32_e32 v4, 3, v0
	v_and_b32_e32 v4, 24, v4
	ds_write_b64 v4, v[2:3] offset:256
; %bb.656:
	s_or_b64 exec, exec, s[4:5]
	v_cmp_gt_u32_e32 vcc, 4, v0
	s_waitcnt lgkmcnt(0)
	s_barrier
	s_and_saveexec_b64 s[4:5], vcc
	s_cbranch_execz .LBB27_660
; %bb.657:
	v_lshlrev_b32_e32 v2, 3, v1
	ds_read_b64 v[2:3], v2 offset:256
	v_and_b32_e32 v6, 3, v1
	v_cmp_ne_u32_e32 vcc, 3, v6
	v_mov_b32_e32 v8, 0
	s_add_i32 s8, s8, 63
	v_addc_co_u32_e32 v1, vcc, 0, v1, vcc
	v_lshlrev_b32_e32 v1, 2, v1
	s_waitcnt lgkmcnt(0)
	ds_bpermute_b32 v4, v1, v2
	ds_bpermute_b32 v9, v1, v3
	v_mov_b32_e32 v5, v8
	s_lshr_b32 s8, s8, 6
	v_add_u32_e32 v1, 1, v6
	s_waitcnt lgkmcnt(1)
	v_lshl_add_u64 v[12:13], v[2:3], 0, v[4:5]
	s_waitcnt lgkmcnt(0)
	v_lshl_add_u64 v[4:5], v[8:9], 0, v[12:13]
	v_cmp_gt_u32_e32 vcc, s8, v1
	v_or_b32_e32 v8, 8, v10
	s_nop 0
	v_cndmask_b32_e32 v7, v3, v5, vcc
	v_cndmask_b32_e32 v1, v2, v12, vcc
	ds_bpermute_b32 v1, v8, v1
	ds_bpermute_b32 v7, v8, v7
	s_and_saveexec_b64 s[6:7], vcc
	s_cbranch_execz .LBB27_659
; %bb.658:
	v_add_u32_e32 v2, 2, v6
	v_cmp_gt_u32_e32 vcc, s8, v2
	s_waitcnt lgkmcnt(0)
	s_nop 0
	v_cndmask_b32_e32 v3, 0, v7, vcc
	v_cndmask_b32_e32 v2, 0, v1, vcc
	v_lshl_add_u64 v[2:3], v[2:3], 0, v[4:5]
.LBB27_659:
	s_or_b64 exec, exec, s[6:7]
.LBB27_660:
	s_or_b64 exec, exec, s[4:5]
.LBB27_661:
	v_cmp_eq_u32_e64 s[4:5], 0, v0
	v_mov_b64_e32 v[4:5], s[2:3]
	s_branch .LBB27_683
.LBB27_662:
	s_cmp_eq_u32 s33, 1
                                        ; implicit-def: $vgpr2_vgpr3
                                        ; implicit-def: $vgpr4_vgpr5
	s_cbranch_scc0 .LBB27_683
; %bb.663:
	s_lshl_b32 s6, s2, 8
	s_mov_b32 s3, 0
	s_lshr_b64 s[4:5], s[36:37], 8
	s_cmp_lg_u64 s[4:5], s[2:3]
	s_waitcnt lgkmcnt(1)
	v_mbcnt_lo_u32_b32 v1, -1, 0
	s_cbranch_scc0 .LBB27_669
; %bb.664:
	s_add_u32 s4, s40, s6
	s_addc_u32 s5, s41, 0
	global_load_ubyte v2, v0, s[4:5]
	v_mov_b32_e32 v6, 0
	v_mov_b32_e32 v3, s3
	v_mov_b32_e32 v9, v6
	s_waitcnt lgkmcnt(0)
	v_mov_b32_dpp v7, v6 quad_perm:[1,0,3,2] row_mask:0xf bank_mask:0xf bound_ctrl:1
	v_mov_b32_e32 v11, v6
	v_mov_b32_e32 v13, v6
	;; [unrolled: 1-line block ×4, first 2 shown]
	v_mbcnt_hi_u32_b32 v4, -1, v1
	v_mov_b32_e32 v19, v6
	v_lshlrev_b32_e32 v5, 2, v4
	v_or_b32_e32 v20, 0xfc, v5
	s_waitcnt vmcnt(0)
	v_cmp_ne_u16_e32 vcc, 0, v2
	s_nop 1
	v_cndmask_b32_e64 v2, 0, 1, vcc
	v_cmp_eq_u32_e32 vcc, 0, v4
	s_nop 0
	v_mov_b32_dpp v8, v2 quad_perm:[1,0,3,2] row_mask:0xf bank_mask:0xf bound_ctrl:1
	v_lshl_add_u64 v[2:3], v[8:9], 0, v[2:3]
	v_lshl_add_u64 v[8:9], v[6:7], 0, v[2:3]
	s_nop 0
	v_mov_b32_dpp v10, v2 quad_perm:[2,3,0,1] row_mask:0xf bank_mask:0xf bound_ctrl:1
	v_mov_b32_dpp v7, v9 quad_perm:[2,3,0,1] row_mask:0xf bank_mask:0xf bound_ctrl:1
	v_lshl_add_u64 v[2:3], v[8:9], 0, v[10:11]
	v_lshl_add_u64 v[8:9], v[2:3], 0, v[6:7]
	s_nop 0
	v_mov_b32_dpp v12, v2 row_ror:4 row_mask:0xf bank_mask:0xf bound_ctrl:1
	v_mov_b32_dpp v7, v9 row_ror:4 row_mask:0xf bank_mask:0xf bound_ctrl:1
	v_lshl_add_u64 v[2:3], v[8:9], 0, v[12:13]
	v_lshl_add_u64 v[8:9], v[2:3], 0, v[6:7]
	s_nop 0
	v_mov_b32_dpp v14, v2 row_ror:8 row_mask:0xf bank_mask:0xf bound_ctrl:1
	v_mov_b32_dpp v7, v9 row_ror:8 row_mask:0xf bank_mask:0xf bound_ctrl:1
	v_lshl_add_u64 v[2:3], v[8:9], 0, v[14:15]
	v_lshl_add_u64 v[8:9], v[2:3], 0, v[6:7]
	s_nop 0
	v_mov_b32_dpp v16, v2 row_bcast:15 row_mask:0xf bank_mask:0xf bound_ctrl:1
	v_mov_b32_dpp v7, v9 row_bcast:15 row_mask:0xf bank_mask:0xf bound_ctrl:1
	v_lshl_add_u64 v[2:3], v[8:9], 0, v[16:17]
	v_lshl_add_u64 v[6:7], v[2:3], 0, v[6:7]
	s_nop 0
	v_mov_b32_dpp v18, v2 row_bcast:31 row_mask:0xf bank_mask:0xf bound_ctrl:1
	v_lshl_add_u64 v[2:3], v[6:7], 0, v[18:19]
	ds_bpermute_b32 v2, v20, v2
	s_nop 0
	v_add_u32_dpp v3, v7, v3 row_bcast:31 row_mask:0xf bank_mask:0xf bound_ctrl:1
	ds_bpermute_b32 v3, v20, v3
	s_and_saveexec_b64 s[4:5], vcc
	s_cbranch_execz .LBB27_666
; %bb.665:
	v_lshrrev_b32_e32 v6, 3, v0
	v_and_b32_e32 v6, 24, v6
	s_waitcnt lgkmcnt(0)
	ds_write_b64 v6, v[2:3] offset:64
.LBB27_666:
	s_or_b64 exec, exec, s[4:5]
	v_cmp_gt_u32_e32 vcc, 64, v0
	s_waitcnt lgkmcnt(0)
	s_barrier
	s_and_saveexec_b64 s[4:5], vcc
	s_cbranch_execz .LBB27_668
; %bb.667:
	v_and_b32_e32 v6, 3, v4
	v_lshlrev_b32_e32 v2, 3, v6
	ds_read_b64 v[2:3], v2 offset:64
	v_cmp_ne_u32_e32 vcc, 3, v6
	v_or_b32_e32 v8, 8, v5
	s_nop 0
	v_addc_co_u32_e32 v4, vcc, 0, v4, vcc
	v_lshlrev_b32_e32 v6, 2, v4
	s_waitcnt lgkmcnt(0)
	ds_bpermute_b32 v4, v6, v2
	ds_bpermute_b32 v7, v6, v3
	v_mov_b32_e32 v6, 0
	v_mov_b32_e32 v5, v6
	s_waitcnt lgkmcnt(1)
	v_lshl_add_u64 v[2:3], v[2:3], 0, v[4:5]
	s_waitcnt lgkmcnt(0)
	v_lshl_add_u64 v[4:5], v[6:7], 0, v[2:3]
	ds_bpermute_b32 v2, v8, v2
	ds_bpermute_b32 v7, v8, v5
	v_mov_b32_e32 v3, v6
	s_waitcnt lgkmcnt(1)
	v_lshl_add_u64 v[2:3], v[4:5], 0, v[2:3]
	s_waitcnt lgkmcnt(0)
	v_lshl_add_u64 v[2:3], v[2:3], 0, v[6:7]
.LBB27_668:
	s_or_b64 exec, exec, s[4:5]
	s_mov_b64 s[4:5], 0
	s_branch .LBB27_670
.LBB27_669:
	s_mov_b64 s[4:5], -1
                                        ; implicit-def: $vgpr2_vgpr3
.LBB27_670:
	s_and_b64 vcc, exec, s[4:5]
	s_cbranch_vccz .LBB27_682
; %bb.671:
	s_sub_i32 s7, s36, s6
	v_cmp_gt_u32_e32 vcc, s7, v0
                                        ; implicit-def: $vgpr2_vgpr3
	s_and_saveexec_b64 s[4:5], vcc
	s_cbranch_execz .LBB27_673
; %bb.672:
	s_add_u32 s8, s40, s6
	s_addc_u32 s9, s41, 0
	global_load_ubyte v2, v0, s[8:9]
	s_mov_b32 s6, 0
	v_mov_b32_e32 v3, s6
	s_waitcnt vmcnt(0)
	v_cmp_ne_u16_e32 vcc, 0, v2
	s_nop 1
	v_cndmask_b32_e64 v2, 0, 1, vcc
.LBB27_673:
	s_or_b64 exec, exec, s[4:5]
	v_mbcnt_hi_u32_b32 v1, -1, v1
	v_and_b32_e32 v9, 63, v1
	s_min_u32 s8, s7, 0x100
	v_and_b32_e32 v4, 0xc0, v0
	v_cmp_ne_u32_e32 vcc, 63, v9
	v_sub_u32_e64 v8, s8, v4 clamp
	v_mov_b32_e32 v6, 0
	v_addc_co_u32_e32 v4, vcc, 0, v1, vcc
	v_lshlrev_b32_e32 v5, 2, v4
	ds_bpermute_b32 v4, v5, v2
	s_waitcnt lgkmcnt(1)
	ds_bpermute_b32 v7, v5, v3
	v_add_u32_e32 v10, 1, v9
	v_mov_b32_e32 v5, v6
	v_cmp_lt_u32_e64 s[4:5], v10, v8
	s_waitcnt lgkmcnt(1)
	v_lshl_add_u64 v[4:5], v[2:3], 0, v[4:5]
	v_cmp_gt_u32_e32 vcc, 62, v9
	s_waitcnt lgkmcnt(0)
	v_lshl_add_u64 v[6:7], v[6:7], 0, v[4:5]
	v_cndmask_b32_e64 v12, v2, v4, s[4:5]
	v_cndmask_b32_e64 v4, 0, 2, vcc
	v_cndmask_b32_e64 v5, v3, v7, s[4:5]
	v_add_lshl_u32 v4, v4, v1, 2
	ds_bpermute_b32 v10, v4, v12
	ds_bpermute_b32 v11, v4, v5
	v_cndmask_b32_e64 v4, v2, v6, s[4:5]
	v_add_u32_e32 v13, 2, v9
	v_cmp_lt_u32_e32 vcc, v13, v8
	v_cmp_gt_u32_e64 s[6:7], 60, v9
	s_waitcnt lgkmcnt(0)
	v_lshl_add_u64 v[6:7], v[10:11], 0, v[4:5]
	v_cndmask_b32_e32 v5, v5, v7, vcc
	v_cndmask_b32_e64 v7, 0, 4, s[6:7]
	v_cndmask_b32_e32 v12, v12, v6, vcc
	v_add_lshl_u32 v7, v7, v1, 2
	ds_bpermute_b32 v10, v7, v12
	ds_bpermute_b32 v11, v7, v5
	v_cndmask_b32_e32 v4, v4, v6, vcc
	v_add_u32_e32 v13, 4, v9
	v_cmp_lt_u32_e32 vcc, v13, v8
	v_cmp_gt_u32_e64 s[6:7], 56, v9
	s_waitcnt lgkmcnt(0)
	v_lshl_add_u64 v[6:7], v[10:11], 0, v[4:5]
	v_cndmask_b32_e32 v5, v5, v7, vcc
	v_cndmask_b32_e64 v7, 0, 8, s[6:7]
	v_cndmask_b32_e32 v12, v12, v6, vcc
	v_add_lshl_u32 v7, v7, v1, 2
	ds_bpermute_b32 v10, v7, v12
	ds_bpermute_b32 v11, v7, v5
	v_cndmask_b32_e32 v4, v4, v6, vcc
	;; [unrolled: 12-line block ×3, first 2 shown]
	v_add_u32_e32 v13, 16, v9
	v_cmp_lt_u32_e32 vcc, v13, v8
	s_waitcnt lgkmcnt(0)
	v_lshl_add_u64 v[6:7], v[10:11], 0, v[4:5]
	v_lshlrev_b32_e32 v10, 2, v1
	v_cndmask_b32_e32 v13, v5, v7, vcc
	v_cndmask_b32_e32 v11, v12, v6, vcc
	v_or_b32_e32 v12, 0x80, v10
	ds_bpermute_b32 v11, v12, v11
	ds_bpermute_b32 v12, v12, v13
	s_and_saveexec_b64 s[6:7], s[4:5]
	s_cbranch_execz .LBB27_675
; %bb.674:
	v_add_u32_e32 v9, 32, v9
	v_cndmask_b32_e32 v3, v5, v7, vcc
	v_cndmask_b32_e32 v2, v4, v6, vcc
	v_cmp_lt_u32_e32 vcc, v9, v8
	s_waitcnt lgkmcnt(0)
	s_nop 0
	v_cndmask_b32_e32 v5, 0, v12, vcc
	v_cndmask_b32_e32 v4, 0, v11, vcc
	v_lshl_add_u64 v[2:3], v[4:5], 0, v[2:3]
.LBB27_675:
	s_or_b64 exec, exec, s[6:7]
	v_cmp_eq_u32_e32 vcc, 0, v1
	s_and_saveexec_b64 s[4:5], vcc
; %bb.676:
	v_lshrrev_b32_e32 v4, 3, v0
	v_and_b32_e32 v4, 24, v4
	ds_write_b64 v4, v[2:3] offset:256
; %bb.677:
	s_or_b64 exec, exec, s[4:5]
	v_cmp_gt_u32_e32 vcc, 4, v0
	s_waitcnt lgkmcnt(0)
	s_barrier
	s_and_saveexec_b64 s[4:5], vcc
	s_cbranch_execz .LBB27_681
; %bb.678:
	v_lshlrev_b32_e32 v2, 3, v1
	ds_read_b64 v[2:3], v2 offset:256
	v_and_b32_e32 v6, 3, v1
	v_cmp_ne_u32_e32 vcc, 3, v6
	v_mov_b32_e32 v8, 0
	s_add_i32 s8, s8, 63
	v_addc_co_u32_e32 v1, vcc, 0, v1, vcc
	v_lshlrev_b32_e32 v1, 2, v1
	s_waitcnt lgkmcnt(0)
	ds_bpermute_b32 v4, v1, v2
	ds_bpermute_b32 v9, v1, v3
	v_mov_b32_e32 v5, v8
	s_lshr_b32 s8, s8, 6
	v_add_u32_e32 v1, 1, v6
	s_waitcnt lgkmcnt(1)
	v_lshl_add_u64 v[12:13], v[2:3], 0, v[4:5]
	s_waitcnt lgkmcnt(0)
	v_lshl_add_u64 v[4:5], v[8:9], 0, v[12:13]
	v_cmp_gt_u32_e32 vcc, s8, v1
	v_or_b32_e32 v8, 8, v10
	s_nop 0
	v_cndmask_b32_e32 v7, v3, v5, vcc
	v_cndmask_b32_e32 v1, v2, v12, vcc
	ds_bpermute_b32 v1, v8, v1
	ds_bpermute_b32 v7, v8, v7
	s_and_saveexec_b64 s[6:7], vcc
	s_cbranch_execz .LBB27_680
; %bb.679:
	v_add_u32_e32 v2, 2, v6
	v_cmp_gt_u32_e32 vcc, s8, v2
	s_waitcnt lgkmcnt(0)
	s_nop 0
	v_cndmask_b32_e32 v3, 0, v7, vcc
	v_cndmask_b32_e32 v2, 0, v1, vcc
	v_lshl_add_u64 v[2:3], v[2:3], 0, v[4:5]
.LBB27_680:
	s_or_b64 exec, exec, s[6:7]
.LBB27_681:
	s_or_b64 exec, exec, s[4:5]
.LBB27_682:
	v_cmp_eq_u32_e64 s[4:5], 0, v0
	v_mov_b64_e32 v[4:5], s[2:3]
.LBB27_683:
	s_and_saveexec_b64 s[2:3], s[4:5]
	s_cbranch_execz .LBB27_685
; %bb.684:
	s_load_dwordx2 s[0:1], s[0:1], 0x28
	s_cmp_lg_u64 s[36:37], 0
	s_cselect_b64 vcc, -1, 0
	s_waitcnt lgkmcnt(0)
	v_lshlrev_b64 v[0:1], 3, v[4:5]
	v_cndmask_b32_e32 v3, 0, v3, vcc
	v_cndmask_b32_e32 v2, 0, v2, vcc
	v_lshl_add_u64 v[0:1], s[38:39], 0, v[0:1]
	v_lshl_add_u64 v[2:3], v[2:3], 0, s[0:1]
	global_store_dwordx2 v[0:1], v[2:3], off
.LBB27_685:
	s_endpgm
	.section	.rodata,"a",@progbits
	.p2align	6, 0x0
	.amdhsa_kernel _ZN7rocprim17ROCPRIM_400000_NS6detail17trampoline_kernelINS0_14default_configENS1_22reduce_config_selectorIbEEZNS1_11reduce_implILb1ES3_N6hipcub16HIPCUB_304000_NS22TransformInputIteratorIb7NonZeroIaEPalEEPllNS8_6detail34convert_binary_result_type_wrapperINS8_3SumESD_lEEEE10hipError_tPvRmT1_T2_T3_mT4_P12ihipStream_tbEUlT_E1_NS1_11comp_targetILNS1_3genE0ELNS1_11target_archE4294967295ELNS1_3gpuE0ELNS1_3repE0EEENS1_30default_config_static_selectorELNS0_4arch9wavefront6targetE1EEEvSM_
		.amdhsa_group_segment_fixed_size 288
		.amdhsa_private_segment_fixed_size 0
		.amdhsa_kernarg_size 56
		.amdhsa_user_sgpr_count 2
		.amdhsa_user_sgpr_dispatch_ptr 0
		.amdhsa_user_sgpr_queue_ptr 0
		.amdhsa_user_sgpr_kernarg_segment_ptr 1
		.amdhsa_user_sgpr_dispatch_id 0
		.amdhsa_user_sgpr_kernarg_preload_length 0
		.amdhsa_user_sgpr_kernarg_preload_offset 0
		.amdhsa_user_sgpr_private_segment_size 0
		.amdhsa_uses_dynamic_stack 0
		.amdhsa_enable_private_segment 0
		.amdhsa_system_sgpr_workgroup_id_x 1
		.amdhsa_system_sgpr_workgroup_id_y 0
		.amdhsa_system_sgpr_workgroup_id_z 0
		.amdhsa_system_sgpr_workgroup_info 0
		.amdhsa_system_vgpr_workitem_id 0
		.amdhsa_next_free_vgpr 260
		.amdhsa_next_free_sgpr 46
		.amdhsa_accum_offset 256
		.amdhsa_reserve_vcc 1
		.amdhsa_float_round_mode_32 0
		.amdhsa_float_round_mode_16_64 0
		.amdhsa_float_denorm_mode_32 3
		.amdhsa_float_denorm_mode_16_64 3
		.amdhsa_dx10_clamp 1
		.amdhsa_ieee_mode 1
		.amdhsa_fp16_overflow 0
		.amdhsa_tg_split 0
		.amdhsa_exception_fp_ieee_invalid_op 0
		.amdhsa_exception_fp_denorm_src 0
		.amdhsa_exception_fp_ieee_div_zero 0
		.amdhsa_exception_fp_ieee_overflow 0
		.amdhsa_exception_fp_ieee_underflow 0
		.amdhsa_exception_fp_ieee_inexact 0
		.amdhsa_exception_int_div_zero 0
	.end_amdhsa_kernel
	.section	.text._ZN7rocprim17ROCPRIM_400000_NS6detail17trampoline_kernelINS0_14default_configENS1_22reduce_config_selectorIbEEZNS1_11reduce_implILb1ES3_N6hipcub16HIPCUB_304000_NS22TransformInputIteratorIb7NonZeroIaEPalEEPllNS8_6detail34convert_binary_result_type_wrapperINS8_3SumESD_lEEEE10hipError_tPvRmT1_T2_T3_mT4_P12ihipStream_tbEUlT_E1_NS1_11comp_targetILNS1_3genE0ELNS1_11target_archE4294967295ELNS1_3gpuE0ELNS1_3repE0EEENS1_30default_config_static_selectorELNS0_4arch9wavefront6targetE1EEEvSM_,"axG",@progbits,_ZN7rocprim17ROCPRIM_400000_NS6detail17trampoline_kernelINS0_14default_configENS1_22reduce_config_selectorIbEEZNS1_11reduce_implILb1ES3_N6hipcub16HIPCUB_304000_NS22TransformInputIteratorIb7NonZeroIaEPalEEPllNS8_6detail34convert_binary_result_type_wrapperINS8_3SumESD_lEEEE10hipError_tPvRmT1_T2_T3_mT4_P12ihipStream_tbEUlT_E1_NS1_11comp_targetILNS1_3genE0ELNS1_11target_archE4294967295ELNS1_3gpuE0ELNS1_3repE0EEENS1_30default_config_static_selectorELNS0_4arch9wavefront6targetE1EEEvSM_,comdat
.Lfunc_end27:
	.size	_ZN7rocprim17ROCPRIM_400000_NS6detail17trampoline_kernelINS0_14default_configENS1_22reduce_config_selectorIbEEZNS1_11reduce_implILb1ES3_N6hipcub16HIPCUB_304000_NS22TransformInputIteratorIb7NonZeroIaEPalEEPllNS8_6detail34convert_binary_result_type_wrapperINS8_3SumESD_lEEEE10hipError_tPvRmT1_T2_T3_mT4_P12ihipStream_tbEUlT_E1_NS1_11comp_targetILNS1_3genE0ELNS1_11target_archE4294967295ELNS1_3gpuE0ELNS1_3repE0EEENS1_30default_config_static_selectorELNS0_4arch9wavefront6targetE1EEEvSM_, .Lfunc_end27-_ZN7rocprim17ROCPRIM_400000_NS6detail17trampoline_kernelINS0_14default_configENS1_22reduce_config_selectorIbEEZNS1_11reduce_implILb1ES3_N6hipcub16HIPCUB_304000_NS22TransformInputIteratorIb7NonZeroIaEPalEEPllNS8_6detail34convert_binary_result_type_wrapperINS8_3SumESD_lEEEE10hipError_tPvRmT1_T2_T3_mT4_P12ihipStream_tbEUlT_E1_NS1_11comp_targetILNS1_3genE0ELNS1_11target_archE4294967295ELNS1_3gpuE0ELNS1_3repE0EEENS1_30default_config_static_selectorELNS0_4arch9wavefront6targetE1EEEvSM_
                                        ; -- End function
	.set _ZN7rocprim17ROCPRIM_400000_NS6detail17trampoline_kernelINS0_14default_configENS1_22reduce_config_selectorIbEEZNS1_11reduce_implILb1ES3_N6hipcub16HIPCUB_304000_NS22TransformInputIteratorIb7NonZeroIaEPalEEPllNS8_6detail34convert_binary_result_type_wrapperINS8_3SumESD_lEEEE10hipError_tPvRmT1_T2_T3_mT4_P12ihipStream_tbEUlT_E1_NS1_11comp_targetILNS1_3genE0ELNS1_11target_archE4294967295ELNS1_3gpuE0ELNS1_3repE0EEENS1_30default_config_static_selectorELNS0_4arch9wavefront6targetE1EEEvSM_.num_vgpr, 256
	.set _ZN7rocprim17ROCPRIM_400000_NS6detail17trampoline_kernelINS0_14default_configENS1_22reduce_config_selectorIbEEZNS1_11reduce_implILb1ES3_N6hipcub16HIPCUB_304000_NS22TransformInputIteratorIb7NonZeroIaEPalEEPllNS8_6detail34convert_binary_result_type_wrapperINS8_3SumESD_lEEEE10hipError_tPvRmT1_T2_T3_mT4_P12ihipStream_tbEUlT_E1_NS1_11comp_targetILNS1_3genE0ELNS1_11target_archE4294967295ELNS1_3gpuE0ELNS1_3repE0EEENS1_30default_config_static_selectorELNS0_4arch9wavefront6targetE1EEEvSM_.num_agpr, 4
	.set _ZN7rocprim17ROCPRIM_400000_NS6detail17trampoline_kernelINS0_14default_configENS1_22reduce_config_selectorIbEEZNS1_11reduce_implILb1ES3_N6hipcub16HIPCUB_304000_NS22TransformInputIteratorIb7NonZeroIaEPalEEPllNS8_6detail34convert_binary_result_type_wrapperINS8_3SumESD_lEEEE10hipError_tPvRmT1_T2_T3_mT4_P12ihipStream_tbEUlT_E1_NS1_11comp_targetILNS1_3genE0ELNS1_11target_archE4294967295ELNS1_3gpuE0ELNS1_3repE0EEENS1_30default_config_static_selectorELNS0_4arch9wavefront6targetE1EEEvSM_.numbered_sgpr, 46
	.set _ZN7rocprim17ROCPRIM_400000_NS6detail17trampoline_kernelINS0_14default_configENS1_22reduce_config_selectorIbEEZNS1_11reduce_implILb1ES3_N6hipcub16HIPCUB_304000_NS22TransformInputIteratorIb7NonZeroIaEPalEEPllNS8_6detail34convert_binary_result_type_wrapperINS8_3SumESD_lEEEE10hipError_tPvRmT1_T2_T3_mT4_P12ihipStream_tbEUlT_E1_NS1_11comp_targetILNS1_3genE0ELNS1_11target_archE4294967295ELNS1_3gpuE0ELNS1_3repE0EEENS1_30default_config_static_selectorELNS0_4arch9wavefront6targetE1EEEvSM_.num_named_barrier, 0
	.set _ZN7rocprim17ROCPRIM_400000_NS6detail17trampoline_kernelINS0_14default_configENS1_22reduce_config_selectorIbEEZNS1_11reduce_implILb1ES3_N6hipcub16HIPCUB_304000_NS22TransformInputIteratorIb7NonZeroIaEPalEEPllNS8_6detail34convert_binary_result_type_wrapperINS8_3SumESD_lEEEE10hipError_tPvRmT1_T2_T3_mT4_P12ihipStream_tbEUlT_E1_NS1_11comp_targetILNS1_3genE0ELNS1_11target_archE4294967295ELNS1_3gpuE0ELNS1_3repE0EEENS1_30default_config_static_selectorELNS0_4arch9wavefront6targetE1EEEvSM_.private_seg_size, 0
	.set _ZN7rocprim17ROCPRIM_400000_NS6detail17trampoline_kernelINS0_14default_configENS1_22reduce_config_selectorIbEEZNS1_11reduce_implILb1ES3_N6hipcub16HIPCUB_304000_NS22TransformInputIteratorIb7NonZeroIaEPalEEPllNS8_6detail34convert_binary_result_type_wrapperINS8_3SumESD_lEEEE10hipError_tPvRmT1_T2_T3_mT4_P12ihipStream_tbEUlT_E1_NS1_11comp_targetILNS1_3genE0ELNS1_11target_archE4294967295ELNS1_3gpuE0ELNS1_3repE0EEENS1_30default_config_static_selectorELNS0_4arch9wavefront6targetE1EEEvSM_.uses_vcc, 1
	.set _ZN7rocprim17ROCPRIM_400000_NS6detail17trampoline_kernelINS0_14default_configENS1_22reduce_config_selectorIbEEZNS1_11reduce_implILb1ES3_N6hipcub16HIPCUB_304000_NS22TransformInputIteratorIb7NonZeroIaEPalEEPllNS8_6detail34convert_binary_result_type_wrapperINS8_3SumESD_lEEEE10hipError_tPvRmT1_T2_T3_mT4_P12ihipStream_tbEUlT_E1_NS1_11comp_targetILNS1_3genE0ELNS1_11target_archE4294967295ELNS1_3gpuE0ELNS1_3repE0EEENS1_30default_config_static_selectorELNS0_4arch9wavefront6targetE1EEEvSM_.uses_flat_scratch, 0
	.set _ZN7rocprim17ROCPRIM_400000_NS6detail17trampoline_kernelINS0_14default_configENS1_22reduce_config_selectorIbEEZNS1_11reduce_implILb1ES3_N6hipcub16HIPCUB_304000_NS22TransformInputIteratorIb7NonZeroIaEPalEEPllNS8_6detail34convert_binary_result_type_wrapperINS8_3SumESD_lEEEE10hipError_tPvRmT1_T2_T3_mT4_P12ihipStream_tbEUlT_E1_NS1_11comp_targetILNS1_3genE0ELNS1_11target_archE4294967295ELNS1_3gpuE0ELNS1_3repE0EEENS1_30default_config_static_selectorELNS0_4arch9wavefront6targetE1EEEvSM_.has_dyn_sized_stack, 0
	.set _ZN7rocprim17ROCPRIM_400000_NS6detail17trampoline_kernelINS0_14default_configENS1_22reduce_config_selectorIbEEZNS1_11reduce_implILb1ES3_N6hipcub16HIPCUB_304000_NS22TransformInputIteratorIb7NonZeroIaEPalEEPllNS8_6detail34convert_binary_result_type_wrapperINS8_3SumESD_lEEEE10hipError_tPvRmT1_T2_T3_mT4_P12ihipStream_tbEUlT_E1_NS1_11comp_targetILNS1_3genE0ELNS1_11target_archE4294967295ELNS1_3gpuE0ELNS1_3repE0EEENS1_30default_config_static_selectorELNS0_4arch9wavefront6targetE1EEEvSM_.has_recursion, 0
	.set _ZN7rocprim17ROCPRIM_400000_NS6detail17trampoline_kernelINS0_14default_configENS1_22reduce_config_selectorIbEEZNS1_11reduce_implILb1ES3_N6hipcub16HIPCUB_304000_NS22TransformInputIteratorIb7NonZeroIaEPalEEPllNS8_6detail34convert_binary_result_type_wrapperINS8_3SumESD_lEEEE10hipError_tPvRmT1_T2_T3_mT4_P12ihipStream_tbEUlT_E1_NS1_11comp_targetILNS1_3genE0ELNS1_11target_archE4294967295ELNS1_3gpuE0ELNS1_3repE0EEENS1_30default_config_static_selectorELNS0_4arch9wavefront6targetE1EEEvSM_.has_indirect_call, 0
	.section	.AMDGPU.csdata,"",@progbits
; Kernel info:
; codeLenInByte = 39640
; TotalNumSgprs: 52
; NumVgprs: 256
; NumAgprs: 4
; TotalNumVgprs: 260
; ScratchSize: 0
; MemoryBound: 0
; FloatMode: 240
; IeeeMode: 1
; LDSByteSize: 288 bytes/workgroup (compile time only)
; SGPRBlocks: 6
; VGPRBlocks: 32
; NumSGPRsForWavesPerEU: 52
; NumVGPRsForWavesPerEU: 260
; AccumOffset: 256
; Occupancy: 1
; WaveLimiterHint : 1
; COMPUTE_PGM_RSRC2:SCRATCH_EN: 0
; COMPUTE_PGM_RSRC2:USER_SGPR: 2
; COMPUTE_PGM_RSRC2:TRAP_HANDLER: 0
; COMPUTE_PGM_RSRC2:TGID_X_EN: 1
; COMPUTE_PGM_RSRC2:TGID_Y_EN: 0
; COMPUTE_PGM_RSRC2:TGID_Z_EN: 0
; COMPUTE_PGM_RSRC2:TIDIG_COMP_CNT: 0
; COMPUTE_PGM_RSRC3_GFX90A:ACCUM_OFFSET: 63
; COMPUTE_PGM_RSRC3_GFX90A:TG_SPLIT: 0
	.section	.text._ZN7rocprim17ROCPRIM_400000_NS6detail17trampoline_kernelINS0_14default_configENS1_22reduce_config_selectorIbEEZNS1_11reduce_implILb1ES3_N6hipcub16HIPCUB_304000_NS22TransformInputIteratorIb7NonZeroIaEPalEEPllNS8_6detail34convert_binary_result_type_wrapperINS8_3SumESD_lEEEE10hipError_tPvRmT1_T2_T3_mT4_P12ihipStream_tbEUlT_E1_NS1_11comp_targetILNS1_3genE5ELNS1_11target_archE942ELNS1_3gpuE9ELNS1_3repE0EEENS1_30default_config_static_selectorELNS0_4arch9wavefront6targetE1EEEvSM_,"axG",@progbits,_ZN7rocprim17ROCPRIM_400000_NS6detail17trampoline_kernelINS0_14default_configENS1_22reduce_config_selectorIbEEZNS1_11reduce_implILb1ES3_N6hipcub16HIPCUB_304000_NS22TransformInputIteratorIb7NonZeroIaEPalEEPllNS8_6detail34convert_binary_result_type_wrapperINS8_3SumESD_lEEEE10hipError_tPvRmT1_T2_T3_mT4_P12ihipStream_tbEUlT_E1_NS1_11comp_targetILNS1_3genE5ELNS1_11target_archE942ELNS1_3gpuE9ELNS1_3repE0EEENS1_30default_config_static_selectorELNS0_4arch9wavefront6targetE1EEEvSM_,comdat
	.protected	_ZN7rocprim17ROCPRIM_400000_NS6detail17trampoline_kernelINS0_14default_configENS1_22reduce_config_selectorIbEEZNS1_11reduce_implILb1ES3_N6hipcub16HIPCUB_304000_NS22TransformInputIteratorIb7NonZeroIaEPalEEPllNS8_6detail34convert_binary_result_type_wrapperINS8_3SumESD_lEEEE10hipError_tPvRmT1_T2_T3_mT4_P12ihipStream_tbEUlT_E1_NS1_11comp_targetILNS1_3genE5ELNS1_11target_archE942ELNS1_3gpuE9ELNS1_3repE0EEENS1_30default_config_static_selectorELNS0_4arch9wavefront6targetE1EEEvSM_ ; -- Begin function _ZN7rocprim17ROCPRIM_400000_NS6detail17trampoline_kernelINS0_14default_configENS1_22reduce_config_selectorIbEEZNS1_11reduce_implILb1ES3_N6hipcub16HIPCUB_304000_NS22TransformInputIteratorIb7NonZeroIaEPalEEPllNS8_6detail34convert_binary_result_type_wrapperINS8_3SumESD_lEEEE10hipError_tPvRmT1_T2_T3_mT4_P12ihipStream_tbEUlT_E1_NS1_11comp_targetILNS1_3genE5ELNS1_11target_archE942ELNS1_3gpuE9ELNS1_3repE0EEENS1_30default_config_static_selectorELNS0_4arch9wavefront6targetE1EEEvSM_
	.globl	_ZN7rocprim17ROCPRIM_400000_NS6detail17trampoline_kernelINS0_14default_configENS1_22reduce_config_selectorIbEEZNS1_11reduce_implILb1ES3_N6hipcub16HIPCUB_304000_NS22TransformInputIteratorIb7NonZeroIaEPalEEPllNS8_6detail34convert_binary_result_type_wrapperINS8_3SumESD_lEEEE10hipError_tPvRmT1_T2_T3_mT4_P12ihipStream_tbEUlT_E1_NS1_11comp_targetILNS1_3genE5ELNS1_11target_archE942ELNS1_3gpuE9ELNS1_3repE0EEENS1_30default_config_static_selectorELNS0_4arch9wavefront6targetE1EEEvSM_
	.p2align	8
	.type	_ZN7rocprim17ROCPRIM_400000_NS6detail17trampoline_kernelINS0_14default_configENS1_22reduce_config_selectorIbEEZNS1_11reduce_implILb1ES3_N6hipcub16HIPCUB_304000_NS22TransformInputIteratorIb7NonZeroIaEPalEEPllNS8_6detail34convert_binary_result_type_wrapperINS8_3SumESD_lEEEE10hipError_tPvRmT1_T2_T3_mT4_P12ihipStream_tbEUlT_E1_NS1_11comp_targetILNS1_3genE5ELNS1_11target_archE942ELNS1_3gpuE9ELNS1_3repE0EEENS1_30default_config_static_selectorELNS0_4arch9wavefront6targetE1EEEvSM_,@function
_ZN7rocprim17ROCPRIM_400000_NS6detail17trampoline_kernelINS0_14default_configENS1_22reduce_config_selectorIbEEZNS1_11reduce_implILb1ES3_N6hipcub16HIPCUB_304000_NS22TransformInputIteratorIb7NonZeroIaEPalEEPllNS8_6detail34convert_binary_result_type_wrapperINS8_3SumESD_lEEEE10hipError_tPvRmT1_T2_T3_mT4_P12ihipStream_tbEUlT_E1_NS1_11comp_targetILNS1_3genE5ELNS1_11target_archE942ELNS1_3gpuE9ELNS1_3repE0EEENS1_30default_config_static_selectorELNS0_4arch9wavefront6targetE1EEEvSM_: ; @_ZN7rocprim17ROCPRIM_400000_NS6detail17trampoline_kernelINS0_14default_configENS1_22reduce_config_selectorIbEEZNS1_11reduce_implILb1ES3_N6hipcub16HIPCUB_304000_NS22TransformInputIteratorIb7NonZeroIaEPalEEPllNS8_6detail34convert_binary_result_type_wrapperINS8_3SumESD_lEEEE10hipError_tPvRmT1_T2_T3_mT4_P12ihipStream_tbEUlT_E1_NS1_11comp_targetILNS1_3genE5ELNS1_11target_archE942ELNS1_3gpuE9ELNS1_3repE0EEENS1_30default_config_static_selectorELNS0_4arch9wavefront6targetE1EEEvSM_
; %bb.0:
	.section	.rodata,"a",@progbits
	.p2align	6, 0x0
	.amdhsa_kernel _ZN7rocprim17ROCPRIM_400000_NS6detail17trampoline_kernelINS0_14default_configENS1_22reduce_config_selectorIbEEZNS1_11reduce_implILb1ES3_N6hipcub16HIPCUB_304000_NS22TransformInputIteratorIb7NonZeroIaEPalEEPllNS8_6detail34convert_binary_result_type_wrapperINS8_3SumESD_lEEEE10hipError_tPvRmT1_T2_T3_mT4_P12ihipStream_tbEUlT_E1_NS1_11comp_targetILNS1_3genE5ELNS1_11target_archE942ELNS1_3gpuE9ELNS1_3repE0EEENS1_30default_config_static_selectorELNS0_4arch9wavefront6targetE1EEEvSM_
		.amdhsa_group_segment_fixed_size 0
		.amdhsa_private_segment_fixed_size 0
		.amdhsa_kernarg_size 56
		.amdhsa_user_sgpr_count 2
		.amdhsa_user_sgpr_dispatch_ptr 0
		.amdhsa_user_sgpr_queue_ptr 0
		.amdhsa_user_sgpr_kernarg_segment_ptr 1
		.amdhsa_user_sgpr_dispatch_id 0
		.amdhsa_user_sgpr_kernarg_preload_length 0
		.amdhsa_user_sgpr_kernarg_preload_offset 0
		.amdhsa_user_sgpr_private_segment_size 0
		.amdhsa_uses_dynamic_stack 0
		.amdhsa_enable_private_segment 0
		.amdhsa_system_sgpr_workgroup_id_x 1
		.amdhsa_system_sgpr_workgroup_id_y 0
		.amdhsa_system_sgpr_workgroup_id_z 0
		.amdhsa_system_sgpr_workgroup_info 0
		.amdhsa_system_vgpr_workitem_id 0
		.amdhsa_next_free_vgpr 1
		.amdhsa_next_free_sgpr 0
		.amdhsa_accum_offset 4
		.amdhsa_reserve_vcc 0
		.amdhsa_float_round_mode_32 0
		.amdhsa_float_round_mode_16_64 0
		.amdhsa_float_denorm_mode_32 3
		.amdhsa_float_denorm_mode_16_64 3
		.amdhsa_dx10_clamp 1
		.amdhsa_ieee_mode 1
		.amdhsa_fp16_overflow 0
		.amdhsa_tg_split 0
		.amdhsa_exception_fp_ieee_invalid_op 0
		.amdhsa_exception_fp_denorm_src 0
		.amdhsa_exception_fp_ieee_div_zero 0
		.amdhsa_exception_fp_ieee_overflow 0
		.amdhsa_exception_fp_ieee_underflow 0
		.amdhsa_exception_fp_ieee_inexact 0
		.amdhsa_exception_int_div_zero 0
	.end_amdhsa_kernel
	.section	.text._ZN7rocprim17ROCPRIM_400000_NS6detail17trampoline_kernelINS0_14default_configENS1_22reduce_config_selectorIbEEZNS1_11reduce_implILb1ES3_N6hipcub16HIPCUB_304000_NS22TransformInputIteratorIb7NonZeroIaEPalEEPllNS8_6detail34convert_binary_result_type_wrapperINS8_3SumESD_lEEEE10hipError_tPvRmT1_T2_T3_mT4_P12ihipStream_tbEUlT_E1_NS1_11comp_targetILNS1_3genE5ELNS1_11target_archE942ELNS1_3gpuE9ELNS1_3repE0EEENS1_30default_config_static_selectorELNS0_4arch9wavefront6targetE1EEEvSM_,"axG",@progbits,_ZN7rocprim17ROCPRIM_400000_NS6detail17trampoline_kernelINS0_14default_configENS1_22reduce_config_selectorIbEEZNS1_11reduce_implILb1ES3_N6hipcub16HIPCUB_304000_NS22TransformInputIteratorIb7NonZeroIaEPalEEPllNS8_6detail34convert_binary_result_type_wrapperINS8_3SumESD_lEEEE10hipError_tPvRmT1_T2_T3_mT4_P12ihipStream_tbEUlT_E1_NS1_11comp_targetILNS1_3genE5ELNS1_11target_archE942ELNS1_3gpuE9ELNS1_3repE0EEENS1_30default_config_static_selectorELNS0_4arch9wavefront6targetE1EEEvSM_,comdat
.Lfunc_end28:
	.size	_ZN7rocprim17ROCPRIM_400000_NS6detail17trampoline_kernelINS0_14default_configENS1_22reduce_config_selectorIbEEZNS1_11reduce_implILb1ES3_N6hipcub16HIPCUB_304000_NS22TransformInputIteratorIb7NonZeroIaEPalEEPllNS8_6detail34convert_binary_result_type_wrapperINS8_3SumESD_lEEEE10hipError_tPvRmT1_T2_T3_mT4_P12ihipStream_tbEUlT_E1_NS1_11comp_targetILNS1_3genE5ELNS1_11target_archE942ELNS1_3gpuE9ELNS1_3repE0EEENS1_30default_config_static_selectorELNS0_4arch9wavefront6targetE1EEEvSM_, .Lfunc_end28-_ZN7rocprim17ROCPRIM_400000_NS6detail17trampoline_kernelINS0_14default_configENS1_22reduce_config_selectorIbEEZNS1_11reduce_implILb1ES3_N6hipcub16HIPCUB_304000_NS22TransformInputIteratorIb7NonZeroIaEPalEEPllNS8_6detail34convert_binary_result_type_wrapperINS8_3SumESD_lEEEE10hipError_tPvRmT1_T2_T3_mT4_P12ihipStream_tbEUlT_E1_NS1_11comp_targetILNS1_3genE5ELNS1_11target_archE942ELNS1_3gpuE9ELNS1_3repE0EEENS1_30default_config_static_selectorELNS0_4arch9wavefront6targetE1EEEvSM_
                                        ; -- End function
	.set _ZN7rocprim17ROCPRIM_400000_NS6detail17trampoline_kernelINS0_14default_configENS1_22reduce_config_selectorIbEEZNS1_11reduce_implILb1ES3_N6hipcub16HIPCUB_304000_NS22TransformInputIteratorIb7NonZeroIaEPalEEPllNS8_6detail34convert_binary_result_type_wrapperINS8_3SumESD_lEEEE10hipError_tPvRmT1_T2_T3_mT4_P12ihipStream_tbEUlT_E1_NS1_11comp_targetILNS1_3genE5ELNS1_11target_archE942ELNS1_3gpuE9ELNS1_3repE0EEENS1_30default_config_static_selectorELNS0_4arch9wavefront6targetE1EEEvSM_.num_vgpr, 0
	.set _ZN7rocprim17ROCPRIM_400000_NS6detail17trampoline_kernelINS0_14default_configENS1_22reduce_config_selectorIbEEZNS1_11reduce_implILb1ES3_N6hipcub16HIPCUB_304000_NS22TransformInputIteratorIb7NonZeroIaEPalEEPllNS8_6detail34convert_binary_result_type_wrapperINS8_3SumESD_lEEEE10hipError_tPvRmT1_T2_T3_mT4_P12ihipStream_tbEUlT_E1_NS1_11comp_targetILNS1_3genE5ELNS1_11target_archE942ELNS1_3gpuE9ELNS1_3repE0EEENS1_30default_config_static_selectorELNS0_4arch9wavefront6targetE1EEEvSM_.num_agpr, 0
	.set _ZN7rocprim17ROCPRIM_400000_NS6detail17trampoline_kernelINS0_14default_configENS1_22reduce_config_selectorIbEEZNS1_11reduce_implILb1ES3_N6hipcub16HIPCUB_304000_NS22TransformInputIteratorIb7NonZeroIaEPalEEPllNS8_6detail34convert_binary_result_type_wrapperINS8_3SumESD_lEEEE10hipError_tPvRmT1_T2_T3_mT4_P12ihipStream_tbEUlT_E1_NS1_11comp_targetILNS1_3genE5ELNS1_11target_archE942ELNS1_3gpuE9ELNS1_3repE0EEENS1_30default_config_static_selectorELNS0_4arch9wavefront6targetE1EEEvSM_.numbered_sgpr, 0
	.set _ZN7rocprim17ROCPRIM_400000_NS6detail17trampoline_kernelINS0_14default_configENS1_22reduce_config_selectorIbEEZNS1_11reduce_implILb1ES3_N6hipcub16HIPCUB_304000_NS22TransformInputIteratorIb7NonZeroIaEPalEEPllNS8_6detail34convert_binary_result_type_wrapperINS8_3SumESD_lEEEE10hipError_tPvRmT1_T2_T3_mT4_P12ihipStream_tbEUlT_E1_NS1_11comp_targetILNS1_3genE5ELNS1_11target_archE942ELNS1_3gpuE9ELNS1_3repE0EEENS1_30default_config_static_selectorELNS0_4arch9wavefront6targetE1EEEvSM_.num_named_barrier, 0
	.set _ZN7rocprim17ROCPRIM_400000_NS6detail17trampoline_kernelINS0_14default_configENS1_22reduce_config_selectorIbEEZNS1_11reduce_implILb1ES3_N6hipcub16HIPCUB_304000_NS22TransformInputIteratorIb7NonZeroIaEPalEEPllNS8_6detail34convert_binary_result_type_wrapperINS8_3SumESD_lEEEE10hipError_tPvRmT1_T2_T3_mT4_P12ihipStream_tbEUlT_E1_NS1_11comp_targetILNS1_3genE5ELNS1_11target_archE942ELNS1_3gpuE9ELNS1_3repE0EEENS1_30default_config_static_selectorELNS0_4arch9wavefront6targetE1EEEvSM_.private_seg_size, 0
	.set _ZN7rocprim17ROCPRIM_400000_NS6detail17trampoline_kernelINS0_14default_configENS1_22reduce_config_selectorIbEEZNS1_11reduce_implILb1ES3_N6hipcub16HIPCUB_304000_NS22TransformInputIteratorIb7NonZeroIaEPalEEPllNS8_6detail34convert_binary_result_type_wrapperINS8_3SumESD_lEEEE10hipError_tPvRmT1_T2_T3_mT4_P12ihipStream_tbEUlT_E1_NS1_11comp_targetILNS1_3genE5ELNS1_11target_archE942ELNS1_3gpuE9ELNS1_3repE0EEENS1_30default_config_static_selectorELNS0_4arch9wavefront6targetE1EEEvSM_.uses_vcc, 0
	.set _ZN7rocprim17ROCPRIM_400000_NS6detail17trampoline_kernelINS0_14default_configENS1_22reduce_config_selectorIbEEZNS1_11reduce_implILb1ES3_N6hipcub16HIPCUB_304000_NS22TransformInputIteratorIb7NonZeroIaEPalEEPllNS8_6detail34convert_binary_result_type_wrapperINS8_3SumESD_lEEEE10hipError_tPvRmT1_T2_T3_mT4_P12ihipStream_tbEUlT_E1_NS1_11comp_targetILNS1_3genE5ELNS1_11target_archE942ELNS1_3gpuE9ELNS1_3repE0EEENS1_30default_config_static_selectorELNS0_4arch9wavefront6targetE1EEEvSM_.uses_flat_scratch, 0
	.set _ZN7rocprim17ROCPRIM_400000_NS6detail17trampoline_kernelINS0_14default_configENS1_22reduce_config_selectorIbEEZNS1_11reduce_implILb1ES3_N6hipcub16HIPCUB_304000_NS22TransformInputIteratorIb7NonZeroIaEPalEEPllNS8_6detail34convert_binary_result_type_wrapperINS8_3SumESD_lEEEE10hipError_tPvRmT1_T2_T3_mT4_P12ihipStream_tbEUlT_E1_NS1_11comp_targetILNS1_3genE5ELNS1_11target_archE942ELNS1_3gpuE9ELNS1_3repE0EEENS1_30default_config_static_selectorELNS0_4arch9wavefront6targetE1EEEvSM_.has_dyn_sized_stack, 0
	.set _ZN7rocprim17ROCPRIM_400000_NS6detail17trampoline_kernelINS0_14default_configENS1_22reduce_config_selectorIbEEZNS1_11reduce_implILb1ES3_N6hipcub16HIPCUB_304000_NS22TransformInputIteratorIb7NonZeroIaEPalEEPllNS8_6detail34convert_binary_result_type_wrapperINS8_3SumESD_lEEEE10hipError_tPvRmT1_T2_T3_mT4_P12ihipStream_tbEUlT_E1_NS1_11comp_targetILNS1_3genE5ELNS1_11target_archE942ELNS1_3gpuE9ELNS1_3repE0EEENS1_30default_config_static_selectorELNS0_4arch9wavefront6targetE1EEEvSM_.has_recursion, 0
	.set _ZN7rocprim17ROCPRIM_400000_NS6detail17trampoline_kernelINS0_14default_configENS1_22reduce_config_selectorIbEEZNS1_11reduce_implILb1ES3_N6hipcub16HIPCUB_304000_NS22TransformInputIteratorIb7NonZeroIaEPalEEPllNS8_6detail34convert_binary_result_type_wrapperINS8_3SumESD_lEEEE10hipError_tPvRmT1_T2_T3_mT4_P12ihipStream_tbEUlT_E1_NS1_11comp_targetILNS1_3genE5ELNS1_11target_archE942ELNS1_3gpuE9ELNS1_3repE0EEENS1_30default_config_static_selectorELNS0_4arch9wavefront6targetE1EEEvSM_.has_indirect_call, 0
	.section	.AMDGPU.csdata,"",@progbits
; Kernel info:
; codeLenInByte = 0
; TotalNumSgprs: 6
; NumVgprs: 0
; NumAgprs: 0
; TotalNumVgprs: 0
; ScratchSize: 0
; MemoryBound: 0
; FloatMode: 240
; IeeeMode: 1
; LDSByteSize: 0 bytes/workgroup (compile time only)
; SGPRBlocks: 0
; VGPRBlocks: 0
; NumSGPRsForWavesPerEU: 6
; NumVGPRsForWavesPerEU: 1
; AccumOffset: 4
; Occupancy: 8
; WaveLimiterHint : 0
; COMPUTE_PGM_RSRC2:SCRATCH_EN: 0
; COMPUTE_PGM_RSRC2:USER_SGPR: 2
; COMPUTE_PGM_RSRC2:TRAP_HANDLER: 0
; COMPUTE_PGM_RSRC2:TGID_X_EN: 1
; COMPUTE_PGM_RSRC2:TGID_Y_EN: 0
; COMPUTE_PGM_RSRC2:TGID_Z_EN: 0
; COMPUTE_PGM_RSRC2:TIDIG_COMP_CNT: 0
; COMPUTE_PGM_RSRC3_GFX90A:ACCUM_OFFSET: 0
; COMPUTE_PGM_RSRC3_GFX90A:TG_SPLIT: 0
	.section	.text._ZN7rocprim17ROCPRIM_400000_NS6detail17trampoline_kernelINS0_14default_configENS1_22reduce_config_selectorIbEEZNS1_11reduce_implILb1ES3_N6hipcub16HIPCUB_304000_NS22TransformInputIteratorIb7NonZeroIaEPalEEPllNS8_6detail34convert_binary_result_type_wrapperINS8_3SumESD_lEEEE10hipError_tPvRmT1_T2_T3_mT4_P12ihipStream_tbEUlT_E1_NS1_11comp_targetILNS1_3genE4ELNS1_11target_archE910ELNS1_3gpuE8ELNS1_3repE0EEENS1_30default_config_static_selectorELNS0_4arch9wavefront6targetE1EEEvSM_,"axG",@progbits,_ZN7rocprim17ROCPRIM_400000_NS6detail17trampoline_kernelINS0_14default_configENS1_22reduce_config_selectorIbEEZNS1_11reduce_implILb1ES3_N6hipcub16HIPCUB_304000_NS22TransformInputIteratorIb7NonZeroIaEPalEEPllNS8_6detail34convert_binary_result_type_wrapperINS8_3SumESD_lEEEE10hipError_tPvRmT1_T2_T3_mT4_P12ihipStream_tbEUlT_E1_NS1_11comp_targetILNS1_3genE4ELNS1_11target_archE910ELNS1_3gpuE8ELNS1_3repE0EEENS1_30default_config_static_selectorELNS0_4arch9wavefront6targetE1EEEvSM_,comdat
	.protected	_ZN7rocprim17ROCPRIM_400000_NS6detail17trampoline_kernelINS0_14default_configENS1_22reduce_config_selectorIbEEZNS1_11reduce_implILb1ES3_N6hipcub16HIPCUB_304000_NS22TransformInputIteratorIb7NonZeroIaEPalEEPllNS8_6detail34convert_binary_result_type_wrapperINS8_3SumESD_lEEEE10hipError_tPvRmT1_T2_T3_mT4_P12ihipStream_tbEUlT_E1_NS1_11comp_targetILNS1_3genE4ELNS1_11target_archE910ELNS1_3gpuE8ELNS1_3repE0EEENS1_30default_config_static_selectorELNS0_4arch9wavefront6targetE1EEEvSM_ ; -- Begin function _ZN7rocprim17ROCPRIM_400000_NS6detail17trampoline_kernelINS0_14default_configENS1_22reduce_config_selectorIbEEZNS1_11reduce_implILb1ES3_N6hipcub16HIPCUB_304000_NS22TransformInputIteratorIb7NonZeroIaEPalEEPllNS8_6detail34convert_binary_result_type_wrapperINS8_3SumESD_lEEEE10hipError_tPvRmT1_T2_T3_mT4_P12ihipStream_tbEUlT_E1_NS1_11comp_targetILNS1_3genE4ELNS1_11target_archE910ELNS1_3gpuE8ELNS1_3repE0EEENS1_30default_config_static_selectorELNS0_4arch9wavefront6targetE1EEEvSM_
	.globl	_ZN7rocprim17ROCPRIM_400000_NS6detail17trampoline_kernelINS0_14default_configENS1_22reduce_config_selectorIbEEZNS1_11reduce_implILb1ES3_N6hipcub16HIPCUB_304000_NS22TransformInputIteratorIb7NonZeroIaEPalEEPllNS8_6detail34convert_binary_result_type_wrapperINS8_3SumESD_lEEEE10hipError_tPvRmT1_T2_T3_mT4_P12ihipStream_tbEUlT_E1_NS1_11comp_targetILNS1_3genE4ELNS1_11target_archE910ELNS1_3gpuE8ELNS1_3repE0EEENS1_30default_config_static_selectorELNS0_4arch9wavefront6targetE1EEEvSM_
	.p2align	8
	.type	_ZN7rocprim17ROCPRIM_400000_NS6detail17trampoline_kernelINS0_14default_configENS1_22reduce_config_selectorIbEEZNS1_11reduce_implILb1ES3_N6hipcub16HIPCUB_304000_NS22TransformInputIteratorIb7NonZeroIaEPalEEPllNS8_6detail34convert_binary_result_type_wrapperINS8_3SumESD_lEEEE10hipError_tPvRmT1_T2_T3_mT4_P12ihipStream_tbEUlT_E1_NS1_11comp_targetILNS1_3genE4ELNS1_11target_archE910ELNS1_3gpuE8ELNS1_3repE0EEENS1_30default_config_static_selectorELNS0_4arch9wavefront6targetE1EEEvSM_,@function
_ZN7rocprim17ROCPRIM_400000_NS6detail17trampoline_kernelINS0_14default_configENS1_22reduce_config_selectorIbEEZNS1_11reduce_implILb1ES3_N6hipcub16HIPCUB_304000_NS22TransformInputIteratorIb7NonZeroIaEPalEEPllNS8_6detail34convert_binary_result_type_wrapperINS8_3SumESD_lEEEE10hipError_tPvRmT1_T2_T3_mT4_P12ihipStream_tbEUlT_E1_NS1_11comp_targetILNS1_3genE4ELNS1_11target_archE910ELNS1_3gpuE8ELNS1_3repE0EEENS1_30default_config_static_selectorELNS0_4arch9wavefront6targetE1EEEvSM_: ; @_ZN7rocprim17ROCPRIM_400000_NS6detail17trampoline_kernelINS0_14default_configENS1_22reduce_config_selectorIbEEZNS1_11reduce_implILb1ES3_N6hipcub16HIPCUB_304000_NS22TransformInputIteratorIb7NonZeroIaEPalEEPllNS8_6detail34convert_binary_result_type_wrapperINS8_3SumESD_lEEEE10hipError_tPvRmT1_T2_T3_mT4_P12ihipStream_tbEUlT_E1_NS1_11comp_targetILNS1_3genE4ELNS1_11target_archE910ELNS1_3gpuE8ELNS1_3repE0EEENS1_30default_config_static_selectorELNS0_4arch9wavefront6targetE1EEEvSM_
; %bb.0:
	.section	.rodata,"a",@progbits
	.p2align	6, 0x0
	.amdhsa_kernel _ZN7rocprim17ROCPRIM_400000_NS6detail17trampoline_kernelINS0_14default_configENS1_22reduce_config_selectorIbEEZNS1_11reduce_implILb1ES3_N6hipcub16HIPCUB_304000_NS22TransformInputIteratorIb7NonZeroIaEPalEEPllNS8_6detail34convert_binary_result_type_wrapperINS8_3SumESD_lEEEE10hipError_tPvRmT1_T2_T3_mT4_P12ihipStream_tbEUlT_E1_NS1_11comp_targetILNS1_3genE4ELNS1_11target_archE910ELNS1_3gpuE8ELNS1_3repE0EEENS1_30default_config_static_selectorELNS0_4arch9wavefront6targetE1EEEvSM_
		.amdhsa_group_segment_fixed_size 0
		.amdhsa_private_segment_fixed_size 0
		.amdhsa_kernarg_size 56
		.amdhsa_user_sgpr_count 2
		.amdhsa_user_sgpr_dispatch_ptr 0
		.amdhsa_user_sgpr_queue_ptr 0
		.amdhsa_user_sgpr_kernarg_segment_ptr 1
		.amdhsa_user_sgpr_dispatch_id 0
		.amdhsa_user_sgpr_kernarg_preload_length 0
		.amdhsa_user_sgpr_kernarg_preload_offset 0
		.amdhsa_user_sgpr_private_segment_size 0
		.amdhsa_uses_dynamic_stack 0
		.amdhsa_enable_private_segment 0
		.amdhsa_system_sgpr_workgroup_id_x 1
		.amdhsa_system_sgpr_workgroup_id_y 0
		.amdhsa_system_sgpr_workgroup_id_z 0
		.amdhsa_system_sgpr_workgroup_info 0
		.amdhsa_system_vgpr_workitem_id 0
		.amdhsa_next_free_vgpr 1
		.amdhsa_next_free_sgpr 0
		.amdhsa_accum_offset 4
		.amdhsa_reserve_vcc 0
		.amdhsa_float_round_mode_32 0
		.amdhsa_float_round_mode_16_64 0
		.amdhsa_float_denorm_mode_32 3
		.amdhsa_float_denorm_mode_16_64 3
		.amdhsa_dx10_clamp 1
		.amdhsa_ieee_mode 1
		.amdhsa_fp16_overflow 0
		.amdhsa_tg_split 0
		.amdhsa_exception_fp_ieee_invalid_op 0
		.amdhsa_exception_fp_denorm_src 0
		.amdhsa_exception_fp_ieee_div_zero 0
		.amdhsa_exception_fp_ieee_overflow 0
		.amdhsa_exception_fp_ieee_underflow 0
		.amdhsa_exception_fp_ieee_inexact 0
		.amdhsa_exception_int_div_zero 0
	.end_amdhsa_kernel
	.section	.text._ZN7rocprim17ROCPRIM_400000_NS6detail17trampoline_kernelINS0_14default_configENS1_22reduce_config_selectorIbEEZNS1_11reduce_implILb1ES3_N6hipcub16HIPCUB_304000_NS22TransformInputIteratorIb7NonZeroIaEPalEEPllNS8_6detail34convert_binary_result_type_wrapperINS8_3SumESD_lEEEE10hipError_tPvRmT1_T2_T3_mT4_P12ihipStream_tbEUlT_E1_NS1_11comp_targetILNS1_3genE4ELNS1_11target_archE910ELNS1_3gpuE8ELNS1_3repE0EEENS1_30default_config_static_selectorELNS0_4arch9wavefront6targetE1EEEvSM_,"axG",@progbits,_ZN7rocprim17ROCPRIM_400000_NS6detail17trampoline_kernelINS0_14default_configENS1_22reduce_config_selectorIbEEZNS1_11reduce_implILb1ES3_N6hipcub16HIPCUB_304000_NS22TransformInputIteratorIb7NonZeroIaEPalEEPllNS8_6detail34convert_binary_result_type_wrapperINS8_3SumESD_lEEEE10hipError_tPvRmT1_T2_T3_mT4_P12ihipStream_tbEUlT_E1_NS1_11comp_targetILNS1_3genE4ELNS1_11target_archE910ELNS1_3gpuE8ELNS1_3repE0EEENS1_30default_config_static_selectorELNS0_4arch9wavefront6targetE1EEEvSM_,comdat
.Lfunc_end29:
	.size	_ZN7rocprim17ROCPRIM_400000_NS6detail17trampoline_kernelINS0_14default_configENS1_22reduce_config_selectorIbEEZNS1_11reduce_implILb1ES3_N6hipcub16HIPCUB_304000_NS22TransformInputIteratorIb7NonZeroIaEPalEEPllNS8_6detail34convert_binary_result_type_wrapperINS8_3SumESD_lEEEE10hipError_tPvRmT1_T2_T3_mT4_P12ihipStream_tbEUlT_E1_NS1_11comp_targetILNS1_3genE4ELNS1_11target_archE910ELNS1_3gpuE8ELNS1_3repE0EEENS1_30default_config_static_selectorELNS0_4arch9wavefront6targetE1EEEvSM_, .Lfunc_end29-_ZN7rocprim17ROCPRIM_400000_NS6detail17trampoline_kernelINS0_14default_configENS1_22reduce_config_selectorIbEEZNS1_11reduce_implILb1ES3_N6hipcub16HIPCUB_304000_NS22TransformInputIteratorIb7NonZeroIaEPalEEPllNS8_6detail34convert_binary_result_type_wrapperINS8_3SumESD_lEEEE10hipError_tPvRmT1_T2_T3_mT4_P12ihipStream_tbEUlT_E1_NS1_11comp_targetILNS1_3genE4ELNS1_11target_archE910ELNS1_3gpuE8ELNS1_3repE0EEENS1_30default_config_static_selectorELNS0_4arch9wavefront6targetE1EEEvSM_
                                        ; -- End function
	.set _ZN7rocprim17ROCPRIM_400000_NS6detail17trampoline_kernelINS0_14default_configENS1_22reduce_config_selectorIbEEZNS1_11reduce_implILb1ES3_N6hipcub16HIPCUB_304000_NS22TransformInputIteratorIb7NonZeroIaEPalEEPllNS8_6detail34convert_binary_result_type_wrapperINS8_3SumESD_lEEEE10hipError_tPvRmT1_T2_T3_mT4_P12ihipStream_tbEUlT_E1_NS1_11comp_targetILNS1_3genE4ELNS1_11target_archE910ELNS1_3gpuE8ELNS1_3repE0EEENS1_30default_config_static_selectorELNS0_4arch9wavefront6targetE1EEEvSM_.num_vgpr, 0
	.set _ZN7rocprim17ROCPRIM_400000_NS6detail17trampoline_kernelINS0_14default_configENS1_22reduce_config_selectorIbEEZNS1_11reduce_implILb1ES3_N6hipcub16HIPCUB_304000_NS22TransformInputIteratorIb7NonZeroIaEPalEEPllNS8_6detail34convert_binary_result_type_wrapperINS8_3SumESD_lEEEE10hipError_tPvRmT1_T2_T3_mT4_P12ihipStream_tbEUlT_E1_NS1_11comp_targetILNS1_3genE4ELNS1_11target_archE910ELNS1_3gpuE8ELNS1_3repE0EEENS1_30default_config_static_selectorELNS0_4arch9wavefront6targetE1EEEvSM_.num_agpr, 0
	.set _ZN7rocprim17ROCPRIM_400000_NS6detail17trampoline_kernelINS0_14default_configENS1_22reduce_config_selectorIbEEZNS1_11reduce_implILb1ES3_N6hipcub16HIPCUB_304000_NS22TransformInputIteratorIb7NonZeroIaEPalEEPllNS8_6detail34convert_binary_result_type_wrapperINS8_3SumESD_lEEEE10hipError_tPvRmT1_T2_T3_mT4_P12ihipStream_tbEUlT_E1_NS1_11comp_targetILNS1_3genE4ELNS1_11target_archE910ELNS1_3gpuE8ELNS1_3repE0EEENS1_30default_config_static_selectorELNS0_4arch9wavefront6targetE1EEEvSM_.numbered_sgpr, 0
	.set _ZN7rocprim17ROCPRIM_400000_NS6detail17trampoline_kernelINS0_14default_configENS1_22reduce_config_selectorIbEEZNS1_11reduce_implILb1ES3_N6hipcub16HIPCUB_304000_NS22TransformInputIteratorIb7NonZeroIaEPalEEPllNS8_6detail34convert_binary_result_type_wrapperINS8_3SumESD_lEEEE10hipError_tPvRmT1_T2_T3_mT4_P12ihipStream_tbEUlT_E1_NS1_11comp_targetILNS1_3genE4ELNS1_11target_archE910ELNS1_3gpuE8ELNS1_3repE0EEENS1_30default_config_static_selectorELNS0_4arch9wavefront6targetE1EEEvSM_.num_named_barrier, 0
	.set _ZN7rocprim17ROCPRIM_400000_NS6detail17trampoline_kernelINS0_14default_configENS1_22reduce_config_selectorIbEEZNS1_11reduce_implILb1ES3_N6hipcub16HIPCUB_304000_NS22TransformInputIteratorIb7NonZeroIaEPalEEPllNS8_6detail34convert_binary_result_type_wrapperINS8_3SumESD_lEEEE10hipError_tPvRmT1_T2_T3_mT4_P12ihipStream_tbEUlT_E1_NS1_11comp_targetILNS1_3genE4ELNS1_11target_archE910ELNS1_3gpuE8ELNS1_3repE0EEENS1_30default_config_static_selectorELNS0_4arch9wavefront6targetE1EEEvSM_.private_seg_size, 0
	.set _ZN7rocprim17ROCPRIM_400000_NS6detail17trampoline_kernelINS0_14default_configENS1_22reduce_config_selectorIbEEZNS1_11reduce_implILb1ES3_N6hipcub16HIPCUB_304000_NS22TransformInputIteratorIb7NonZeroIaEPalEEPllNS8_6detail34convert_binary_result_type_wrapperINS8_3SumESD_lEEEE10hipError_tPvRmT1_T2_T3_mT4_P12ihipStream_tbEUlT_E1_NS1_11comp_targetILNS1_3genE4ELNS1_11target_archE910ELNS1_3gpuE8ELNS1_3repE0EEENS1_30default_config_static_selectorELNS0_4arch9wavefront6targetE1EEEvSM_.uses_vcc, 0
	.set _ZN7rocprim17ROCPRIM_400000_NS6detail17trampoline_kernelINS0_14default_configENS1_22reduce_config_selectorIbEEZNS1_11reduce_implILb1ES3_N6hipcub16HIPCUB_304000_NS22TransformInputIteratorIb7NonZeroIaEPalEEPllNS8_6detail34convert_binary_result_type_wrapperINS8_3SumESD_lEEEE10hipError_tPvRmT1_T2_T3_mT4_P12ihipStream_tbEUlT_E1_NS1_11comp_targetILNS1_3genE4ELNS1_11target_archE910ELNS1_3gpuE8ELNS1_3repE0EEENS1_30default_config_static_selectorELNS0_4arch9wavefront6targetE1EEEvSM_.uses_flat_scratch, 0
	.set _ZN7rocprim17ROCPRIM_400000_NS6detail17trampoline_kernelINS0_14default_configENS1_22reduce_config_selectorIbEEZNS1_11reduce_implILb1ES3_N6hipcub16HIPCUB_304000_NS22TransformInputIteratorIb7NonZeroIaEPalEEPllNS8_6detail34convert_binary_result_type_wrapperINS8_3SumESD_lEEEE10hipError_tPvRmT1_T2_T3_mT4_P12ihipStream_tbEUlT_E1_NS1_11comp_targetILNS1_3genE4ELNS1_11target_archE910ELNS1_3gpuE8ELNS1_3repE0EEENS1_30default_config_static_selectorELNS0_4arch9wavefront6targetE1EEEvSM_.has_dyn_sized_stack, 0
	.set _ZN7rocprim17ROCPRIM_400000_NS6detail17trampoline_kernelINS0_14default_configENS1_22reduce_config_selectorIbEEZNS1_11reduce_implILb1ES3_N6hipcub16HIPCUB_304000_NS22TransformInputIteratorIb7NonZeroIaEPalEEPllNS8_6detail34convert_binary_result_type_wrapperINS8_3SumESD_lEEEE10hipError_tPvRmT1_T2_T3_mT4_P12ihipStream_tbEUlT_E1_NS1_11comp_targetILNS1_3genE4ELNS1_11target_archE910ELNS1_3gpuE8ELNS1_3repE0EEENS1_30default_config_static_selectorELNS0_4arch9wavefront6targetE1EEEvSM_.has_recursion, 0
	.set _ZN7rocprim17ROCPRIM_400000_NS6detail17trampoline_kernelINS0_14default_configENS1_22reduce_config_selectorIbEEZNS1_11reduce_implILb1ES3_N6hipcub16HIPCUB_304000_NS22TransformInputIteratorIb7NonZeroIaEPalEEPllNS8_6detail34convert_binary_result_type_wrapperINS8_3SumESD_lEEEE10hipError_tPvRmT1_T2_T3_mT4_P12ihipStream_tbEUlT_E1_NS1_11comp_targetILNS1_3genE4ELNS1_11target_archE910ELNS1_3gpuE8ELNS1_3repE0EEENS1_30default_config_static_selectorELNS0_4arch9wavefront6targetE1EEEvSM_.has_indirect_call, 0
	.section	.AMDGPU.csdata,"",@progbits
; Kernel info:
; codeLenInByte = 0
; TotalNumSgprs: 6
; NumVgprs: 0
; NumAgprs: 0
; TotalNumVgprs: 0
; ScratchSize: 0
; MemoryBound: 0
; FloatMode: 240
; IeeeMode: 1
; LDSByteSize: 0 bytes/workgroup (compile time only)
; SGPRBlocks: 0
; VGPRBlocks: 0
; NumSGPRsForWavesPerEU: 6
; NumVGPRsForWavesPerEU: 1
; AccumOffset: 4
; Occupancy: 8
; WaveLimiterHint : 0
; COMPUTE_PGM_RSRC2:SCRATCH_EN: 0
; COMPUTE_PGM_RSRC2:USER_SGPR: 2
; COMPUTE_PGM_RSRC2:TRAP_HANDLER: 0
; COMPUTE_PGM_RSRC2:TGID_X_EN: 1
; COMPUTE_PGM_RSRC2:TGID_Y_EN: 0
; COMPUTE_PGM_RSRC2:TGID_Z_EN: 0
; COMPUTE_PGM_RSRC2:TIDIG_COMP_CNT: 0
; COMPUTE_PGM_RSRC3_GFX90A:ACCUM_OFFSET: 0
; COMPUTE_PGM_RSRC3_GFX90A:TG_SPLIT: 0
	.section	.text._ZN7rocprim17ROCPRIM_400000_NS6detail17trampoline_kernelINS0_14default_configENS1_22reduce_config_selectorIbEEZNS1_11reduce_implILb1ES3_N6hipcub16HIPCUB_304000_NS22TransformInputIteratorIb7NonZeroIaEPalEEPllNS8_6detail34convert_binary_result_type_wrapperINS8_3SumESD_lEEEE10hipError_tPvRmT1_T2_T3_mT4_P12ihipStream_tbEUlT_E1_NS1_11comp_targetILNS1_3genE3ELNS1_11target_archE908ELNS1_3gpuE7ELNS1_3repE0EEENS1_30default_config_static_selectorELNS0_4arch9wavefront6targetE1EEEvSM_,"axG",@progbits,_ZN7rocprim17ROCPRIM_400000_NS6detail17trampoline_kernelINS0_14default_configENS1_22reduce_config_selectorIbEEZNS1_11reduce_implILb1ES3_N6hipcub16HIPCUB_304000_NS22TransformInputIteratorIb7NonZeroIaEPalEEPllNS8_6detail34convert_binary_result_type_wrapperINS8_3SumESD_lEEEE10hipError_tPvRmT1_T2_T3_mT4_P12ihipStream_tbEUlT_E1_NS1_11comp_targetILNS1_3genE3ELNS1_11target_archE908ELNS1_3gpuE7ELNS1_3repE0EEENS1_30default_config_static_selectorELNS0_4arch9wavefront6targetE1EEEvSM_,comdat
	.protected	_ZN7rocprim17ROCPRIM_400000_NS6detail17trampoline_kernelINS0_14default_configENS1_22reduce_config_selectorIbEEZNS1_11reduce_implILb1ES3_N6hipcub16HIPCUB_304000_NS22TransformInputIteratorIb7NonZeroIaEPalEEPllNS8_6detail34convert_binary_result_type_wrapperINS8_3SumESD_lEEEE10hipError_tPvRmT1_T2_T3_mT4_P12ihipStream_tbEUlT_E1_NS1_11comp_targetILNS1_3genE3ELNS1_11target_archE908ELNS1_3gpuE7ELNS1_3repE0EEENS1_30default_config_static_selectorELNS0_4arch9wavefront6targetE1EEEvSM_ ; -- Begin function _ZN7rocprim17ROCPRIM_400000_NS6detail17trampoline_kernelINS0_14default_configENS1_22reduce_config_selectorIbEEZNS1_11reduce_implILb1ES3_N6hipcub16HIPCUB_304000_NS22TransformInputIteratorIb7NonZeroIaEPalEEPllNS8_6detail34convert_binary_result_type_wrapperINS8_3SumESD_lEEEE10hipError_tPvRmT1_T2_T3_mT4_P12ihipStream_tbEUlT_E1_NS1_11comp_targetILNS1_3genE3ELNS1_11target_archE908ELNS1_3gpuE7ELNS1_3repE0EEENS1_30default_config_static_selectorELNS0_4arch9wavefront6targetE1EEEvSM_
	.globl	_ZN7rocprim17ROCPRIM_400000_NS6detail17trampoline_kernelINS0_14default_configENS1_22reduce_config_selectorIbEEZNS1_11reduce_implILb1ES3_N6hipcub16HIPCUB_304000_NS22TransformInputIteratorIb7NonZeroIaEPalEEPllNS8_6detail34convert_binary_result_type_wrapperINS8_3SumESD_lEEEE10hipError_tPvRmT1_T2_T3_mT4_P12ihipStream_tbEUlT_E1_NS1_11comp_targetILNS1_3genE3ELNS1_11target_archE908ELNS1_3gpuE7ELNS1_3repE0EEENS1_30default_config_static_selectorELNS0_4arch9wavefront6targetE1EEEvSM_
	.p2align	8
	.type	_ZN7rocprim17ROCPRIM_400000_NS6detail17trampoline_kernelINS0_14default_configENS1_22reduce_config_selectorIbEEZNS1_11reduce_implILb1ES3_N6hipcub16HIPCUB_304000_NS22TransformInputIteratorIb7NonZeroIaEPalEEPllNS8_6detail34convert_binary_result_type_wrapperINS8_3SumESD_lEEEE10hipError_tPvRmT1_T2_T3_mT4_P12ihipStream_tbEUlT_E1_NS1_11comp_targetILNS1_3genE3ELNS1_11target_archE908ELNS1_3gpuE7ELNS1_3repE0EEENS1_30default_config_static_selectorELNS0_4arch9wavefront6targetE1EEEvSM_,@function
_ZN7rocprim17ROCPRIM_400000_NS6detail17trampoline_kernelINS0_14default_configENS1_22reduce_config_selectorIbEEZNS1_11reduce_implILb1ES3_N6hipcub16HIPCUB_304000_NS22TransformInputIteratorIb7NonZeroIaEPalEEPllNS8_6detail34convert_binary_result_type_wrapperINS8_3SumESD_lEEEE10hipError_tPvRmT1_T2_T3_mT4_P12ihipStream_tbEUlT_E1_NS1_11comp_targetILNS1_3genE3ELNS1_11target_archE908ELNS1_3gpuE7ELNS1_3repE0EEENS1_30default_config_static_selectorELNS0_4arch9wavefront6targetE1EEEvSM_: ; @_ZN7rocprim17ROCPRIM_400000_NS6detail17trampoline_kernelINS0_14default_configENS1_22reduce_config_selectorIbEEZNS1_11reduce_implILb1ES3_N6hipcub16HIPCUB_304000_NS22TransformInputIteratorIb7NonZeroIaEPalEEPllNS8_6detail34convert_binary_result_type_wrapperINS8_3SumESD_lEEEE10hipError_tPvRmT1_T2_T3_mT4_P12ihipStream_tbEUlT_E1_NS1_11comp_targetILNS1_3genE3ELNS1_11target_archE908ELNS1_3gpuE7ELNS1_3repE0EEENS1_30default_config_static_selectorELNS0_4arch9wavefront6targetE1EEEvSM_
; %bb.0:
	.section	.rodata,"a",@progbits
	.p2align	6, 0x0
	.amdhsa_kernel _ZN7rocprim17ROCPRIM_400000_NS6detail17trampoline_kernelINS0_14default_configENS1_22reduce_config_selectorIbEEZNS1_11reduce_implILb1ES3_N6hipcub16HIPCUB_304000_NS22TransformInputIteratorIb7NonZeroIaEPalEEPllNS8_6detail34convert_binary_result_type_wrapperINS8_3SumESD_lEEEE10hipError_tPvRmT1_T2_T3_mT4_P12ihipStream_tbEUlT_E1_NS1_11comp_targetILNS1_3genE3ELNS1_11target_archE908ELNS1_3gpuE7ELNS1_3repE0EEENS1_30default_config_static_selectorELNS0_4arch9wavefront6targetE1EEEvSM_
		.amdhsa_group_segment_fixed_size 0
		.amdhsa_private_segment_fixed_size 0
		.amdhsa_kernarg_size 56
		.amdhsa_user_sgpr_count 2
		.amdhsa_user_sgpr_dispatch_ptr 0
		.amdhsa_user_sgpr_queue_ptr 0
		.amdhsa_user_sgpr_kernarg_segment_ptr 1
		.amdhsa_user_sgpr_dispatch_id 0
		.amdhsa_user_sgpr_kernarg_preload_length 0
		.amdhsa_user_sgpr_kernarg_preload_offset 0
		.amdhsa_user_sgpr_private_segment_size 0
		.amdhsa_uses_dynamic_stack 0
		.amdhsa_enable_private_segment 0
		.amdhsa_system_sgpr_workgroup_id_x 1
		.amdhsa_system_sgpr_workgroup_id_y 0
		.amdhsa_system_sgpr_workgroup_id_z 0
		.amdhsa_system_sgpr_workgroup_info 0
		.amdhsa_system_vgpr_workitem_id 0
		.amdhsa_next_free_vgpr 1
		.amdhsa_next_free_sgpr 0
		.amdhsa_accum_offset 4
		.amdhsa_reserve_vcc 0
		.amdhsa_float_round_mode_32 0
		.amdhsa_float_round_mode_16_64 0
		.amdhsa_float_denorm_mode_32 3
		.amdhsa_float_denorm_mode_16_64 3
		.amdhsa_dx10_clamp 1
		.amdhsa_ieee_mode 1
		.amdhsa_fp16_overflow 0
		.amdhsa_tg_split 0
		.amdhsa_exception_fp_ieee_invalid_op 0
		.amdhsa_exception_fp_denorm_src 0
		.amdhsa_exception_fp_ieee_div_zero 0
		.amdhsa_exception_fp_ieee_overflow 0
		.amdhsa_exception_fp_ieee_underflow 0
		.amdhsa_exception_fp_ieee_inexact 0
		.amdhsa_exception_int_div_zero 0
	.end_amdhsa_kernel
	.section	.text._ZN7rocprim17ROCPRIM_400000_NS6detail17trampoline_kernelINS0_14default_configENS1_22reduce_config_selectorIbEEZNS1_11reduce_implILb1ES3_N6hipcub16HIPCUB_304000_NS22TransformInputIteratorIb7NonZeroIaEPalEEPllNS8_6detail34convert_binary_result_type_wrapperINS8_3SumESD_lEEEE10hipError_tPvRmT1_T2_T3_mT4_P12ihipStream_tbEUlT_E1_NS1_11comp_targetILNS1_3genE3ELNS1_11target_archE908ELNS1_3gpuE7ELNS1_3repE0EEENS1_30default_config_static_selectorELNS0_4arch9wavefront6targetE1EEEvSM_,"axG",@progbits,_ZN7rocprim17ROCPRIM_400000_NS6detail17trampoline_kernelINS0_14default_configENS1_22reduce_config_selectorIbEEZNS1_11reduce_implILb1ES3_N6hipcub16HIPCUB_304000_NS22TransformInputIteratorIb7NonZeroIaEPalEEPllNS8_6detail34convert_binary_result_type_wrapperINS8_3SumESD_lEEEE10hipError_tPvRmT1_T2_T3_mT4_P12ihipStream_tbEUlT_E1_NS1_11comp_targetILNS1_3genE3ELNS1_11target_archE908ELNS1_3gpuE7ELNS1_3repE0EEENS1_30default_config_static_selectorELNS0_4arch9wavefront6targetE1EEEvSM_,comdat
.Lfunc_end30:
	.size	_ZN7rocprim17ROCPRIM_400000_NS6detail17trampoline_kernelINS0_14default_configENS1_22reduce_config_selectorIbEEZNS1_11reduce_implILb1ES3_N6hipcub16HIPCUB_304000_NS22TransformInputIteratorIb7NonZeroIaEPalEEPllNS8_6detail34convert_binary_result_type_wrapperINS8_3SumESD_lEEEE10hipError_tPvRmT1_T2_T3_mT4_P12ihipStream_tbEUlT_E1_NS1_11comp_targetILNS1_3genE3ELNS1_11target_archE908ELNS1_3gpuE7ELNS1_3repE0EEENS1_30default_config_static_selectorELNS0_4arch9wavefront6targetE1EEEvSM_, .Lfunc_end30-_ZN7rocprim17ROCPRIM_400000_NS6detail17trampoline_kernelINS0_14default_configENS1_22reduce_config_selectorIbEEZNS1_11reduce_implILb1ES3_N6hipcub16HIPCUB_304000_NS22TransformInputIteratorIb7NonZeroIaEPalEEPllNS8_6detail34convert_binary_result_type_wrapperINS8_3SumESD_lEEEE10hipError_tPvRmT1_T2_T3_mT4_P12ihipStream_tbEUlT_E1_NS1_11comp_targetILNS1_3genE3ELNS1_11target_archE908ELNS1_3gpuE7ELNS1_3repE0EEENS1_30default_config_static_selectorELNS0_4arch9wavefront6targetE1EEEvSM_
                                        ; -- End function
	.set _ZN7rocprim17ROCPRIM_400000_NS6detail17trampoline_kernelINS0_14default_configENS1_22reduce_config_selectorIbEEZNS1_11reduce_implILb1ES3_N6hipcub16HIPCUB_304000_NS22TransformInputIteratorIb7NonZeroIaEPalEEPllNS8_6detail34convert_binary_result_type_wrapperINS8_3SumESD_lEEEE10hipError_tPvRmT1_T2_T3_mT4_P12ihipStream_tbEUlT_E1_NS1_11comp_targetILNS1_3genE3ELNS1_11target_archE908ELNS1_3gpuE7ELNS1_3repE0EEENS1_30default_config_static_selectorELNS0_4arch9wavefront6targetE1EEEvSM_.num_vgpr, 0
	.set _ZN7rocprim17ROCPRIM_400000_NS6detail17trampoline_kernelINS0_14default_configENS1_22reduce_config_selectorIbEEZNS1_11reduce_implILb1ES3_N6hipcub16HIPCUB_304000_NS22TransformInputIteratorIb7NonZeroIaEPalEEPllNS8_6detail34convert_binary_result_type_wrapperINS8_3SumESD_lEEEE10hipError_tPvRmT1_T2_T3_mT4_P12ihipStream_tbEUlT_E1_NS1_11comp_targetILNS1_3genE3ELNS1_11target_archE908ELNS1_3gpuE7ELNS1_3repE0EEENS1_30default_config_static_selectorELNS0_4arch9wavefront6targetE1EEEvSM_.num_agpr, 0
	.set _ZN7rocprim17ROCPRIM_400000_NS6detail17trampoline_kernelINS0_14default_configENS1_22reduce_config_selectorIbEEZNS1_11reduce_implILb1ES3_N6hipcub16HIPCUB_304000_NS22TransformInputIteratorIb7NonZeroIaEPalEEPllNS8_6detail34convert_binary_result_type_wrapperINS8_3SumESD_lEEEE10hipError_tPvRmT1_T2_T3_mT4_P12ihipStream_tbEUlT_E1_NS1_11comp_targetILNS1_3genE3ELNS1_11target_archE908ELNS1_3gpuE7ELNS1_3repE0EEENS1_30default_config_static_selectorELNS0_4arch9wavefront6targetE1EEEvSM_.numbered_sgpr, 0
	.set _ZN7rocprim17ROCPRIM_400000_NS6detail17trampoline_kernelINS0_14default_configENS1_22reduce_config_selectorIbEEZNS1_11reduce_implILb1ES3_N6hipcub16HIPCUB_304000_NS22TransformInputIteratorIb7NonZeroIaEPalEEPllNS8_6detail34convert_binary_result_type_wrapperINS8_3SumESD_lEEEE10hipError_tPvRmT1_T2_T3_mT4_P12ihipStream_tbEUlT_E1_NS1_11comp_targetILNS1_3genE3ELNS1_11target_archE908ELNS1_3gpuE7ELNS1_3repE0EEENS1_30default_config_static_selectorELNS0_4arch9wavefront6targetE1EEEvSM_.num_named_barrier, 0
	.set _ZN7rocprim17ROCPRIM_400000_NS6detail17trampoline_kernelINS0_14default_configENS1_22reduce_config_selectorIbEEZNS1_11reduce_implILb1ES3_N6hipcub16HIPCUB_304000_NS22TransformInputIteratorIb7NonZeroIaEPalEEPllNS8_6detail34convert_binary_result_type_wrapperINS8_3SumESD_lEEEE10hipError_tPvRmT1_T2_T3_mT4_P12ihipStream_tbEUlT_E1_NS1_11comp_targetILNS1_3genE3ELNS1_11target_archE908ELNS1_3gpuE7ELNS1_3repE0EEENS1_30default_config_static_selectorELNS0_4arch9wavefront6targetE1EEEvSM_.private_seg_size, 0
	.set _ZN7rocprim17ROCPRIM_400000_NS6detail17trampoline_kernelINS0_14default_configENS1_22reduce_config_selectorIbEEZNS1_11reduce_implILb1ES3_N6hipcub16HIPCUB_304000_NS22TransformInputIteratorIb7NonZeroIaEPalEEPllNS8_6detail34convert_binary_result_type_wrapperINS8_3SumESD_lEEEE10hipError_tPvRmT1_T2_T3_mT4_P12ihipStream_tbEUlT_E1_NS1_11comp_targetILNS1_3genE3ELNS1_11target_archE908ELNS1_3gpuE7ELNS1_3repE0EEENS1_30default_config_static_selectorELNS0_4arch9wavefront6targetE1EEEvSM_.uses_vcc, 0
	.set _ZN7rocprim17ROCPRIM_400000_NS6detail17trampoline_kernelINS0_14default_configENS1_22reduce_config_selectorIbEEZNS1_11reduce_implILb1ES3_N6hipcub16HIPCUB_304000_NS22TransformInputIteratorIb7NonZeroIaEPalEEPllNS8_6detail34convert_binary_result_type_wrapperINS8_3SumESD_lEEEE10hipError_tPvRmT1_T2_T3_mT4_P12ihipStream_tbEUlT_E1_NS1_11comp_targetILNS1_3genE3ELNS1_11target_archE908ELNS1_3gpuE7ELNS1_3repE0EEENS1_30default_config_static_selectorELNS0_4arch9wavefront6targetE1EEEvSM_.uses_flat_scratch, 0
	.set _ZN7rocprim17ROCPRIM_400000_NS6detail17trampoline_kernelINS0_14default_configENS1_22reduce_config_selectorIbEEZNS1_11reduce_implILb1ES3_N6hipcub16HIPCUB_304000_NS22TransformInputIteratorIb7NonZeroIaEPalEEPllNS8_6detail34convert_binary_result_type_wrapperINS8_3SumESD_lEEEE10hipError_tPvRmT1_T2_T3_mT4_P12ihipStream_tbEUlT_E1_NS1_11comp_targetILNS1_3genE3ELNS1_11target_archE908ELNS1_3gpuE7ELNS1_3repE0EEENS1_30default_config_static_selectorELNS0_4arch9wavefront6targetE1EEEvSM_.has_dyn_sized_stack, 0
	.set _ZN7rocprim17ROCPRIM_400000_NS6detail17trampoline_kernelINS0_14default_configENS1_22reduce_config_selectorIbEEZNS1_11reduce_implILb1ES3_N6hipcub16HIPCUB_304000_NS22TransformInputIteratorIb7NonZeroIaEPalEEPllNS8_6detail34convert_binary_result_type_wrapperINS8_3SumESD_lEEEE10hipError_tPvRmT1_T2_T3_mT4_P12ihipStream_tbEUlT_E1_NS1_11comp_targetILNS1_3genE3ELNS1_11target_archE908ELNS1_3gpuE7ELNS1_3repE0EEENS1_30default_config_static_selectorELNS0_4arch9wavefront6targetE1EEEvSM_.has_recursion, 0
	.set _ZN7rocprim17ROCPRIM_400000_NS6detail17trampoline_kernelINS0_14default_configENS1_22reduce_config_selectorIbEEZNS1_11reduce_implILb1ES3_N6hipcub16HIPCUB_304000_NS22TransformInputIteratorIb7NonZeroIaEPalEEPllNS8_6detail34convert_binary_result_type_wrapperINS8_3SumESD_lEEEE10hipError_tPvRmT1_T2_T3_mT4_P12ihipStream_tbEUlT_E1_NS1_11comp_targetILNS1_3genE3ELNS1_11target_archE908ELNS1_3gpuE7ELNS1_3repE0EEENS1_30default_config_static_selectorELNS0_4arch9wavefront6targetE1EEEvSM_.has_indirect_call, 0
	.section	.AMDGPU.csdata,"",@progbits
; Kernel info:
; codeLenInByte = 0
; TotalNumSgprs: 6
; NumVgprs: 0
; NumAgprs: 0
; TotalNumVgprs: 0
; ScratchSize: 0
; MemoryBound: 0
; FloatMode: 240
; IeeeMode: 1
; LDSByteSize: 0 bytes/workgroup (compile time only)
; SGPRBlocks: 0
; VGPRBlocks: 0
; NumSGPRsForWavesPerEU: 6
; NumVGPRsForWavesPerEU: 1
; AccumOffset: 4
; Occupancy: 8
; WaveLimiterHint : 0
; COMPUTE_PGM_RSRC2:SCRATCH_EN: 0
; COMPUTE_PGM_RSRC2:USER_SGPR: 2
; COMPUTE_PGM_RSRC2:TRAP_HANDLER: 0
; COMPUTE_PGM_RSRC2:TGID_X_EN: 1
; COMPUTE_PGM_RSRC2:TGID_Y_EN: 0
; COMPUTE_PGM_RSRC2:TGID_Z_EN: 0
; COMPUTE_PGM_RSRC2:TIDIG_COMP_CNT: 0
; COMPUTE_PGM_RSRC3_GFX90A:ACCUM_OFFSET: 0
; COMPUTE_PGM_RSRC3_GFX90A:TG_SPLIT: 0
	.section	.text._ZN7rocprim17ROCPRIM_400000_NS6detail17trampoline_kernelINS0_14default_configENS1_22reduce_config_selectorIbEEZNS1_11reduce_implILb1ES3_N6hipcub16HIPCUB_304000_NS22TransformInputIteratorIb7NonZeroIaEPalEEPllNS8_6detail34convert_binary_result_type_wrapperINS8_3SumESD_lEEEE10hipError_tPvRmT1_T2_T3_mT4_P12ihipStream_tbEUlT_E1_NS1_11comp_targetILNS1_3genE2ELNS1_11target_archE906ELNS1_3gpuE6ELNS1_3repE0EEENS1_30default_config_static_selectorELNS0_4arch9wavefront6targetE1EEEvSM_,"axG",@progbits,_ZN7rocprim17ROCPRIM_400000_NS6detail17trampoline_kernelINS0_14default_configENS1_22reduce_config_selectorIbEEZNS1_11reduce_implILb1ES3_N6hipcub16HIPCUB_304000_NS22TransformInputIteratorIb7NonZeroIaEPalEEPllNS8_6detail34convert_binary_result_type_wrapperINS8_3SumESD_lEEEE10hipError_tPvRmT1_T2_T3_mT4_P12ihipStream_tbEUlT_E1_NS1_11comp_targetILNS1_3genE2ELNS1_11target_archE906ELNS1_3gpuE6ELNS1_3repE0EEENS1_30default_config_static_selectorELNS0_4arch9wavefront6targetE1EEEvSM_,comdat
	.protected	_ZN7rocprim17ROCPRIM_400000_NS6detail17trampoline_kernelINS0_14default_configENS1_22reduce_config_selectorIbEEZNS1_11reduce_implILb1ES3_N6hipcub16HIPCUB_304000_NS22TransformInputIteratorIb7NonZeroIaEPalEEPllNS8_6detail34convert_binary_result_type_wrapperINS8_3SumESD_lEEEE10hipError_tPvRmT1_T2_T3_mT4_P12ihipStream_tbEUlT_E1_NS1_11comp_targetILNS1_3genE2ELNS1_11target_archE906ELNS1_3gpuE6ELNS1_3repE0EEENS1_30default_config_static_selectorELNS0_4arch9wavefront6targetE1EEEvSM_ ; -- Begin function _ZN7rocprim17ROCPRIM_400000_NS6detail17trampoline_kernelINS0_14default_configENS1_22reduce_config_selectorIbEEZNS1_11reduce_implILb1ES3_N6hipcub16HIPCUB_304000_NS22TransformInputIteratorIb7NonZeroIaEPalEEPllNS8_6detail34convert_binary_result_type_wrapperINS8_3SumESD_lEEEE10hipError_tPvRmT1_T2_T3_mT4_P12ihipStream_tbEUlT_E1_NS1_11comp_targetILNS1_3genE2ELNS1_11target_archE906ELNS1_3gpuE6ELNS1_3repE0EEENS1_30default_config_static_selectorELNS0_4arch9wavefront6targetE1EEEvSM_
	.globl	_ZN7rocprim17ROCPRIM_400000_NS6detail17trampoline_kernelINS0_14default_configENS1_22reduce_config_selectorIbEEZNS1_11reduce_implILb1ES3_N6hipcub16HIPCUB_304000_NS22TransformInputIteratorIb7NonZeroIaEPalEEPllNS8_6detail34convert_binary_result_type_wrapperINS8_3SumESD_lEEEE10hipError_tPvRmT1_T2_T3_mT4_P12ihipStream_tbEUlT_E1_NS1_11comp_targetILNS1_3genE2ELNS1_11target_archE906ELNS1_3gpuE6ELNS1_3repE0EEENS1_30default_config_static_selectorELNS0_4arch9wavefront6targetE1EEEvSM_
	.p2align	8
	.type	_ZN7rocprim17ROCPRIM_400000_NS6detail17trampoline_kernelINS0_14default_configENS1_22reduce_config_selectorIbEEZNS1_11reduce_implILb1ES3_N6hipcub16HIPCUB_304000_NS22TransformInputIteratorIb7NonZeroIaEPalEEPllNS8_6detail34convert_binary_result_type_wrapperINS8_3SumESD_lEEEE10hipError_tPvRmT1_T2_T3_mT4_P12ihipStream_tbEUlT_E1_NS1_11comp_targetILNS1_3genE2ELNS1_11target_archE906ELNS1_3gpuE6ELNS1_3repE0EEENS1_30default_config_static_selectorELNS0_4arch9wavefront6targetE1EEEvSM_,@function
_ZN7rocprim17ROCPRIM_400000_NS6detail17trampoline_kernelINS0_14default_configENS1_22reduce_config_selectorIbEEZNS1_11reduce_implILb1ES3_N6hipcub16HIPCUB_304000_NS22TransformInputIteratorIb7NonZeroIaEPalEEPllNS8_6detail34convert_binary_result_type_wrapperINS8_3SumESD_lEEEE10hipError_tPvRmT1_T2_T3_mT4_P12ihipStream_tbEUlT_E1_NS1_11comp_targetILNS1_3genE2ELNS1_11target_archE906ELNS1_3gpuE6ELNS1_3repE0EEENS1_30default_config_static_selectorELNS0_4arch9wavefront6targetE1EEEvSM_: ; @_ZN7rocprim17ROCPRIM_400000_NS6detail17trampoline_kernelINS0_14default_configENS1_22reduce_config_selectorIbEEZNS1_11reduce_implILb1ES3_N6hipcub16HIPCUB_304000_NS22TransformInputIteratorIb7NonZeroIaEPalEEPllNS8_6detail34convert_binary_result_type_wrapperINS8_3SumESD_lEEEE10hipError_tPvRmT1_T2_T3_mT4_P12ihipStream_tbEUlT_E1_NS1_11comp_targetILNS1_3genE2ELNS1_11target_archE906ELNS1_3gpuE6ELNS1_3repE0EEENS1_30default_config_static_selectorELNS0_4arch9wavefront6targetE1EEEvSM_
; %bb.0:
	.section	.rodata,"a",@progbits
	.p2align	6, 0x0
	.amdhsa_kernel _ZN7rocprim17ROCPRIM_400000_NS6detail17trampoline_kernelINS0_14default_configENS1_22reduce_config_selectorIbEEZNS1_11reduce_implILb1ES3_N6hipcub16HIPCUB_304000_NS22TransformInputIteratorIb7NonZeroIaEPalEEPllNS8_6detail34convert_binary_result_type_wrapperINS8_3SumESD_lEEEE10hipError_tPvRmT1_T2_T3_mT4_P12ihipStream_tbEUlT_E1_NS1_11comp_targetILNS1_3genE2ELNS1_11target_archE906ELNS1_3gpuE6ELNS1_3repE0EEENS1_30default_config_static_selectorELNS0_4arch9wavefront6targetE1EEEvSM_
		.amdhsa_group_segment_fixed_size 0
		.amdhsa_private_segment_fixed_size 0
		.amdhsa_kernarg_size 56
		.amdhsa_user_sgpr_count 2
		.amdhsa_user_sgpr_dispatch_ptr 0
		.amdhsa_user_sgpr_queue_ptr 0
		.amdhsa_user_sgpr_kernarg_segment_ptr 1
		.amdhsa_user_sgpr_dispatch_id 0
		.amdhsa_user_sgpr_kernarg_preload_length 0
		.amdhsa_user_sgpr_kernarg_preload_offset 0
		.amdhsa_user_sgpr_private_segment_size 0
		.amdhsa_uses_dynamic_stack 0
		.amdhsa_enable_private_segment 0
		.amdhsa_system_sgpr_workgroup_id_x 1
		.amdhsa_system_sgpr_workgroup_id_y 0
		.amdhsa_system_sgpr_workgroup_id_z 0
		.amdhsa_system_sgpr_workgroup_info 0
		.amdhsa_system_vgpr_workitem_id 0
		.amdhsa_next_free_vgpr 1
		.amdhsa_next_free_sgpr 0
		.amdhsa_accum_offset 4
		.amdhsa_reserve_vcc 0
		.amdhsa_float_round_mode_32 0
		.amdhsa_float_round_mode_16_64 0
		.amdhsa_float_denorm_mode_32 3
		.amdhsa_float_denorm_mode_16_64 3
		.amdhsa_dx10_clamp 1
		.amdhsa_ieee_mode 1
		.amdhsa_fp16_overflow 0
		.amdhsa_tg_split 0
		.amdhsa_exception_fp_ieee_invalid_op 0
		.amdhsa_exception_fp_denorm_src 0
		.amdhsa_exception_fp_ieee_div_zero 0
		.amdhsa_exception_fp_ieee_overflow 0
		.amdhsa_exception_fp_ieee_underflow 0
		.amdhsa_exception_fp_ieee_inexact 0
		.amdhsa_exception_int_div_zero 0
	.end_amdhsa_kernel
	.section	.text._ZN7rocprim17ROCPRIM_400000_NS6detail17trampoline_kernelINS0_14default_configENS1_22reduce_config_selectorIbEEZNS1_11reduce_implILb1ES3_N6hipcub16HIPCUB_304000_NS22TransformInputIteratorIb7NonZeroIaEPalEEPllNS8_6detail34convert_binary_result_type_wrapperINS8_3SumESD_lEEEE10hipError_tPvRmT1_T2_T3_mT4_P12ihipStream_tbEUlT_E1_NS1_11comp_targetILNS1_3genE2ELNS1_11target_archE906ELNS1_3gpuE6ELNS1_3repE0EEENS1_30default_config_static_selectorELNS0_4arch9wavefront6targetE1EEEvSM_,"axG",@progbits,_ZN7rocprim17ROCPRIM_400000_NS6detail17trampoline_kernelINS0_14default_configENS1_22reduce_config_selectorIbEEZNS1_11reduce_implILb1ES3_N6hipcub16HIPCUB_304000_NS22TransformInputIteratorIb7NonZeroIaEPalEEPllNS8_6detail34convert_binary_result_type_wrapperINS8_3SumESD_lEEEE10hipError_tPvRmT1_T2_T3_mT4_P12ihipStream_tbEUlT_E1_NS1_11comp_targetILNS1_3genE2ELNS1_11target_archE906ELNS1_3gpuE6ELNS1_3repE0EEENS1_30default_config_static_selectorELNS0_4arch9wavefront6targetE1EEEvSM_,comdat
.Lfunc_end31:
	.size	_ZN7rocprim17ROCPRIM_400000_NS6detail17trampoline_kernelINS0_14default_configENS1_22reduce_config_selectorIbEEZNS1_11reduce_implILb1ES3_N6hipcub16HIPCUB_304000_NS22TransformInputIteratorIb7NonZeroIaEPalEEPllNS8_6detail34convert_binary_result_type_wrapperINS8_3SumESD_lEEEE10hipError_tPvRmT1_T2_T3_mT4_P12ihipStream_tbEUlT_E1_NS1_11comp_targetILNS1_3genE2ELNS1_11target_archE906ELNS1_3gpuE6ELNS1_3repE0EEENS1_30default_config_static_selectorELNS0_4arch9wavefront6targetE1EEEvSM_, .Lfunc_end31-_ZN7rocprim17ROCPRIM_400000_NS6detail17trampoline_kernelINS0_14default_configENS1_22reduce_config_selectorIbEEZNS1_11reduce_implILb1ES3_N6hipcub16HIPCUB_304000_NS22TransformInputIteratorIb7NonZeroIaEPalEEPllNS8_6detail34convert_binary_result_type_wrapperINS8_3SumESD_lEEEE10hipError_tPvRmT1_T2_T3_mT4_P12ihipStream_tbEUlT_E1_NS1_11comp_targetILNS1_3genE2ELNS1_11target_archE906ELNS1_3gpuE6ELNS1_3repE0EEENS1_30default_config_static_selectorELNS0_4arch9wavefront6targetE1EEEvSM_
                                        ; -- End function
	.set _ZN7rocprim17ROCPRIM_400000_NS6detail17trampoline_kernelINS0_14default_configENS1_22reduce_config_selectorIbEEZNS1_11reduce_implILb1ES3_N6hipcub16HIPCUB_304000_NS22TransformInputIteratorIb7NonZeroIaEPalEEPllNS8_6detail34convert_binary_result_type_wrapperINS8_3SumESD_lEEEE10hipError_tPvRmT1_T2_T3_mT4_P12ihipStream_tbEUlT_E1_NS1_11comp_targetILNS1_3genE2ELNS1_11target_archE906ELNS1_3gpuE6ELNS1_3repE0EEENS1_30default_config_static_selectorELNS0_4arch9wavefront6targetE1EEEvSM_.num_vgpr, 0
	.set _ZN7rocprim17ROCPRIM_400000_NS6detail17trampoline_kernelINS0_14default_configENS1_22reduce_config_selectorIbEEZNS1_11reduce_implILb1ES3_N6hipcub16HIPCUB_304000_NS22TransformInputIteratorIb7NonZeroIaEPalEEPllNS8_6detail34convert_binary_result_type_wrapperINS8_3SumESD_lEEEE10hipError_tPvRmT1_T2_T3_mT4_P12ihipStream_tbEUlT_E1_NS1_11comp_targetILNS1_3genE2ELNS1_11target_archE906ELNS1_3gpuE6ELNS1_3repE0EEENS1_30default_config_static_selectorELNS0_4arch9wavefront6targetE1EEEvSM_.num_agpr, 0
	.set _ZN7rocprim17ROCPRIM_400000_NS6detail17trampoline_kernelINS0_14default_configENS1_22reduce_config_selectorIbEEZNS1_11reduce_implILb1ES3_N6hipcub16HIPCUB_304000_NS22TransformInputIteratorIb7NonZeroIaEPalEEPllNS8_6detail34convert_binary_result_type_wrapperINS8_3SumESD_lEEEE10hipError_tPvRmT1_T2_T3_mT4_P12ihipStream_tbEUlT_E1_NS1_11comp_targetILNS1_3genE2ELNS1_11target_archE906ELNS1_3gpuE6ELNS1_3repE0EEENS1_30default_config_static_selectorELNS0_4arch9wavefront6targetE1EEEvSM_.numbered_sgpr, 0
	.set _ZN7rocprim17ROCPRIM_400000_NS6detail17trampoline_kernelINS0_14default_configENS1_22reduce_config_selectorIbEEZNS1_11reduce_implILb1ES3_N6hipcub16HIPCUB_304000_NS22TransformInputIteratorIb7NonZeroIaEPalEEPllNS8_6detail34convert_binary_result_type_wrapperINS8_3SumESD_lEEEE10hipError_tPvRmT1_T2_T3_mT4_P12ihipStream_tbEUlT_E1_NS1_11comp_targetILNS1_3genE2ELNS1_11target_archE906ELNS1_3gpuE6ELNS1_3repE0EEENS1_30default_config_static_selectorELNS0_4arch9wavefront6targetE1EEEvSM_.num_named_barrier, 0
	.set _ZN7rocprim17ROCPRIM_400000_NS6detail17trampoline_kernelINS0_14default_configENS1_22reduce_config_selectorIbEEZNS1_11reduce_implILb1ES3_N6hipcub16HIPCUB_304000_NS22TransformInputIteratorIb7NonZeroIaEPalEEPllNS8_6detail34convert_binary_result_type_wrapperINS8_3SumESD_lEEEE10hipError_tPvRmT1_T2_T3_mT4_P12ihipStream_tbEUlT_E1_NS1_11comp_targetILNS1_3genE2ELNS1_11target_archE906ELNS1_3gpuE6ELNS1_3repE0EEENS1_30default_config_static_selectorELNS0_4arch9wavefront6targetE1EEEvSM_.private_seg_size, 0
	.set _ZN7rocprim17ROCPRIM_400000_NS6detail17trampoline_kernelINS0_14default_configENS1_22reduce_config_selectorIbEEZNS1_11reduce_implILb1ES3_N6hipcub16HIPCUB_304000_NS22TransformInputIteratorIb7NonZeroIaEPalEEPllNS8_6detail34convert_binary_result_type_wrapperINS8_3SumESD_lEEEE10hipError_tPvRmT1_T2_T3_mT4_P12ihipStream_tbEUlT_E1_NS1_11comp_targetILNS1_3genE2ELNS1_11target_archE906ELNS1_3gpuE6ELNS1_3repE0EEENS1_30default_config_static_selectorELNS0_4arch9wavefront6targetE1EEEvSM_.uses_vcc, 0
	.set _ZN7rocprim17ROCPRIM_400000_NS6detail17trampoline_kernelINS0_14default_configENS1_22reduce_config_selectorIbEEZNS1_11reduce_implILb1ES3_N6hipcub16HIPCUB_304000_NS22TransformInputIteratorIb7NonZeroIaEPalEEPllNS8_6detail34convert_binary_result_type_wrapperINS8_3SumESD_lEEEE10hipError_tPvRmT1_T2_T3_mT4_P12ihipStream_tbEUlT_E1_NS1_11comp_targetILNS1_3genE2ELNS1_11target_archE906ELNS1_3gpuE6ELNS1_3repE0EEENS1_30default_config_static_selectorELNS0_4arch9wavefront6targetE1EEEvSM_.uses_flat_scratch, 0
	.set _ZN7rocprim17ROCPRIM_400000_NS6detail17trampoline_kernelINS0_14default_configENS1_22reduce_config_selectorIbEEZNS1_11reduce_implILb1ES3_N6hipcub16HIPCUB_304000_NS22TransformInputIteratorIb7NonZeroIaEPalEEPllNS8_6detail34convert_binary_result_type_wrapperINS8_3SumESD_lEEEE10hipError_tPvRmT1_T2_T3_mT4_P12ihipStream_tbEUlT_E1_NS1_11comp_targetILNS1_3genE2ELNS1_11target_archE906ELNS1_3gpuE6ELNS1_3repE0EEENS1_30default_config_static_selectorELNS0_4arch9wavefront6targetE1EEEvSM_.has_dyn_sized_stack, 0
	.set _ZN7rocprim17ROCPRIM_400000_NS6detail17trampoline_kernelINS0_14default_configENS1_22reduce_config_selectorIbEEZNS1_11reduce_implILb1ES3_N6hipcub16HIPCUB_304000_NS22TransformInputIteratorIb7NonZeroIaEPalEEPllNS8_6detail34convert_binary_result_type_wrapperINS8_3SumESD_lEEEE10hipError_tPvRmT1_T2_T3_mT4_P12ihipStream_tbEUlT_E1_NS1_11comp_targetILNS1_3genE2ELNS1_11target_archE906ELNS1_3gpuE6ELNS1_3repE0EEENS1_30default_config_static_selectorELNS0_4arch9wavefront6targetE1EEEvSM_.has_recursion, 0
	.set _ZN7rocprim17ROCPRIM_400000_NS6detail17trampoline_kernelINS0_14default_configENS1_22reduce_config_selectorIbEEZNS1_11reduce_implILb1ES3_N6hipcub16HIPCUB_304000_NS22TransformInputIteratorIb7NonZeroIaEPalEEPllNS8_6detail34convert_binary_result_type_wrapperINS8_3SumESD_lEEEE10hipError_tPvRmT1_T2_T3_mT4_P12ihipStream_tbEUlT_E1_NS1_11comp_targetILNS1_3genE2ELNS1_11target_archE906ELNS1_3gpuE6ELNS1_3repE0EEENS1_30default_config_static_selectorELNS0_4arch9wavefront6targetE1EEEvSM_.has_indirect_call, 0
	.section	.AMDGPU.csdata,"",@progbits
; Kernel info:
; codeLenInByte = 0
; TotalNumSgprs: 6
; NumVgprs: 0
; NumAgprs: 0
; TotalNumVgprs: 0
; ScratchSize: 0
; MemoryBound: 0
; FloatMode: 240
; IeeeMode: 1
; LDSByteSize: 0 bytes/workgroup (compile time only)
; SGPRBlocks: 0
; VGPRBlocks: 0
; NumSGPRsForWavesPerEU: 6
; NumVGPRsForWavesPerEU: 1
; AccumOffset: 4
; Occupancy: 8
; WaveLimiterHint : 0
; COMPUTE_PGM_RSRC2:SCRATCH_EN: 0
; COMPUTE_PGM_RSRC2:USER_SGPR: 2
; COMPUTE_PGM_RSRC2:TRAP_HANDLER: 0
; COMPUTE_PGM_RSRC2:TGID_X_EN: 1
; COMPUTE_PGM_RSRC2:TGID_Y_EN: 0
; COMPUTE_PGM_RSRC2:TGID_Z_EN: 0
; COMPUTE_PGM_RSRC2:TIDIG_COMP_CNT: 0
; COMPUTE_PGM_RSRC3_GFX90A:ACCUM_OFFSET: 0
; COMPUTE_PGM_RSRC3_GFX90A:TG_SPLIT: 0
	.section	.text._ZN7rocprim17ROCPRIM_400000_NS6detail17trampoline_kernelINS0_14default_configENS1_22reduce_config_selectorIbEEZNS1_11reduce_implILb1ES3_N6hipcub16HIPCUB_304000_NS22TransformInputIteratorIb7NonZeroIaEPalEEPllNS8_6detail34convert_binary_result_type_wrapperINS8_3SumESD_lEEEE10hipError_tPvRmT1_T2_T3_mT4_P12ihipStream_tbEUlT_E1_NS1_11comp_targetILNS1_3genE10ELNS1_11target_archE1201ELNS1_3gpuE5ELNS1_3repE0EEENS1_30default_config_static_selectorELNS0_4arch9wavefront6targetE1EEEvSM_,"axG",@progbits,_ZN7rocprim17ROCPRIM_400000_NS6detail17trampoline_kernelINS0_14default_configENS1_22reduce_config_selectorIbEEZNS1_11reduce_implILb1ES3_N6hipcub16HIPCUB_304000_NS22TransformInputIteratorIb7NonZeroIaEPalEEPllNS8_6detail34convert_binary_result_type_wrapperINS8_3SumESD_lEEEE10hipError_tPvRmT1_T2_T3_mT4_P12ihipStream_tbEUlT_E1_NS1_11comp_targetILNS1_3genE10ELNS1_11target_archE1201ELNS1_3gpuE5ELNS1_3repE0EEENS1_30default_config_static_selectorELNS0_4arch9wavefront6targetE1EEEvSM_,comdat
	.protected	_ZN7rocprim17ROCPRIM_400000_NS6detail17trampoline_kernelINS0_14default_configENS1_22reduce_config_selectorIbEEZNS1_11reduce_implILb1ES3_N6hipcub16HIPCUB_304000_NS22TransformInputIteratorIb7NonZeroIaEPalEEPllNS8_6detail34convert_binary_result_type_wrapperINS8_3SumESD_lEEEE10hipError_tPvRmT1_T2_T3_mT4_P12ihipStream_tbEUlT_E1_NS1_11comp_targetILNS1_3genE10ELNS1_11target_archE1201ELNS1_3gpuE5ELNS1_3repE0EEENS1_30default_config_static_selectorELNS0_4arch9wavefront6targetE1EEEvSM_ ; -- Begin function _ZN7rocprim17ROCPRIM_400000_NS6detail17trampoline_kernelINS0_14default_configENS1_22reduce_config_selectorIbEEZNS1_11reduce_implILb1ES3_N6hipcub16HIPCUB_304000_NS22TransformInputIteratorIb7NonZeroIaEPalEEPllNS8_6detail34convert_binary_result_type_wrapperINS8_3SumESD_lEEEE10hipError_tPvRmT1_T2_T3_mT4_P12ihipStream_tbEUlT_E1_NS1_11comp_targetILNS1_3genE10ELNS1_11target_archE1201ELNS1_3gpuE5ELNS1_3repE0EEENS1_30default_config_static_selectorELNS0_4arch9wavefront6targetE1EEEvSM_
	.globl	_ZN7rocprim17ROCPRIM_400000_NS6detail17trampoline_kernelINS0_14default_configENS1_22reduce_config_selectorIbEEZNS1_11reduce_implILb1ES3_N6hipcub16HIPCUB_304000_NS22TransformInputIteratorIb7NonZeroIaEPalEEPllNS8_6detail34convert_binary_result_type_wrapperINS8_3SumESD_lEEEE10hipError_tPvRmT1_T2_T3_mT4_P12ihipStream_tbEUlT_E1_NS1_11comp_targetILNS1_3genE10ELNS1_11target_archE1201ELNS1_3gpuE5ELNS1_3repE0EEENS1_30default_config_static_selectorELNS0_4arch9wavefront6targetE1EEEvSM_
	.p2align	8
	.type	_ZN7rocprim17ROCPRIM_400000_NS6detail17trampoline_kernelINS0_14default_configENS1_22reduce_config_selectorIbEEZNS1_11reduce_implILb1ES3_N6hipcub16HIPCUB_304000_NS22TransformInputIteratorIb7NonZeroIaEPalEEPllNS8_6detail34convert_binary_result_type_wrapperINS8_3SumESD_lEEEE10hipError_tPvRmT1_T2_T3_mT4_P12ihipStream_tbEUlT_E1_NS1_11comp_targetILNS1_3genE10ELNS1_11target_archE1201ELNS1_3gpuE5ELNS1_3repE0EEENS1_30default_config_static_selectorELNS0_4arch9wavefront6targetE1EEEvSM_,@function
_ZN7rocprim17ROCPRIM_400000_NS6detail17trampoline_kernelINS0_14default_configENS1_22reduce_config_selectorIbEEZNS1_11reduce_implILb1ES3_N6hipcub16HIPCUB_304000_NS22TransformInputIteratorIb7NonZeroIaEPalEEPllNS8_6detail34convert_binary_result_type_wrapperINS8_3SumESD_lEEEE10hipError_tPvRmT1_T2_T3_mT4_P12ihipStream_tbEUlT_E1_NS1_11comp_targetILNS1_3genE10ELNS1_11target_archE1201ELNS1_3gpuE5ELNS1_3repE0EEENS1_30default_config_static_selectorELNS0_4arch9wavefront6targetE1EEEvSM_: ; @_ZN7rocprim17ROCPRIM_400000_NS6detail17trampoline_kernelINS0_14default_configENS1_22reduce_config_selectorIbEEZNS1_11reduce_implILb1ES3_N6hipcub16HIPCUB_304000_NS22TransformInputIteratorIb7NonZeroIaEPalEEPllNS8_6detail34convert_binary_result_type_wrapperINS8_3SumESD_lEEEE10hipError_tPvRmT1_T2_T3_mT4_P12ihipStream_tbEUlT_E1_NS1_11comp_targetILNS1_3genE10ELNS1_11target_archE1201ELNS1_3gpuE5ELNS1_3repE0EEENS1_30default_config_static_selectorELNS0_4arch9wavefront6targetE1EEEvSM_
; %bb.0:
	.section	.rodata,"a",@progbits
	.p2align	6, 0x0
	.amdhsa_kernel _ZN7rocprim17ROCPRIM_400000_NS6detail17trampoline_kernelINS0_14default_configENS1_22reduce_config_selectorIbEEZNS1_11reduce_implILb1ES3_N6hipcub16HIPCUB_304000_NS22TransformInputIteratorIb7NonZeroIaEPalEEPllNS8_6detail34convert_binary_result_type_wrapperINS8_3SumESD_lEEEE10hipError_tPvRmT1_T2_T3_mT4_P12ihipStream_tbEUlT_E1_NS1_11comp_targetILNS1_3genE10ELNS1_11target_archE1201ELNS1_3gpuE5ELNS1_3repE0EEENS1_30default_config_static_selectorELNS0_4arch9wavefront6targetE1EEEvSM_
		.amdhsa_group_segment_fixed_size 0
		.amdhsa_private_segment_fixed_size 0
		.amdhsa_kernarg_size 56
		.amdhsa_user_sgpr_count 2
		.amdhsa_user_sgpr_dispatch_ptr 0
		.amdhsa_user_sgpr_queue_ptr 0
		.amdhsa_user_sgpr_kernarg_segment_ptr 1
		.amdhsa_user_sgpr_dispatch_id 0
		.amdhsa_user_sgpr_kernarg_preload_length 0
		.amdhsa_user_sgpr_kernarg_preload_offset 0
		.amdhsa_user_sgpr_private_segment_size 0
		.amdhsa_uses_dynamic_stack 0
		.amdhsa_enable_private_segment 0
		.amdhsa_system_sgpr_workgroup_id_x 1
		.amdhsa_system_sgpr_workgroup_id_y 0
		.amdhsa_system_sgpr_workgroup_id_z 0
		.amdhsa_system_sgpr_workgroup_info 0
		.amdhsa_system_vgpr_workitem_id 0
		.amdhsa_next_free_vgpr 1
		.amdhsa_next_free_sgpr 0
		.amdhsa_accum_offset 4
		.amdhsa_reserve_vcc 0
		.amdhsa_float_round_mode_32 0
		.amdhsa_float_round_mode_16_64 0
		.amdhsa_float_denorm_mode_32 3
		.amdhsa_float_denorm_mode_16_64 3
		.amdhsa_dx10_clamp 1
		.amdhsa_ieee_mode 1
		.amdhsa_fp16_overflow 0
		.amdhsa_tg_split 0
		.amdhsa_exception_fp_ieee_invalid_op 0
		.amdhsa_exception_fp_denorm_src 0
		.amdhsa_exception_fp_ieee_div_zero 0
		.amdhsa_exception_fp_ieee_overflow 0
		.amdhsa_exception_fp_ieee_underflow 0
		.amdhsa_exception_fp_ieee_inexact 0
		.amdhsa_exception_int_div_zero 0
	.end_amdhsa_kernel
	.section	.text._ZN7rocprim17ROCPRIM_400000_NS6detail17trampoline_kernelINS0_14default_configENS1_22reduce_config_selectorIbEEZNS1_11reduce_implILb1ES3_N6hipcub16HIPCUB_304000_NS22TransformInputIteratorIb7NonZeroIaEPalEEPllNS8_6detail34convert_binary_result_type_wrapperINS8_3SumESD_lEEEE10hipError_tPvRmT1_T2_T3_mT4_P12ihipStream_tbEUlT_E1_NS1_11comp_targetILNS1_3genE10ELNS1_11target_archE1201ELNS1_3gpuE5ELNS1_3repE0EEENS1_30default_config_static_selectorELNS0_4arch9wavefront6targetE1EEEvSM_,"axG",@progbits,_ZN7rocprim17ROCPRIM_400000_NS6detail17trampoline_kernelINS0_14default_configENS1_22reduce_config_selectorIbEEZNS1_11reduce_implILb1ES3_N6hipcub16HIPCUB_304000_NS22TransformInputIteratorIb7NonZeroIaEPalEEPllNS8_6detail34convert_binary_result_type_wrapperINS8_3SumESD_lEEEE10hipError_tPvRmT1_T2_T3_mT4_P12ihipStream_tbEUlT_E1_NS1_11comp_targetILNS1_3genE10ELNS1_11target_archE1201ELNS1_3gpuE5ELNS1_3repE0EEENS1_30default_config_static_selectorELNS0_4arch9wavefront6targetE1EEEvSM_,comdat
.Lfunc_end32:
	.size	_ZN7rocprim17ROCPRIM_400000_NS6detail17trampoline_kernelINS0_14default_configENS1_22reduce_config_selectorIbEEZNS1_11reduce_implILb1ES3_N6hipcub16HIPCUB_304000_NS22TransformInputIteratorIb7NonZeroIaEPalEEPllNS8_6detail34convert_binary_result_type_wrapperINS8_3SumESD_lEEEE10hipError_tPvRmT1_T2_T3_mT4_P12ihipStream_tbEUlT_E1_NS1_11comp_targetILNS1_3genE10ELNS1_11target_archE1201ELNS1_3gpuE5ELNS1_3repE0EEENS1_30default_config_static_selectorELNS0_4arch9wavefront6targetE1EEEvSM_, .Lfunc_end32-_ZN7rocprim17ROCPRIM_400000_NS6detail17trampoline_kernelINS0_14default_configENS1_22reduce_config_selectorIbEEZNS1_11reduce_implILb1ES3_N6hipcub16HIPCUB_304000_NS22TransformInputIteratorIb7NonZeroIaEPalEEPllNS8_6detail34convert_binary_result_type_wrapperINS8_3SumESD_lEEEE10hipError_tPvRmT1_T2_T3_mT4_P12ihipStream_tbEUlT_E1_NS1_11comp_targetILNS1_3genE10ELNS1_11target_archE1201ELNS1_3gpuE5ELNS1_3repE0EEENS1_30default_config_static_selectorELNS0_4arch9wavefront6targetE1EEEvSM_
                                        ; -- End function
	.set _ZN7rocprim17ROCPRIM_400000_NS6detail17trampoline_kernelINS0_14default_configENS1_22reduce_config_selectorIbEEZNS1_11reduce_implILb1ES3_N6hipcub16HIPCUB_304000_NS22TransformInputIteratorIb7NonZeroIaEPalEEPllNS8_6detail34convert_binary_result_type_wrapperINS8_3SumESD_lEEEE10hipError_tPvRmT1_T2_T3_mT4_P12ihipStream_tbEUlT_E1_NS1_11comp_targetILNS1_3genE10ELNS1_11target_archE1201ELNS1_3gpuE5ELNS1_3repE0EEENS1_30default_config_static_selectorELNS0_4arch9wavefront6targetE1EEEvSM_.num_vgpr, 0
	.set _ZN7rocprim17ROCPRIM_400000_NS6detail17trampoline_kernelINS0_14default_configENS1_22reduce_config_selectorIbEEZNS1_11reduce_implILb1ES3_N6hipcub16HIPCUB_304000_NS22TransformInputIteratorIb7NonZeroIaEPalEEPllNS8_6detail34convert_binary_result_type_wrapperINS8_3SumESD_lEEEE10hipError_tPvRmT1_T2_T3_mT4_P12ihipStream_tbEUlT_E1_NS1_11comp_targetILNS1_3genE10ELNS1_11target_archE1201ELNS1_3gpuE5ELNS1_3repE0EEENS1_30default_config_static_selectorELNS0_4arch9wavefront6targetE1EEEvSM_.num_agpr, 0
	.set _ZN7rocprim17ROCPRIM_400000_NS6detail17trampoline_kernelINS0_14default_configENS1_22reduce_config_selectorIbEEZNS1_11reduce_implILb1ES3_N6hipcub16HIPCUB_304000_NS22TransformInputIteratorIb7NonZeroIaEPalEEPllNS8_6detail34convert_binary_result_type_wrapperINS8_3SumESD_lEEEE10hipError_tPvRmT1_T2_T3_mT4_P12ihipStream_tbEUlT_E1_NS1_11comp_targetILNS1_3genE10ELNS1_11target_archE1201ELNS1_3gpuE5ELNS1_3repE0EEENS1_30default_config_static_selectorELNS0_4arch9wavefront6targetE1EEEvSM_.numbered_sgpr, 0
	.set _ZN7rocprim17ROCPRIM_400000_NS6detail17trampoline_kernelINS0_14default_configENS1_22reduce_config_selectorIbEEZNS1_11reduce_implILb1ES3_N6hipcub16HIPCUB_304000_NS22TransformInputIteratorIb7NonZeroIaEPalEEPllNS8_6detail34convert_binary_result_type_wrapperINS8_3SumESD_lEEEE10hipError_tPvRmT1_T2_T3_mT4_P12ihipStream_tbEUlT_E1_NS1_11comp_targetILNS1_3genE10ELNS1_11target_archE1201ELNS1_3gpuE5ELNS1_3repE0EEENS1_30default_config_static_selectorELNS0_4arch9wavefront6targetE1EEEvSM_.num_named_barrier, 0
	.set _ZN7rocprim17ROCPRIM_400000_NS6detail17trampoline_kernelINS0_14default_configENS1_22reduce_config_selectorIbEEZNS1_11reduce_implILb1ES3_N6hipcub16HIPCUB_304000_NS22TransformInputIteratorIb7NonZeroIaEPalEEPllNS8_6detail34convert_binary_result_type_wrapperINS8_3SumESD_lEEEE10hipError_tPvRmT1_T2_T3_mT4_P12ihipStream_tbEUlT_E1_NS1_11comp_targetILNS1_3genE10ELNS1_11target_archE1201ELNS1_3gpuE5ELNS1_3repE0EEENS1_30default_config_static_selectorELNS0_4arch9wavefront6targetE1EEEvSM_.private_seg_size, 0
	.set _ZN7rocprim17ROCPRIM_400000_NS6detail17trampoline_kernelINS0_14default_configENS1_22reduce_config_selectorIbEEZNS1_11reduce_implILb1ES3_N6hipcub16HIPCUB_304000_NS22TransformInputIteratorIb7NonZeroIaEPalEEPllNS8_6detail34convert_binary_result_type_wrapperINS8_3SumESD_lEEEE10hipError_tPvRmT1_T2_T3_mT4_P12ihipStream_tbEUlT_E1_NS1_11comp_targetILNS1_3genE10ELNS1_11target_archE1201ELNS1_3gpuE5ELNS1_3repE0EEENS1_30default_config_static_selectorELNS0_4arch9wavefront6targetE1EEEvSM_.uses_vcc, 0
	.set _ZN7rocprim17ROCPRIM_400000_NS6detail17trampoline_kernelINS0_14default_configENS1_22reduce_config_selectorIbEEZNS1_11reduce_implILb1ES3_N6hipcub16HIPCUB_304000_NS22TransformInputIteratorIb7NonZeroIaEPalEEPllNS8_6detail34convert_binary_result_type_wrapperINS8_3SumESD_lEEEE10hipError_tPvRmT1_T2_T3_mT4_P12ihipStream_tbEUlT_E1_NS1_11comp_targetILNS1_3genE10ELNS1_11target_archE1201ELNS1_3gpuE5ELNS1_3repE0EEENS1_30default_config_static_selectorELNS0_4arch9wavefront6targetE1EEEvSM_.uses_flat_scratch, 0
	.set _ZN7rocprim17ROCPRIM_400000_NS6detail17trampoline_kernelINS0_14default_configENS1_22reduce_config_selectorIbEEZNS1_11reduce_implILb1ES3_N6hipcub16HIPCUB_304000_NS22TransformInputIteratorIb7NonZeroIaEPalEEPllNS8_6detail34convert_binary_result_type_wrapperINS8_3SumESD_lEEEE10hipError_tPvRmT1_T2_T3_mT4_P12ihipStream_tbEUlT_E1_NS1_11comp_targetILNS1_3genE10ELNS1_11target_archE1201ELNS1_3gpuE5ELNS1_3repE0EEENS1_30default_config_static_selectorELNS0_4arch9wavefront6targetE1EEEvSM_.has_dyn_sized_stack, 0
	.set _ZN7rocprim17ROCPRIM_400000_NS6detail17trampoline_kernelINS0_14default_configENS1_22reduce_config_selectorIbEEZNS1_11reduce_implILb1ES3_N6hipcub16HIPCUB_304000_NS22TransformInputIteratorIb7NonZeroIaEPalEEPllNS8_6detail34convert_binary_result_type_wrapperINS8_3SumESD_lEEEE10hipError_tPvRmT1_T2_T3_mT4_P12ihipStream_tbEUlT_E1_NS1_11comp_targetILNS1_3genE10ELNS1_11target_archE1201ELNS1_3gpuE5ELNS1_3repE0EEENS1_30default_config_static_selectorELNS0_4arch9wavefront6targetE1EEEvSM_.has_recursion, 0
	.set _ZN7rocprim17ROCPRIM_400000_NS6detail17trampoline_kernelINS0_14default_configENS1_22reduce_config_selectorIbEEZNS1_11reduce_implILb1ES3_N6hipcub16HIPCUB_304000_NS22TransformInputIteratorIb7NonZeroIaEPalEEPllNS8_6detail34convert_binary_result_type_wrapperINS8_3SumESD_lEEEE10hipError_tPvRmT1_T2_T3_mT4_P12ihipStream_tbEUlT_E1_NS1_11comp_targetILNS1_3genE10ELNS1_11target_archE1201ELNS1_3gpuE5ELNS1_3repE0EEENS1_30default_config_static_selectorELNS0_4arch9wavefront6targetE1EEEvSM_.has_indirect_call, 0
	.section	.AMDGPU.csdata,"",@progbits
; Kernel info:
; codeLenInByte = 0
; TotalNumSgprs: 6
; NumVgprs: 0
; NumAgprs: 0
; TotalNumVgprs: 0
; ScratchSize: 0
; MemoryBound: 0
; FloatMode: 240
; IeeeMode: 1
; LDSByteSize: 0 bytes/workgroup (compile time only)
; SGPRBlocks: 0
; VGPRBlocks: 0
; NumSGPRsForWavesPerEU: 6
; NumVGPRsForWavesPerEU: 1
; AccumOffset: 4
; Occupancy: 8
; WaveLimiterHint : 0
; COMPUTE_PGM_RSRC2:SCRATCH_EN: 0
; COMPUTE_PGM_RSRC2:USER_SGPR: 2
; COMPUTE_PGM_RSRC2:TRAP_HANDLER: 0
; COMPUTE_PGM_RSRC2:TGID_X_EN: 1
; COMPUTE_PGM_RSRC2:TGID_Y_EN: 0
; COMPUTE_PGM_RSRC2:TGID_Z_EN: 0
; COMPUTE_PGM_RSRC2:TIDIG_COMP_CNT: 0
; COMPUTE_PGM_RSRC3_GFX90A:ACCUM_OFFSET: 0
; COMPUTE_PGM_RSRC3_GFX90A:TG_SPLIT: 0
	.section	.text._ZN7rocprim17ROCPRIM_400000_NS6detail17trampoline_kernelINS0_14default_configENS1_22reduce_config_selectorIbEEZNS1_11reduce_implILb1ES3_N6hipcub16HIPCUB_304000_NS22TransformInputIteratorIb7NonZeroIaEPalEEPllNS8_6detail34convert_binary_result_type_wrapperINS8_3SumESD_lEEEE10hipError_tPvRmT1_T2_T3_mT4_P12ihipStream_tbEUlT_E1_NS1_11comp_targetILNS1_3genE10ELNS1_11target_archE1200ELNS1_3gpuE4ELNS1_3repE0EEENS1_30default_config_static_selectorELNS0_4arch9wavefront6targetE1EEEvSM_,"axG",@progbits,_ZN7rocprim17ROCPRIM_400000_NS6detail17trampoline_kernelINS0_14default_configENS1_22reduce_config_selectorIbEEZNS1_11reduce_implILb1ES3_N6hipcub16HIPCUB_304000_NS22TransformInputIteratorIb7NonZeroIaEPalEEPllNS8_6detail34convert_binary_result_type_wrapperINS8_3SumESD_lEEEE10hipError_tPvRmT1_T2_T3_mT4_P12ihipStream_tbEUlT_E1_NS1_11comp_targetILNS1_3genE10ELNS1_11target_archE1200ELNS1_3gpuE4ELNS1_3repE0EEENS1_30default_config_static_selectorELNS0_4arch9wavefront6targetE1EEEvSM_,comdat
	.protected	_ZN7rocprim17ROCPRIM_400000_NS6detail17trampoline_kernelINS0_14default_configENS1_22reduce_config_selectorIbEEZNS1_11reduce_implILb1ES3_N6hipcub16HIPCUB_304000_NS22TransformInputIteratorIb7NonZeroIaEPalEEPllNS8_6detail34convert_binary_result_type_wrapperINS8_3SumESD_lEEEE10hipError_tPvRmT1_T2_T3_mT4_P12ihipStream_tbEUlT_E1_NS1_11comp_targetILNS1_3genE10ELNS1_11target_archE1200ELNS1_3gpuE4ELNS1_3repE0EEENS1_30default_config_static_selectorELNS0_4arch9wavefront6targetE1EEEvSM_ ; -- Begin function _ZN7rocprim17ROCPRIM_400000_NS6detail17trampoline_kernelINS0_14default_configENS1_22reduce_config_selectorIbEEZNS1_11reduce_implILb1ES3_N6hipcub16HIPCUB_304000_NS22TransformInputIteratorIb7NonZeroIaEPalEEPllNS8_6detail34convert_binary_result_type_wrapperINS8_3SumESD_lEEEE10hipError_tPvRmT1_T2_T3_mT4_P12ihipStream_tbEUlT_E1_NS1_11comp_targetILNS1_3genE10ELNS1_11target_archE1200ELNS1_3gpuE4ELNS1_3repE0EEENS1_30default_config_static_selectorELNS0_4arch9wavefront6targetE1EEEvSM_
	.globl	_ZN7rocprim17ROCPRIM_400000_NS6detail17trampoline_kernelINS0_14default_configENS1_22reduce_config_selectorIbEEZNS1_11reduce_implILb1ES3_N6hipcub16HIPCUB_304000_NS22TransformInputIteratorIb7NonZeroIaEPalEEPllNS8_6detail34convert_binary_result_type_wrapperINS8_3SumESD_lEEEE10hipError_tPvRmT1_T2_T3_mT4_P12ihipStream_tbEUlT_E1_NS1_11comp_targetILNS1_3genE10ELNS1_11target_archE1200ELNS1_3gpuE4ELNS1_3repE0EEENS1_30default_config_static_selectorELNS0_4arch9wavefront6targetE1EEEvSM_
	.p2align	8
	.type	_ZN7rocprim17ROCPRIM_400000_NS6detail17trampoline_kernelINS0_14default_configENS1_22reduce_config_selectorIbEEZNS1_11reduce_implILb1ES3_N6hipcub16HIPCUB_304000_NS22TransformInputIteratorIb7NonZeroIaEPalEEPllNS8_6detail34convert_binary_result_type_wrapperINS8_3SumESD_lEEEE10hipError_tPvRmT1_T2_T3_mT4_P12ihipStream_tbEUlT_E1_NS1_11comp_targetILNS1_3genE10ELNS1_11target_archE1200ELNS1_3gpuE4ELNS1_3repE0EEENS1_30default_config_static_selectorELNS0_4arch9wavefront6targetE1EEEvSM_,@function
_ZN7rocprim17ROCPRIM_400000_NS6detail17trampoline_kernelINS0_14default_configENS1_22reduce_config_selectorIbEEZNS1_11reduce_implILb1ES3_N6hipcub16HIPCUB_304000_NS22TransformInputIteratorIb7NonZeroIaEPalEEPllNS8_6detail34convert_binary_result_type_wrapperINS8_3SumESD_lEEEE10hipError_tPvRmT1_T2_T3_mT4_P12ihipStream_tbEUlT_E1_NS1_11comp_targetILNS1_3genE10ELNS1_11target_archE1200ELNS1_3gpuE4ELNS1_3repE0EEENS1_30default_config_static_selectorELNS0_4arch9wavefront6targetE1EEEvSM_: ; @_ZN7rocprim17ROCPRIM_400000_NS6detail17trampoline_kernelINS0_14default_configENS1_22reduce_config_selectorIbEEZNS1_11reduce_implILb1ES3_N6hipcub16HIPCUB_304000_NS22TransformInputIteratorIb7NonZeroIaEPalEEPllNS8_6detail34convert_binary_result_type_wrapperINS8_3SumESD_lEEEE10hipError_tPvRmT1_T2_T3_mT4_P12ihipStream_tbEUlT_E1_NS1_11comp_targetILNS1_3genE10ELNS1_11target_archE1200ELNS1_3gpuE4ELNS1_3repE0EEENS1_30default_config_static_selectorELNS0_4arch9wavefront6targetE1EEEvSM_
; %bb.0:
	.section	.rodata,"a",@progbits
	.p2align	6, 0x0
	.amdhsa_kernel _ZN7rocprim17ROCPRIM_400000_NS6detail17trampoline_kernelINS0_14default_configENS1_22reduce_config_selectorIbEEZNS1_11reduce_implILb1ES3_N6hipcub16HIPCUB_304000_NS22TransformInputIteratorIb7NonZeroIaEPalEEPllNS8_6detail34convert_binary_result_type_wrapperINS8_3SumESD_lEEEE10hipError_tPvRmT1_T2_T3_mT4_P12ihipStream_tbEUlT_E1_NS1_11comp_targetILNS1_3genE10ELNS1_11target_archE1200ELNS1_3gpuE4ELNS1_3repE0EEENS1_30default_config_static_selectorELNS0_4arch9wavefront6targetE1EEEvSM_
		.amdhsa_group_segment_fixed_size 0
		.amdhsa_private_segment_fixed_size 0
		.amdhsa_kernarg_size 56
		.amdhsa_user_sgpr_count 2
		.amdhsa_user_sgpr_dispatch_ptr 0
		.amdhsa_user_sgpr_queue_ptr 0
		.amdhsa_user_sgpr_kernarg_segment_ptr 1
		.amdhsa_user_sgpr_dispatch_id 0
		.amdhsa_user_sgpr_kernarg_preload_length 0
		.amdhsa_user_sgpr_kernarg_preload_offset 0
		.amdhsa_user_sgpr_private_segment_size 0
		.amdhsa_uses_dynamic_stack 0
		.amdhsa_enable_private_segment 0
		.amdhsa_system_sgpr_workgroup_id_x 1
		.amdhsa_system_sgpr_workgroup_id_y 0
		.amdhsa_system_sgpr_workgroup_id_z 0
		.amdhsa_system_sgpr_workgroup_info 0
		.amdhsa_system_vgpr_workitem_id 0
		.amdhsa_next_free_vgpr 1
		.amdhsa_next_free_sgpr 0
		.amdhsa_accum_offset 4
		.amdhsa_reserve_vcc 0
		.amdhsa_float_round_mode_32 0
		.amdhsa_float_round_mode_16_64 0
		.amdhsa_float_denorm_mode_32 3
		.amdhsa_float_denorm_mode_16_64 3
		.amdhsa_dx10_clamp 1
		.amdhsa_ieee_mode 1
		.amdhsa_fp16_overflow 0
		.amdhsa_tg_split 0
		.amdhsa_exception_fp_ieee_invalid_op 0
		.amdhsa_exception_fp_denorm_src 0
		.amdhsa_exception_fp_ieee_div_zero 0
		.amdhsa_exception_fp_ieee_overflow 0
		.amdhsa_exception_fp_ieee_underflow 0
		.amdhsa_exception_fp_ieee_inexact 0
		.amdhsa_exception_int_div_zero 0
	.end_amdhsa_kernel
	.section	.text._ZN7rocprim17ROCPRIM_400000_NS6detail17trampoline_kernelINS0_14default_configENS1_22reduce_config_selectorIbEEZNS1_11reduce_implILb1ES3_N6hipcub16HIPCUB_304000_NS22TransformInputIteratorIb7NonZeroIaEPalEEPllNS8_6detail34convert_binary_result_type_wrapperINS8_3SumESD_lEEEE10hipError_tPvRmT1_T2_T3_mT4_P12ihipStream_tbEUlT_E1_NS1_11comp_targetILNS1_3genE10ELNS1_11target_archE1200ELNS1_3gpuE4ELNS1_3repE0EEENS1_30default_config_static_selectorELNS0_4arch9wavefront6targetE1EEEvSM_,"axG",@progbits,_ZN7rocprim17ROCPRIM_400000_NS6detail17trampoline_kernelINS0_14default_configENS1_22reduce_config_selectorIbEEZNS1_11reduce_implILb1ES3_N6hipcub16HIPCUB_304000_NS22TransformInputIteratorIb7NonZeroIaEPalEEPllNS8_6detail34convert_binary_result_type_wrapperINS8_3SumESD_lEEEE10hipError_tPvRmT1_T2_T3_mT4_P12ihipStream_tbEUlT_E1_NS1_11comp_targetILNS1_3genE10ELNS1_11target_archE1200ELNS1_3gpuE4ELNS1_3repE0EEENS1_30default_config_static_selectorELNS0_4arch9wavefront6targetE1EEEvSM_,comdat
.Lfunc_end33:
	.size	_ZN7rocprim17ROCPRIM_400000_NS6detail17trampoline_kernelINS0_14default_configENS1_22reduce_config_selectorIbEEZNS1_11reduce_implILb1ES3_N6hipcub16HIPCUB_304000_NS22TransformInputIteratorIb7NonZeroIaEPalEEPllNS8_6detail34convert_binary_result_type_wrapperINS8_3SumESD_lEEEE10hipError_tPvRmT1_T2_T3_mT4_P12ihipStream_tbEUlT_E1_NS1_11comp_targetILNS1_3genE10ELNS1_11target_archE1200ELNS1_3gpuE4ELNS1_3repE0EEENS1_30default_config_static_selectorELNS0_4arch9wavefront6targetE1EEEvSM_, .Lfunc_end33-_ZN7rocprim17ROCPRIM_400000_NS6detail17trampoline_kernelINS0_14default_configENS1_22reduce_config_selectorIbEEZNS1_11reduce_implILb1ES3_N6hipcub16HIPCUB_304000_NS22TransformInputIteratorIb7NonZeroIaEPalEEPllNS8_6detail34convert_binary_result_type_wrapperINS8_3SumESD_lEEEE10hipError_tPvRmT1_T2_T3_mT4_P12ihipStream_tbEUlT_E1_NS1_11comp_targetILNS1_3genE10ELNS1_11target_archE1200ELNS1_3gpuE4ELNS1_3repE0EEENS1_30default_config_static_selectorELNS0_4arch9wavefront6targetE1EEEvSM_
                                        ; -- End function
	.set _ZN7rocprim17ROCPRIM_400000_NS6detail17trampoline_kernelINS0_14default_configENS1_22reduce_config_selectorIbEEZNS1_11reduce_implILb1ES3_N6hipcub16HIPCUB_304000_NS22TransformInputIteratorIb7NonZeroIaEPalEEPllNS8_6detail34convert_binary_result_type_wrapperINS8_3SumESD_lEEEE10hipError_tPvRmT1_T2_T3_mT4_P12ihipStream_tbEUlT_E1_NS1_11comp_targetILNS1_3genE10ELNS1_11target_archE1200ELNS1_3gpuE4ELNS1_3repE0EEENS1_30default_config_static_selectorELNS0_4arch9wavefront6targetE1EEEvSM_.num_vgpr, 0
	.set _ZN7rocprim17ROCPRIM_400000_NS6detail17trampoline_kernelINS0_14default_configENS1_22reduce_config_selectorIbEEZNS1_11reduce_implILb1ES3_N6hipcub16HIPCUB_304000_NS22TransformInputIteratorIb7NonZeroIaEPalEEPllNS8_6detail34convert_binary_result_type_wrapperINS8_3SumESD_lEEEE10hipError_tPvRmT1_T2_T3_mT4_P12ihipStream_tbEUlT_E1_NS1_11comp_targetILNS1_3genE10ELNS1_11target_archE1200ELNS1_3gpuE4ELNS1_3repE0EEENS1_30default_config_static_selectorELNS0_4arch9wavefront6targetE1EEEvSM_.num_agpr, 0
	.set _ZN7rocprim17ROCPRIM_400000_NS6detail17trampoline_kernelINS0_14default_configENS1_22reduce_config_selectorIbEEZNS1_11reduce_implILb1ES3_N6hipcub16HIPCUB_304000_NS22TransformInputIteratorIb7NonZeroIaEPalEEPllNS8_6detail34convert_binary_result_type_wrapperINS8_3SumESD_lEEEE10hipError_tPvRmT1_T2_T3_mT4_P12ihipStream_tbEUlT_E1_NS1_11comp_targetILNS1_3genE10ELNS1_11target_archE1200ELNS1_3gpuE4ELNS1_3repE0EEENS1_30default_config_static_selectorELNS0_4arch9wavefront6targetE1EEEvSM_.numbered_sgpr, 0
	.set _ZN7rocprim17ROCPRIM_400000_NS6detail17trampoline_kernelINS0_14default_configENS1_22reduce_config_selectorIbEEZNS1_11reduce_implILb1ES3_N6hipcub16HIPCUB_304000_NS22TransformInputIteratorIb7NonZeroIaEPalEEPllNS8_6detail34convert_binary_result_type_wrapperINS8_3SumESD_lEEEE10hipError_tPvRmT1_T2_T3_mT4_P12ihipStream_tbEUlT_E1_NS1_11comp_targetILNS1_3genE10ELNS1_11target_archE1200ELNS1_3gpuE4ELNS1_3repE0EEENS1_30default_config_static_selectorELNS0_4arch9wavefront6targetE1EEEvSM_.num_named_barrier, 0
	.set _ZN7rocprim17ROCPRIM_400000_NS6detail17trampoline_kernelINS0_14default_configENS1_22reduce_config_selectorIbEEZNS1_11reduce_implILb1ES3_N6hipcub16HIPCUB_304000_NS22TransformInputIteratorIb7NonZeroIaEPalEEPllNS8_6detail34convert_binary_result_type_wrapperINS8_3SumESD_lEEEE10hipError_tPvRmT1_T2_T3_mT4_P12ihipStream_tbEUlT_E1_NS1_11comp_targetILNS1_3genE10ELNS1_11target_archE1200ELNS1_3gpuE4ELNS1_3repE0EEENS1_30default_config_static_selectorELNS0_4arch9wavefront6targetE1EEEvSM_.private_seg_size, 0
	.set _ZN7rocprim17ROCPRIM_400000_NS6detail17trampoline_kernelINS0_14default_configENS1_22reduce_config_selectorIbEEZNS1_11reduce_implILb1ES3_N6hipcub16HIPCUB_304000_NS22TransformInputIteratorIb7NonZeroIaEPalEEPllNS8_6detail34convert_binary_result_type_wrapperINS8_3SumESD_lEEEE10hipError_tPvRmT1_T2_T3_mT4_P12ihipStream_tbEUlT_E1_NS1_11comp_targetILNS1_3genE10ELNS1_11target_archE1200ELNS1_3gpuE4ELNS1_3repE0EEENS1_30default_config_static_selectorELNS0_4arch9wavefront6targetE1EEEvSM_.uses_vcc, 0
	.set _ZN7rocprim17ROCPRIM_400000_NS6detail17trampoline_kernelINS0_14default_configENS1_22reduce_config_selectorIbEEZNS1_11reduce_implILb1ES3_N6hipcub16HIPCUB_304000_NS22TransformInputIteratorIb7NonZeroIaEPalEEPllNS8_6detail34convert_binary_result_type_wrapperINS8_3SumESD_lEEEE10hipError_tPvRmT1_T2_T3_mT4_P12ihipStream_tbEUlT_E1_NS1_11comp_targetILNS1_3genE10ELNS1_11target_archE1200ELNS1_3gpuE4ELNS1_3repE0EEENS1_30default_config_static_selectorELNS0_4arch9wavefront6targetE1EEEvSM_.uses_flat_scratch, 0
	.set _ZN7rocprim17ROCPRIM_400000_NS6detail17trampoline_kernelINS0_14default_configENS1_22reduce_config_selectorIbEEZNS1_11reduce_implILb1ES3_N6hipcub16HIPCUB_304000_NS22TransformInputIteratorIb7NonZeroIaEPalEEPllNS8_6detail34convert_binary_result_type_wrapperINS8_3SumESD_lEEEE10hipError_tPvRmT1_T2_T3_mT4_P12ihipStream_tbEUlT_E1_NS1_11comp_targetILNS1_3genE10ELNS1_11target_archE1200ELNS1_3gpuE4ELNS1_3repE0EEENS1_30default_config_static_selectorELNS0_4arch9wavefront6targetE1EEEvSM_.has_dyn_sized_stack, 0
	.set _ZN7rocprim17ROCPRIM_400000_NS6detail17trampoline_kernelINS0_14default_configENS1_22reduce_config_selectorIbEEZNS1_11reduce_implILb1ES3_N6hipcub16HIPCUB_304000_NS22TransformInputIteratorIb7NonZeroIaEPalEEPllNS8_6detail34convert_binary_result_type_wrapperINS8_3SumESD_lEEEE10hipError_tPvRmT1_T2_T3_mT4_P12ihipStream_tbEUlT_E1_NS1_11comp_targetILNS1_3genE10ELNS1_11target_archE1200ELNS1_3gpuE4ELNS1_3repE0EEENS1_30default_config_static_selectorELNS0_4arch9wavefront6targetE1EEEvSM_.has_recursion, 0
	.set _ZN7rocprim17ROCPRIM_400000_NS6detail17trampoline_kernelINS0_14default_configENS1_22reduce_config_selectorIbEEZNS1_11reduce_implILb1ES3_N6hipcub16HIPCUB_304000_NS22TransformInputIteratorIb7NonZeroIaEPalEEPllNS8_6detail34convert_binary_result_type_wrapperINS8_3SumESD_lEEEE10hipError_tPvRmT1_T2_T3_mT4_P12ihipStream_tbEUlT_E1_NS1_11comp_targetILNS1_3genE10ELNS1_11target_archE1200ELNS1_3gpuE4ELNS1_3repE0EEENS1_30default_config_static_selectorELNS0_4arch9wavefront6targetE1EEEvSM_.has_indirect_call, 0
	.section	.AMDGPU.csdata,"",@progbits
; Kernel info:
; codeLenInByte = 0
; TotalNumSgprs: 6
; NumVgprs: 0
; NumAgprs: 0
; TotalNumVgprs: 0
; ScratchSize: 0
; MemoryBound: 0
; FloatMode: 240
; IeeeMode: 1
; LDSByteSize: 0 bytes/workgroup (compile time only)
; SGPRBlocks: 0
; VGPRBlocks: 0
; NumSGPRsForWavesPerEU: 6
; NumVGPRsForWavesPerEU: 1
; AccumOffset: 4
; Occupancy: 8
; WaveLimiterHint : 0
; COMPUTE_PGM_RSRC2:SCRATCH_EN: 0
; COMPUTE_PGM_RSRC2:USER_SGPR: 2
; COMPUTE_PGM_RSRC2:TRAP_HANDLER: 0
; COMPUTE_PGM_RSRC2:TGID_X_EN: 1
; COMPUTE_PGM_RSRC2:TGID_Y_EN: 0
; COMPUTE_PGM_RSRC2:TGID_Z_EN: 0
; COMPUTE_PGM_RSRC2:TIDIG_COMP_CNT: 0
; COMPUTE_PGM_RSRC3_GFX90A:ACCUM_OFFSET: 0
; COMPUTE_PGM_RSRC3_GFX90A:TG_SPLIT: 0
	.section	.text._ZN7rocprim17ROCPRIM_400000_NS6detail17trampoline_kernelINS0_14default_configENS1_22reduce_config_selectorIbEEZNS1_11reduce_implILb1ES3_N6hipcub16HIPCUB_304000_NS22TransformInputIteratorIb7NonZeroIaEPalEEPllNS8_6detail34convert_binary_result_type_wrapperINS8_3SumESD_lEEEE10hipError_tPvRmT1_T2_T3_mT4_P12ihipStream_tbEUlT_E1_NS1_11comp_targetILNS1_3genE9ELNS1_11target_archE1100ELNS1_3gpuE3ELNS1_3repE0EEENS1_30default_config_static_selectorELNS0_4arch9wavefront6targetE1EEEvSM_,"axG",@progbits,_ZN7rocprim17ROCPRIM_400000_NS6detail17trampoline_kernelINS0_14default_configENS1_22reduce_config_selectorIbEEZNS1_11reduce_implILb1ES3_N6hipcub16HIPCUB_304000_NS22TransformInputIteratorIb7NonZeroIaEPalEEPllNS8_6detail34convert_binary_result_type_wrapperINS8_3SumESD_lEEEE10hipError_tPvRmT1_T2_T3_mT4_P12ihipStream_tbEUlT_E1_NS1_11comp_targetILNS1_3genE9ELNS1_11target_archE1100ELNS1_3gpuE3ELNS1_3repE0EEENS1_30default_config_static_selectorELNS0_4arch9wavefront6targetE1EEEvSM_,comdat
	.protected	_ZN7rocprim17ROCPRIM_400000_NS6detail17trampoline_kernelINS0_14default_configENS1_22reduce_config_selectorIbEEZNS1_11reduce_implILb1ES3_N6hipcub16HIPCUB_304000_NS22TransformInputIteratorIb7NonZeroIaEPalEEPllNS8_6detail34convert_binary_result_type_wrapperINS8_3SumESD_lEEEE10hipError_tPvRmT1_T2_T3_mT4_P12ihipStream_tbEUlT_E1_NS1_11comp_targetILNS1_3genE9ELNS1_11target_archE1100ELNS1_3gpuE3ELNS1_3repE0EEENS1_30default_config_static_selectorELNS0_4arch9wavefront6targetE1EEEvSM_ ; -- Begin function _ZN7rocprim17ROCPRIM_400000_NS6detail17trampoline_kernelINS0_14default_configENS1_22reduce_config_selectorIbEEZNS1_11reduce_implILb1ES3_N6hipcub16HIPCUB_304000_NS22TransformInputIteratorIb7NonZeroIaEPalEEPllNS8_6detail34convert_binary_result_type_wrapperINS8_3SumESD_lEEEE10hipError_tPvRmT1_T2_T3_mT4_P12ihipStream_tbEUlT_E1_NS1_11comp_targetILNS1_3genE9ELNS1_11target_archE1100ELNS1_3gpuE3ELNS1_3repE0EEENS1_30default_config_static_selectorELNS0_4arch9wavefront6targetE1EEEvSM_
	.globl	_ZN7rocprim17ROCPRIM_400000_NS6detail17trampoline_kernelINS0_14default_configENS1_22reduce_config_selectorIbEEZNS1_11reduce_implILb1ES3_N6hipcub16HIPCUB_304000_NS22TransformInputIteratorIb7NonZeroIaEPalEEPllNS8_6detail34convert_binary_result_type_wrapperINS8_3SumESD_lEEEE10hipError_tPvRmT1_T2_T3_mT4_P12ihipStream_tbEUlT_E1_NS1_11comp_targetILNS1_3genE9ELNS1_11target_archE1100ELNS1_3gpuE3ELNS1_3repE0EEENS1_30default_config_static_selectorELNS0_4arch9wavefront6targetE1EEEvSM_
	.p2align	8
	.type	_ZN7rocprim17ROCPRIM_400000_NS6detail17trampoline_kernelINS0_14default_configENS1_22reduce_config_selectorIbEEZNS1_11reduce_implILb1ES3_N6hipcub16HIPCUB_304000_NS22TransformInputIteratorIb7NonZeroIaEPalEEPllNS8_6detail34convert_binary_result_type_wrapperINS8_3SumESD_lEEEE10hipError_tPvRmT1_T2_T3_mT4_P12ihipStream_tbEUlT_E1_NS1_11comp_targetILNS1_3genE9ELNS1_11target_archE1100ELNS1_3gpuE3ELNS1_3repE0EEENS1_30default_config_static_selectorELNS0_4arch9wavefront6targetE1EEEvSM_,@function
_ZN7rocprim17ROCPRIM_400000_NS6detail17trampoline_kernelINS0_14default_configENS1_22reduce_config_selectorIbEEZNS1_11reduce_implILb1ES3_N6hipcub16HIPCUB_304000_NS22TransformInputIteratorIb7NonZeroIaEPalEEPllNS8_6detail34convert_binary_result_type_wrapperINS8_3SumESD_lEEEE10hipError_tPvRmT1_T2_T3_mT4_P12ihipStream_tbEUlT_E1_NS1_11comp_targetILNS1_3genE9ELNS1_11target_archE1100ELNS1_3gpuE3ELNS1_3repE0EEENS1_30default_config_static_selectorELNS0_4arch9wavefront6targetE1EEEvSM_: ; @_ZN7rocprim17ROCPRIM_400000_NS6detail17trampoline_kernelINS0_14default_configENS1_22reduce_config_selectorIbEEZNS1_11reduce_implILb1ES3_N6hipcub16HIPCUB_304000_NS22TransformInputIteratorIb7NonZeroIaEPalEEPllNS8_6detail34convert_binary_result_type_wrapperINS8_3SumESD_lEEEE10hipError_tPvRmT1_T2_T3_mT4_P12ihipStream_tbEUlT_E1_NS1_11comp_targetILNS1_3genE9ELNS1_11target_archE1100ELNS1_3gpuE3ELNS1_3repE0EEENS1_30default_config_static_selectorELNS0_4arch9wavefront6targetE1EEEvSM_
; %bb.0:
	.section	.rodata,"a",@progbits
	.p2align	6, 0x0
	.amdhsa_kernel _ZN7rocprim17ROCPRIM_400000_NS6detail17trampoline_kernelINS0_14default_configENS1_22reduce_config_selectorIbEEZNS1_11reduce_implILb1ES3_N6hipcub16HIPCUB_304000_NS22TransformInputIteratorIb7NonZeroIaEPalEEPllNS8_6detail34convert_binary_result_type_wrapperINS8_3SumESD_lEEEE10hipError_tPvRmT1_T2_T3_mT4_P12ihipStream_tbEUlT_E1_NS1_11comp_targetILNS1_3genE9ELNS1_11target_archE1100ELNS1_3gpuE3ELNS1_3repE0EEENS1_30default_config_static_selectorELNS0_4arch9wavefront6targetE1EEEvSM_
		.amdhsa_group_segment_fixed_size 0
		.amdhsa_private_segment_fixed_size 0
		.amdhsa_kernarg_size 56
		.amdhsa_user_sgpr_count 2
		.amdhsa_user_sgpr_dispatch_ptr 0
		.amdhsa_user_sgpr_queue_ptr 0
		.amdhsa_user_sgpr_kernarg_segment_ptr 1
		.amdhsa_user_sgpr_dispatch_id 0
		.amdhsa_user_sgpr_kernarg_preload_length 0
		.amdhsa_user_sgpr_kernarg_preload_offset 0
		.amdhsa_user_sgpr_private_segment_size 0
		.amdhsa_uses_dynamic_stack 0
		.amdhsa_enable_private_segment 0
		.amdhsa_system_sgpr_workgroup_id_x 1
		.amdhsa_system_sgpr_workgroup_id_y 0
		.amdhsa_system_sgpr_workgroup_id_z 0
		.amdhsa_system_sgpr_workgroup_info 0
		.amdhsa_system_vgpr_workitem_id 0
		.amdhsa_next_free_vgpr 1
		.amdhsa_next_free_sgpr 0
		.amdhsa_accum_offset 4
		.amdhsa_reserve_vcc 0
		.amdhsa_float_round_mode_32 0
		.amdhsa_float_round_mode_16_64 0
		.amdhsa_float_denorm_mode_32 3
		.amdhsa_float_denorm_mode_16_64 3
		.amdhsa_dx10_clamp 1
		.amdhsa_ieee_mode 1
		.amdhsa_fp16_overflow 0
		.amdhsa_tg_split 0
		.amdhsa_exception_fp_ieee_invalid_op 0
		.amdhsa_exception_fp_denorm_src 0
		.amdhsa_exception_fp_ieee_div_zero 0
		.amdhsa_exception_fp_ieee_overflow 0
		.amdhsa_exception_fp_ieee_underflow 0
		.amdhsa_exception_fp_ieee_inexact 0
		.amdhsa_exception_int_div_zero 0
	.end_amdhsa_kernel
	.section	.text._ZN7rocprim17ROCPRIM_400000_NS6detail17trampoline_kernelINS0_14default_configENS1_22reduce_config_selectorIbEEZNS1_11reduce_implILb1ES3_N6hipcub16HIPCUB_304000_NS22TransformInputIteratorIb7NonZeroIaEPalEEPllNS8_6detail34convert_binary_result_type_wrapperINS8_3SumESD_lEEEE10hipError_tPvRmT1_T2_T3_mT4_P12ihipStream_tbEUlT_E1_NS1_11comp_targetILNS1_3genE9ELNS1_11target_archE1100ELNS1_3gpuE3ELNS1_3repE0EEENS1_30default_config_static_selectorELNS0_4arch9wavefront6targetE1EEEvSM_,"axG",@progbits,_ZN7rocprim17ROCPRIM_400000_NS6detail17trampoline_kernelINS0_14default_configENS1_22reduce_config_selectorIbEEZNS1_11reduce_implILb1ES3_N6hipcub16HIPCUB_304000_NS22TransformInputIteratorIb7NonZeroIaEPalEEPllNS8_6detail34convert_binary_result_type_wrapperINS8_3SumESD_lEEEE10hipError_tPvRmT1_T2_T3_mT4_P12ihipStream_tbEUlT_E1_NS1_11comp_targetILNS1_3genE9ELNS1_11target_archE1100ELNS1_3gpuE3ELNS1_3repE0EEENS1_30default_config_static_selectorELNS0_4arch9wavefront6targetE1EEEvSM_,comdat
.Lfunc_end34:
	.size	_ZN7rocprim17ROCPRIM_400000_NS6detail17trampoline_kernelINS0_14default_configENS1_22reduce_config_selectorIbEEZNS1_11reduce_implILb1ES3_N6hipcub16HIPCUB_304000_NS22TransformInputIteratorIb7NonZeroIaEPalEEPllNS8_6detail34convert_binary_result_type_wrapperINS8_3SumESD_lEEEE10hipError_tPvRmT1_T2_T3_mT4_P12ihipStream_tbEUlT_E1_NS1_11comp_targetILNS1_3genE9ELNS1_11target_archE1100ELNS1_3gpuE3ELNS1_3repE0EEENS1_30default_config_static_selectorELNS0_4arch9wavefront6targetE1EEEvSM_, .Lfunc_end34-_ZN7rocprim17ROCPRIM_400000_NS6detail17trampoline_kernelINS0_14default_configENS1_22reduce_config_selectorIbEEZNS1_11reduce_implILb1ES3_N6hipcub16HIPCUB_304000_NS22TransformInputIteratorIb7NonZeroIaEPalEEPllNS8_6detail34convert_binary_result_type_wrapperINS8_3SumESD_lEEEE10hipError_tPvRmT1_T2_T3_mT4_P12ihipStream_tbEUlT_E1_NS1_11comp_targetILNS1_3genE9ELNS1_11target_archE1100ELNS1_3gpuE3ELNS1_3repE0EEENS1_30default_config_static_selectorELNS0_4arch9wavefront6targetE1EEEvSM_
                                        ; -- End function
	.set _ZN7rocprim17ROCPRIM_400000_NS6detail17trampoline_kernelINS0_14default_configENS1_22reduce_config_selectorIbEEZNS1_11reduce_implILb1ES3_N6hipcub16HIPCUB_304000_NS22TransformInputIteratorIb7NonZeroIaEPalEEPllNS8_6detail34convert_binary_result_type_wrapperINS8_3SumESD_lEEEE10hipError_tPvRmT1_T2_T3_mT4_P12ihipStream_tbEUlT_E1_NS1_11comp_targetILNS1_3genE9ELNS1_11target_archE1100ELNS1_3gpuE3ELNS1_3repE0EEENS1_30default_config_static_selectorELNS0_4arch9wavefront6targetE1EEEvSM_.num_vgpr, 0
	.set _ZN7rocprim17ROCPRIM_400000_NS6detail17trampoline_kernelINS0_14default_configENS1_22reduce_config_selectorIbEEZNS1_11reduce_implILb1ES3_N6hipcub16HIPCUB_304000_NS22TransformInputIteratorIb7NonZeroIaEPalEEPllNS8_6detail34convert_binary_result_type_wrapperINS8_3SumESD_lEEEE10hipError_tPvRmT1_T2_T3_mT4_P12ihipStream_tbEUlT_E1_NS1_11comp_targetILNS1_3genE9ELNS1_11target_archE1100ELNS1_3gpuE3ELNS1_3repE0EEENS1_30default_config_static_selectorELNS0_4arch9wavefront6targetE1EEEvSM_.num_agpr, 0
	.set _ZN7rocprim17ROCPRIM_400000_NS6detail17trampoline_kernelINS0_14default_configENS1_22reduce_config_selectorIbEEZNS1_11reduce_implILb1ES3_N6hipcub16HIPCUB_304000_NS22TransformInputIteratorIb7NonZeroIaEPalEEPllNS8_6detail34convert_binary_result_type_wrapperINS8_3SumESD_lEEEE10hipError_tPvRmT1_T2_T3_mT4_P12ihipStream_tbEUlT_E1_NS1_11comp_targetILNS1_3genE9ELNS1_11target_archE1100ELNS1_3gpuE3ELNS1_3repE0EEENS1_30default_config_static_selectorELNS0_4arch9wavefront6targetE1EEEvSM_.numbered_sgpr, 0
	.set _ZN7rocprim17ROCPRIM_400000_NS6detail17trampoline_kernelINS0_14default_configENS1_22reduce_config_selectorIbEEZNS1_11reduce_implILb1ES3_N6hipcub16HIPCUB_304000_NS22TransformInputIteratorIb7NonZeroIaEPalEEPllNS8_6detail34convert_binary_result_type_wrapperINS8_3SumESD_lEEEE10hipError_tPvRmT1_T2_T3_mT4_P12ihipStream_tbEUlT_E1_NS1_11comp_targetILNS1_3genE9ELNS1_11target_archE1100ELNS1_3gpuE3ELNS1_3repE0EEENS1_30default_config_static_selectorELNS0_4arch9wavefront6targetE1EEEvSM_.num_named_barrier, 0
	.set _ZN7rocprim17ROCPRIM_400000_NS6detail17trampoline_kernelINS0_14default_configENS1_22reduce_config_selectorIbEEZNS1_11reduce_implILb1ES3_N6hipcub16HIPCUB_304000_NS22TransformInputIteratorIb7NonZeroIaEPalEEPllNS8_6detail34convert_binary_result_type_wrapperINS8_3SumESD_lEEEE10hipError_tPvRmT1_T2_T3_mT4_P12ihipStream_tbEUlT_E1_NS1_11comp_targetILNS1_3genE9ELNS1_11target_archE1100ELNS1_3gpuE3ELNS1_3repE0EEENS1_30default_config_static_selectorELNS0_4arch9wavefront6targetE1EEEvSM_.private_seg_size, 0
	.set _ZN7rocprim17ROCPRIM_400000_NS6detail17trampoline_kernelINS0_14default_configENS1_22reduce_config_selectorIbEEZNS1_11reduce_implILb1ES3_N6hipcub16HIPCUB_304000_NS22TransformInputIteratorIb7NonZeroIaEPalEEPllNS8_6detail34convert_binary_result_type_wrapperINS8_3SumESD_lEEEE10hipError_tPvRmT1_T2_T3_mT4_P12ihipStream_tbEUlT_E1_NS1_11comp_targetILNS1_3genE9ELNS1_11target_archE1100ELNS1_3gpuE3ELNS1_3repE0EEENS1_30default_config_static_selectorELNS0_4arch9wavefront6targetE1EEEvSM_.uses_vcc, 0
	.set _ZN7rocprim17ROCPRIM_400000_NS6detail17trampoline_kernelINS0_14default_configENS1_22reduce_config_selectorIbEEZNS1_11reduce_implILb1ES3_N6hipcub16HIPCUB_304000_NS22TransformInputIteratorIb7NonZeroIaEPalEEPllNS8_6detail34convert_binary_result_type_wrapperINS8_3SumESD_lEEEE10hipError_tPvRmT1_T2_T3_mT4_P12ihipStream_tbEUlT_E1_NS1_11comp_targetILNS1_3genE9ELNS1_11target_archE1100ELNS1_3gpuE3ELNS1_3repE0EEENS1_30default_config_static_selectorELNS0_4arch9wavefront6targetE1EEEvSM_.uses_flat_scratch, 0
	.set _ZN7rocprim17ROCPRIM_400000_NS6detail17trampoline_kernelINS0_14default_configENS1_22reduce_config_selectorIbEEZNS1_11reduce_implILb1ES3_N6hipcub16HIPCUB_304000_NS22TransformInputIteratorIb7NonZeroIaEPalEEPllNS8_6detail34convert_binary_result_type_wrapperINS8_3SumESD_lEEEE10hipError_tPvRmT1_T2_T3_mT4_P12ihipStream_tbEUlT_E1_NS1_11comp_targetILNS1_3genE9ELNS1_11target_archE1100ELNS1_3gpuE3ELNS1_3repE0EEENS1_30default_config_static_selectorELNS0_4arch9wavefront6targetE1EEEvSM_.has_dyn_sized_stack, 0
	.set _ZN7rocprim17ROCPRIM_400000_NS6detail17trampoline_kernelINS0_14default_configENS1_22reduce_config_selectorIbEEZNS1_11reduce_implILb1ES3_N6hipcub16HIPCUB_304000_NS22TransformInputIteratorIb7NonZeroIaEPalEEPllNS8_6detail34convert_binary_result_type_wrapperINS8_3SumESD_lEEEE10hipError_tPvRmT1_T2_T3_mT4_P12ihipStream_tbEUlT_E1_NS1_11comp_targetILNS1_3genE9ELNS1_11target_archE1100ELNS1_3gpuE3ELNS1_3repE0EEENS1_30default_config_static_selectorELNS0_4arch9wavefront6targetE1EEEvSM_.has_recursion, 0
	.set _ZN7rocprim17ROCPRIM_400000_NS6detail17trampoline_kernelINS0_14default_configENS1_22reduce_config_selectorIbEEZNS1_11reduce_implILb1ES3_N6hipcub16HIPCUB_304000_NS22TransformInputIteratorIb7NonZeroIaEPalEEPllNS8_6detail34convert_binary_result_type_wrapperINS8_3SumESD_lEEEE10hipError_tPvRmT1_T2_T3_mT4_P12ihipStream_tbEUlT_E1_NS1_11comp_targetILNS1_3genE9ELNS1_11target_archE1100ELNS1_3gpuE3ELNS1_3repE0EEENS1_30default_config_static_selectorELNS0_4arch9wavefront6targetE1EEEvSM_.has_indirect_call, 0
	.section	.AMDGPU.csdata,"",@progbits
; Kernel info:
; codeLenInByte = 0
; TotalNumSgprs: 6
; NumVgprs: 0
; NumAgprs: 0
; TotalNumVgprs: 0
; ScratchSize: 0
; MemoryBound: 0
; FloatMode: 240
; IeeeMode: 1
; LDSByteSize: 0 bytes/workgroup (compile time only)
; SGPRBlocks: 0
; VGPRBlocks: 0
; NumSGPRsForWavesPerEU: 6
; NumVGPRsForWavesPerEU: 1
; AccumOffset: 4
; Occupancy: 8
; WaveLimiterHint : 0
; COMPUTE_PGM_RSRC2:SCRATCH_EN: 0
; COMPUTE_PGM_RSRC2:USER_SGPR: 2
; COMPUTE_PGM_RSRC2:TRAP_HANDLER: 0
; COMPUTE_PGM_RSRC2:TGID_X_EN: 1
; COMPUTE_PGM_RSRC2:TGID_Y_EN: 0
; COMPUTE_PGM_RSRC2:TGID_Z_EN: 0
; COMPUTE_PGM_RSRC2:TIDIG_COMP_CNT: 0
; COMPUTE_PGM_RSRC3_GFX90A:ACCUM_OFFSET: 0
; COMPUTE_PGM_RSRC3_GFX90A:TG_SPLIT: 0
	.section	.text._ZN7rocprim17ROCPRIM_400000_NS6detail17trampoline_kernelINS0_14default_configENS1_22reduce_config_selectorIbEEZNS1_11reduce_implILb1ES3_N6hipcub16HIPCUB_304000_NS22TransformInputIteratorIb7NonZeroIaEPalEEPllNS8_6detail34convert_binary_result_type_wrapperINS8_3SumESD_lEEEE10hipError_tPvRmT1_T2_T3_mT4_P12ihipStream_tbEUlT_E1_NS1_11comp_targetILNS1_3genE8ELNS1_11target_archE1030ELNS1_3gpuE2ELNS1_3repE0EEENS1_30default_config_static_selectorELNS0_4arch9wavefront6targetE1EEEvSM_,"axG",@progbits,_ZN7rocprim17ROCPRIM_400000_NS6detail17trampoline_kernelINS0_14default_configENS1_22reduce_config_selectorIbEEZNS1_11reduce_implILb1ES3_N6hipcub16HIPCUB_304000_NS22TransformInputIteratorIb7NonZeroIaEPalEEPllNS8_6detail34convert_binary_result_type_wrapperINS8_3SumESD_lEEEE10hipError_tPvRmT1_T2_T3_mT4_P12ihipStream_tbEUlT_E1_NS1_11comp_targetILNS1_3genE8ELNS1_11target_archE1030ELNS1_3gpuE2ELNS1_3repE0EEENS1_30default_config_static_selectorELNS0_4arch9wavefront6targetE1EEEvSM_,comdat
	.protected	_ZN7rocprim17ROCPRIM_400000_NS6detail17trampoline_kernelINS0_14default_configENS1_22reduce_config_selectorIbEEZNS1_11reduce_implILb1ES3_N6hipcub16HIPCUB_304000_NS22TransformInputIteratorIb7NonZeroIaEPalEEPllNS8_6detail34convert_binary_result_type_wrapperINS8_3SumESD_lEEEE10hipError_tPvRmT1_T2_T3_mT4_P12ihipStream_tbEUlT_E1_NS1_11comp_targetILNS1_3genE8ELNS1_11target_archE1030ELNS1_3gpuE2ELNS1_3repE0EEENS1_30default_config_static_selectorELNS0_4arch9wavefront6targetE1EEEvSM_ ; -- Begin function _ZN7rocprim17ROCPRIM_400000_NS6detail17trampoline_kernelINS0_14default_configENS1_22reduce_config_selectorIbEEZNS1_11reduce_implILb1ES3_N6hipcub16HIPCUB_304000_NS22TransformInputIteratorIb7NonZeroIaEPalEEPllNS8_6detail34convert_binary_result_type_wrapperINS8_3SumESD_lEEEE10hipError_tPvRmT1_T2_T3_mT4_P12ihipStream_tbEUlT_E1_NS1_11comp_targetILNS1_3genE8ELNS1_11target_archE1030ELNS1_3gpuE2ELNS1_3repE0EEENS1_30default_config_static_selectorELNS0_4arch9wavefront6targetE1EEEvSM_
	.globl	_ZN7rocprim17ROCPRIM_400000_NS6detail17trampoline_kernelINS0_14default_configENS1_22reduce_config_selectorIbEEZNS1_11reduce_implILb1ES3_N6hipcub16HIPCUB_304000_NS22TransformInputIteratorIb7NonZeroIaEPalEEPllNS8_6detail34convert_binary_result_type_wrapperINS8_3SumESD_lEEEE10hipError_tPvRmT1_T2_T3_mT4_P12ihipStream_tbEUlT_E1_NS1_11comp_targetILNS1_3genE8ELNS1_11target_archE1030ELNS1_3gpuE2ELNS1_3repE0EEENS1_30default_config_static_selectorELNS0_4arch9wavefront6targetE1EEEvSM_
	.p2align	8
	.type	_ZN7rocprim17ROCPRIM_400000_NS6detail17trampoline_kernelINS0_14default_configENS1_22reduce_config_selectorIbEEZNS1_11reduce_implILb1ES3_N6hipcub16HIPCUB_304000_NS22TransformInputIteratorIb7NonZeroIaEPalEEPllNS8_6detail34convert_binary_result_type_wrapperINS8_3SumESD_lEEEE10hipError_tPvRmT1_T2_T3_mT4_P12ihipStream_tbEUlT_E1_NS1_11comp_targetILNS1_3genE8ELNS1_11target_archE1030ELNS1_3gpuE2ELNS1_3repE0EEENS1_30default_config_static_selectorELNS0_4arch9wavefront6targetE1EEEvSM_,@function
_ZN7rocprim17ROCPRIM_400000_NS6detail17trampoline_kernelINS0_14default_configENS1_22reduce_config_selectorIbEEZNS1_11reduce_implILb1ES3_N6hipcub16HIPCUB_304000_NS22TransformInputIteratorIb7NonZeroIaEPalEEPllNS8_6detail34convert_binary_result_type_wrapperINS8_3SumESD_lEEEE10hipError_tPvRmT1_T2_T3_mT4_P12ihipStream_tbEUlT_E1_NS1_11comp_targetILNS1_3genE8ELNS1_11target_archE1030ELNS1_3gpuE2ELNS1_3repE0EEENS1_30default_config_static_selectorELNS0_4arch9wavefront6targetE1EEEvSM_: ; @_ZN7rocprim17ROCPRIM_400000_NS6detail17trampoline_kernelINS0_14default_configENS1_22reduce_config_selectorIbEEZNS1_11reduce_implILb1ES3_N6hipcub16HIPCUB_304000_NS22TransformInputIteratorIb7NonZeroIaEPalEEPllNS8_6detail34convert_binary_result_type_wrapperINS8_3SumESD_lEEEE10hipError_tPvRmT1_T2_T3_mT4_P12ihipStream_tbEUlT_E1_NS1_11comp_targetILNS1_3genE8ELNS1_11target_archE1030ELNS1_3gpuE2ELNS1_3repE0EEENS1_30default_config_static_selectorELNS0_4arch9wavefront6targetE1EEEvSM_
; %bb.0:
	.section	.rodata,"a",@progbits
	.p2align	6, 0x0
	.amdhsa_kernel _ZN7rocprim17ROCPRIM_400000_NS6detail17trampoline_kernelINS0_14default_configENS1_22reduce_config_selectorIbEEZNS1_11reduce_implILb1ES3_N6hipcub16HIPCUB_304000_NS22TransformInputIteratorIb7NonZeroIaEPalEEPllNS8_6detail34convert_binary_result_type_wrapperINS8_3SumESD_lEEEE10hipError_tPvRmT1_T2_T3_mT4_P12ihipStream_tbEUlT_E1_NS1_11comp_targetILNS1_3genE8ELNS1_11target_archE1030ELNS1_3gpuE2ELNS1_3repE0EEENS1_30default_config_static_selectorELNS0_4arch9wavefront6targetE1EEEvSM_
		.amdhsa_group_segment_fixed_size 0
		.amdhsa_private_segment_fixed_size 0
		.amdhsa_kernarg_size 56
		.amdhsa_user_sgpr_count 2
		.amdhsa_user_sgpr_dispatch_ptr 0
		.amdhsa_user_sgpr_queue_ptr 0
		.amdhsa_user_sgpr_kernarg_segment_ptr 1
		.amdhsa_user_sgpr_dispatch_id 0
		.amdhsa_user_sgpr_kernarg_preload_length 0
		.amdhsa_user_sgpr_kernarg_preload_offset 0
		.amdhsa_user_sgpr_private_segment_size 0
		.amdhsa_uses_dynamic_stack 0
		.amdhsa_enable_private_segment 0
		.amdhsa_system_sgpr_workgroup_id_x 1
		.amdhsa_system_sgpr_workgroup_id_y 0
		.amdhsa_system_sgpr_workgroup_id_z 0
		.amdhsa_system_sgpr_workgroup_info 0
		.amdhsa_system_vgpr_workitem_id 0
		.amdhsa_next_free_vgpr 1
		.amdhsa_next_free_sgpr 0
		.amdhsa_accum_offset 4
		.amdhsa_reserve_vcc 0
		.amdhsa_float_round_mode_32 0
		.amdhsa_float_round_mode_16_64 0
		.amdhsa_float_denorm_mode_32 3
		.amdhsa_float_denorm_mode_16_64 3
		.amdhsa_dx10_clamp 1
		.amdhsa_ieee_mode 1
		.amdhsa_fp16_overflow 0
		.amdhsa_tg_split 0
		.amdhsa_exception_fp_ieee_invalid_op 0
		.amdhsa_exception_fp_denorm_src 0
		.amdhsa_exception_fp_ieee_div_zero 0
		.amdhsa_exception_fp_ieee_overflow 0
		.amdhsa_exception_fp_ieee_underflow 0
		.amdhsa_exception_fp_ieee_inexact 0
		.amdhsa_exception_int_div_zero 0
	.end_amdhsa_kernel
	.section	.text._ZN7rocprim17ROCPRIM_400000_NS6detail17trampoline_kernelINS0_14default_configENS1_22reduce_config_selectorIbEEZNS1_11reduce_implILb1ES3_N6hipcub16HIPCUB_304000_NS22TransformInputIteratorIb7NonZeroIaEPalEEPllNS8_6detail34convert_binary_result_type_wrapperINS8_3SumESD_lEEEE10hipError_tPvRmT1_T2_T3_mT4_P12ihipStream_tbEUlT_E1_NS1_11comp_targetILNS1_3genE8ELNS1_11target_archE1030ELNS1_3gpuE2ELNS1_3repE0EEENS1_30default_config_static_selectorELNS0_4arch9wavefront6targetE1EEEvSM_,"axG",@progbits,_ZN7rocprim17ROCPRIM_400000_NS6detail17trampoline_kernelINS0_14default_configENS1_22reduce_config_selectorIbEEZNS1_11reduce_implILb1ES3_N6hipcub16HIPCUB_304000_NS22TransformInputIteratorIb7NonZeroIaEPalEEPllNS8_6detail34convert_binary_result_type_wrapperINS8_3SumESD_lEEEE10hipError_tPvRmT1_T2_T3_mT4_P12ihipStream_tbEUlT_E1_NS1_11comp_targetILNS1_3genE8ELNS1_11target_archE1030ELNS1_3gpuE2ELNS1_3repE0EEENS1_30default_config_static_selectorELNS0_4arch9wavefront6targetE1EEEvSM_,comdat
.Lfunc_end35:
	.size	_ZN7rocprim17ROCPRIM_400000_NS6detail17trampoline_kernelINS0_14default_configENS1_22reduce_config_selectorIbEEZNS1_11reduce_implILb1ES3_N6hipcub16HIPCUB_304000_NS22TransformInputIteratorIb7NonZeroIaEPalEEPllNS8_6detail34convert_binary_result_type_wrapperINS8_3SumESD_lEEEE10hipError_tPvRmT1_T2_T3_mT4_P12ihipStream_tbEUlT_E1_NS1_11comp_targetILNS1_3genE8ELNS1_11target_archE1030ELNS1_3gpuE2ELNS1_3repE0EEENS1_30default_config_static_selectorELNS0_4arch9wavefront6targetE1EEEvSM_, .Lfunc_end35-_ZN7rocprim17ROCPRIM_400000_NS6detail17trampoline_kernelINS0_14default_configENS1_22reduce_config_selectorIbEEZNS1_11reduce_implILb1ES3_N6hipcub16HIPCUB_304000_NS22TransformInputIteratorIb7NonZeroIaEPalEEPllNS8_6detail34convert_binary_result_type_wrapperINS8_3SumESD_lEEEE10hipError_tPvRmT1_T2_T3_mT4_P12ihipStream_tbEUlT_E1_NS1_11comp_targetILNS1_3genE8ELNS1_11target_archE1030ELNS1_3gpuE2ELNS1_3repE0EEENS1_30default_config_static_selectorELNS0_4arch9wavefront6targetE1EEEvSM_
                                        ; -- End function
	.set _ZN7rocprim17ROCPRIM_400000_NS6detail17trampoline_kernelINS0_14default_configENS1_22reduce_config_selectorIbEEZNS1_11reduce_implILb1ES3_N6hipcub16HIPCUB_304000_NS22TransformInputIteratorIb7NonZeroIaEPalEEPllNS8_6detail34convert_binary_result_type_wrapperINS8_3SumESD_lEEEE10hipError_tPvRmT1_T2_T3_mT4_P12ihipStream_tbEUlT_E1_NS1_11comp_targetILNS1_3genE8ELNS1_11target_archE1030ELNS1_3gpuE2ELNS1_3repE0EEENS1_30default_config_static_selectorELNS0_4arch9wavefront6targetE1EEEvSM_.num_vgpr, 0
	.set _ZN7rocprim17ROCPRIM_400000_NS6detail17trampoline_kernelINS0_14default_configENS1_22reduce_config_selectorIbEEZNS1_11reduce_implILb1ES3_N6hipcub16HIPCUB_304000_NS22TransformInputIteratorIb7NonZeroIaEPalEEPllNS8_6detail34convert_binary_result_type_wrapperINS8_3SumESD_lEEEE10hipError_tPvRmT1_T2_T3_mT4_P12ihipStream_tbEUlT_E1_NS1_11comp_targetILNS1_3genE8ELNS1_11target_archE1030ELNS1_3gpuE2ELNS1_3repE0EEENS1_30default_config_static_selectorELNS0_4arch9wavefront6targetE1EEEvSM_.num_agpr, 0
	.set _ZN7rocprim17ROCPRIM_400000_NS6detail17trampoline_kernelINS0_14default_configENS1_22reduce_config_selectorIbEEZNS1_11reduce_implILb1ES3_N6hipcub16HIPCUB_304000_NS22TransformInputIteratorIb7NonZeroIaEPalEEPllNS8_6detail34convert_binary_result_type_wrapperINS8_3SumESD_lEEEE10hipError_tPvRmT1_T2_T3_mT4_P12ihipStream_tbEUlT_E1_NS1_11comp_targetILNS1_3genE8ELNS1_11target_archE1030ELNS1_3gpuE2ELNS1_3repE0EEENS1_30default_config_static_selectorELNS0_4arch9wavefront6targetE1EEEvSM_.numbered_sgpr, 0
	.set _ZN7rocprim17ROCPRIM_400000_NS6detail17trampoline_kernelINS0_14default_configENS1_22reduce_config_selectorIbEEZNS1_11reduce_implILb1ES3_N6hipcub16HIPCUB_304000_NS22TransformInputIteratorIb7NonZeroIaEPalEEPllNS8_6detail34convert_binary_result_type_wrapperINS8_3SumESD_lEEEE10hipError_tPvRmT1_T2_T3_mT4_P12ihipStream_tbEUlT_E1_NS1_11comp_targetILNS1_3genE8ELNS1_11target_archE1030ELNS1_3gpuE2ELNS1_3repE0EEENS1_30default_config_static_selectorELNS0_4arch9wavefront6targetE1EEEvSM_.num_named_barrier, 0
	.set _ZN7rocprim17ROCPRIM_400000_NS6detail17trampoline_kernelINS0_14default_configENS1_22reduce_config_selectorIbEEZNS1_11reduce_implILb1ES3_N6hipcub16HIPCUB_304000_NS22TransformInputIteratorIb7NonZeroIaEPalEEPllNS8_6detail34convert_binary_result_type_wrapperINS8_3SumESD_lEEEE10hipError_tPvRmT1_T2_T3_mT4_P12ihipStream_tbEUlT_E1_NS1_11comp_targetILNS1_3genE8ELNS1_11target_archE1030ELNS1_3gpuE2ELNS1_3repE0EEENS1_30default_config_static_selectorELNS0_4arch9wavefront6targetE1EEEvSM_.private_seg_size, 0
	.set _ZN7rocprim17ROCPRIM_400000_NS6detail17trampoline_kernelINS0_14default_configENS1_22reduce_config_selectorIbEEZNS1_11reduce_implILb1ES3_N6hipcub16HIPCUB_304000_NS22TransformInputIteratorIb7NonZeroIaEPalEEPllNS8_6detail34convert_binary_result_type_wrapperINS8_3SumESD_lEEEE10hipError_tPvRmT1_T2_T3_mT4_P12ihipStream_tbEUlT_E1_NS1_11comp_targetILNS1_3genE8ELNS1_11target_archE1030ELNS1_3gpuE2ELNS1_3repE0EEENS1_30default_config_static_selectorELNS0_4arch9wavefront6targetE1EEEvSM_.uses_vcc, 0
	.set _ZN7rocprim17ROCPRIM_400000_NS6detail17trampoline_kernelINS0_14default_configENS1_22reduce_config_selectorIbEEZNS1_11reduce_implILb1ES3_N6hipcub16HIPCUB_304000_NS22TransformInputIteratorIb7NonZeroIaEPalEEPllNS8_6detail34convert_binary_result_type_wrapperINS8_3SumESD_lEEEE10hipError_tPvRmT1_T2_T3_mT4_P12ihipStream_tbEUlT_E1_NS1_11comp_targetILNS1_3genE8ELNS1_11target_archE1030ELNS1_3gpuE2ELNS1_3repE0EEENS1_30default_config_static_selectorELNS0_4arch9wavefront6targetE1EEEvSM_.uses_flat_scratch, 0
	.set _ZN7rocprim17ROCPRIM_400000_NS6detail17trampoline_kernelINS0_14default_configENS1_22reduce_config_selectorIbEEZNS1_11reduce_implILb1ES3_N6hipcub16HIPCUB_304000_NS22TransformInputIteratorIb7NonZeroIaEPalEEPllNS8_6detail34convert_binary_result_type_wrapperINS8_3SumESD_lEEEE10hipError_tPvRmT1_T2_T3_mT4_P12ihipStream_tbEUlT_E1_NS1_11comp_targetILNS1_3genE8ELNS1_11target_archE1030ELNS1_3gpuE2ELNS1_3repE0EEENS1_30default_config_static_selectorELNS0_4arch9wavefront6targetE1EEEvSM_.has_dyn_sized_stack, 0
	.set _ZN7rocprim17ROCPRIM_400000_NS6detail17trampoline_kernelINS0_14default_configENS1_22reduce_config_selectorIbEEZNS1_11reduce_implILb1ES3_N6hipcub16HIPCUB_304000_NS22TransformInputIteratorIb7NonZeroIaEPalEEPllNS8_6detail34convert_binary_result_type_wrapperINS8_3SumESD_lEEEE10hipError_tPvRmT1_T2_T3_mT4_P12ihipStream_tbEUlT_E1_NS1_11comp_targetILNS1_3genE8ELNS1_11target_archE1030ELNS1_3gpuE2ELNS1_3repE0EEENS1_30default_config_static_selectorELNS0_4arch9wavefront6targetE1EEEvSM_.has_recursion, 0
	.set _ZN7rocprim17ROCPRIM_400000_NS6detail17trampoline_kernelINS0_14default_configENS1_22reduce_config_selectorIbEEZNS1_11reduce_implILb1ES3_N6hipcub16HIPCUB_304000_NS22TransformInputIteratorIb7NonZeroIaEPalEEPllNS8_6detail34convert_binary_result_type_wrapperINS8_3SumESD_lEEEE10hipError_tPvRmT1_T2_T3_mT4_P12ihipStream_tbEUlT_E1_NS1_11comp_targetILNS1_3genE8ELNS1_11target_archE1030ELNS1_3gpuE2ELNS1_3repE0EEENS1_30default_config_static_selectorELNS0_4arch9wavefront6targetE1EEEvSM_.has_indirect_call, 0
	.section	.AMDGPU.csdata,"",@progbits
; Kernel info:
; codeLenInByte = 0
; TotalNumSgprs: 6
; NumVgprs: 0
; NumAgprs: 0
; TotalNumVgprs: 0
; ScratchSize: 0
; MemoryBound: 0
; FloatMode: 240
; IeeeMode: 1
; LDSByteSize: 0 bytes/workgroup (compile time only)
; SGPRBlocks: 0
; VGPRBlocks: 0
; NumSGPRsForWavesPerEU: 6
; NumVGPRsForWavesPerEU: 1
; AccumOffset: 4
; Occupancy: 8
; WaveLimiterHint : 0
; COMPUTE_PGM_RSRC2:SCRATCH_EN: 0
; COMPUTE_PGM_RSRC2:USER_SGPR: 2
; COMPUTE_PGM_RSRC2:TRAP_HANDLER: 0
; COMPUTE_PGM_RSRC2:TGID_X_EN: 1
; COMPUTE_PGM_RSRC2:TGID_Y_EN: 0
; COMPUTE_PGM_RSRC2:TGID_Z_EN: 0
; COMPUTE_PGM_RSRC2:TIDIG_COMP_CNT: 0
; COMPUTE_PGM_RSRC3_GFX90A:ACCUM_OFFSET: 0
; COMPUTE_PGM_RSRC3_GFX90A:TG_SPLIT: 0
	.section	.text._ZN7rocprim17ROCPRIM_400000_NS6detail31init_lookback_scan_state_kernelINS1_19lookback_scan_stateImLb0ELb1EEENS1_16block_id_wrapperIjLb0EEEEEvT_jT0_jPNS7_10value_typeE,"axG",@progbits,_ZN7rocprim17ROCPRIM_400000_NS6detail31init_lookback_scan_state_kernelINS1_19lookback_scan_stateImLb0ELb1EEENS1_16block_id_wrapperIjLb0EEEEEvT_jT0_jPNS7_10value_typeE,comdat
	.protected	_ZN7rocprim17ROCPRIM_400000_NS6detail31init_lookback_scan_state_kernelINS1_19lookback_scan_stateImLb0ELb1EEENS1_16block_id_wrapperIjLb0EEEEEvT_jT0_jPNS7_10value_typeE ; -- Begin function _ZN7rocprim17ROCPRIM_400000_NS6detail31init_lookback_scan_state_kernelINS1_19lookback_scan_stateImLb0ELb1EEENS1_16block_id_wrapperIjLb0EEEEEvT_jT0_jPNS7_10value_typeE
	.globl	_ZN7rocprim17ROCPRIM_400000_NS6detail31init_lookback_scan_state_kernelINS1_19lookback_scan_stateImLb0ELb1EEENS1_16block_id_wrapperIjLb0EEEEEvT_jT0_jPNS7_10value_typeE
	.p2align	8
	.type	_ZN7rocprim17ROCPRIM_400000_NS6detail31init_lookback_scan_state_kernelINS1_19lookback_scan_stateImLb0ELb1EEENS1_16block_id_wrapperIjLb0EEEEEvT_jT0_jPNS7_10value_typeE,@function
_ZN7rocprim17ROCPRIM_400000_NS6detail31init_lookback_scan_state_kernelINS1_19lookback_scan_stateImLb0ELb1EEENS1_16block_id_wrapperIjLb0EEEEEvT_jT0_jPNS7_10value_typeE: ; @_ZN7rocprim17ROCPRIM_400000_NS6detail31init_lookback_scan_state_kernelINS1_19lookback_scan_stateImLb0ELb1EEENS1_16block_id_wrapperIjLb0EEEEEvT_jT0_jPNS7_10value_typeE
; %bb.0:
	s_load_dword s3, s[0:1], 0x2c
	s_load_dwordx2 s[6:7], s[0:1], 0x18
	s_load_dwordx2 s[4:5], s[0:1], 0x0
	s_load_dword s12, s[0:1], 0x8
	s_waitcnt lgkmcnt(0)
	s_and_b32 s3, s3, 0xffff
	s_mul_i32 s2, s2, s3
	s_cmp_eq_u64 s[6:7], 0
	v_add_u32_e32 v0, s2, v0
	s_cbranch_scc1 .LBB36_8
; %bb.1:
	s_load_dword s2, s[0:1], 0x10
	s_mov_b32 s3, 0
	s_waitcnt lgkmcnt(0)
	s_cmp_lt_u32 s2, s12
	s_cselect_b32 s0, s2, 0
	v_cmp_eq_u32_e32 vcc, s0, v0
	s_and_saveexec_b64 s[0:1], vcc
	s_cbranch_execz .LBB36_7
; %bb.2:
	s_add_i32 s2, s2, 64
	s_lshl_b64 s[2:3], s[2:3], 4
	s_add_u32 s10, s4, s2
	s_addc_u32 s11, s5, s3
	v_mov_b64_e32 v[2:3], s[10:11]
	;;#ASMSTART
	global_load_dwordx4 v[2:5], v[2:3] off sc1	
s_waitcnt vmcnt(0)
	;;#ASMEND
	v_mov_b32_e32 v7, 0
	v_and_b32_e32 v6, 0xff, v4
	s_mov_b64 s[8:9], 0
	v_cmp_eq_u64_e32 vcc, 0, v[6:7]
	s_and_saveexec_b64 s[2:3], vcc
	s_cbranch_execz .LBB36_6
; %bb.3:
	v_mov_b64_e32 v[8:9], s[10:11]
.LBB36_4:                               ; =>This Inner Loop Header: Depth=1
	;;#ASMSTART
	global_load_dwordx4 v[2:5], v[8:9] off sc1	
s_waitcnt vmcnt(0)
	;;#ASMEND
	s_nop 0
	v_and_b32_e32 v6, 0xff, v4
	v_cmp_ne_u64_e32 vcc, 0, v[6:7]
	s_or_b64 s[8:9], vcc, s[8:9]
	s_andn2_b64 exec, exec, s[8:9]
	s_cbranch_execnz .LBB36_4
; %bb.5:
	s_or_b64 exec, exec, s[8:9]
.LBB36_6:
	s_or_b64 exec, exec, s[2:3]
	v_mov_b32_e32 v1, 0
	global_store_dwordx2 v1, v[2:3], s[6:7]
.LBB36_7:
	s_or_b64 exec, exec, s[0:1]
.LBB36_8:
	v_cmp_gt_u32_e32 vcc, s12, v0
	s_and_saveexec_b64 s[0:1], vcc
	s_cbranch_execnz .LBB36_11
; %bb.9:
	s_or_b64 exec, exec, s[0:1]
	v_cmp_gt_u32_e32 vcc, 64, v0
	s_and_saveexec_b64 s[0:1], vcc
	s_cbranch_execnz .LBB36_12
.LBB36_10:
	s_endpgm
.LBB36_11:
	v_add_u32_e32 v2, 64, v0
	v_mov_b32_e32 v3, 0
	v_lshl_add_u64 v[6:7], v[2:3], 4, s[4:5]
	v_mov_b32_e32 v2, v3
	v_mov_b32_e32 v4, v3
	;; [unrolled: 1-line block ×3, first 2 shown]
	global_store_dwordx4 v[6:7], v[2:5], off
	s_or_b64 exec, exec, s[0:1]
	v_cmp_gt_u32_e32 vcc, 64, v0
	s_and_saveexec_b64 s[0:1], vcc
	s_cbranch_execz .LBB36_10
.LBB36_12:
	v_mov_b32_e32 v1, 0
	v_lshl_add_u64 v[4:5], v[0:1], 4, s[4:5]
	v_mov_b32_e32 v2, 0xff
	v_mov_b32_e32 v0, v1
	;; [unrolled: 1-line block ×3, first 2 shown]
	global_store_dwordx4 v[4:5], v[0:3], off
	s_endpgm
	.section	.rodata,"a",@progbits
	.p2align	6, 0x0
	.amdhsa_kernel _ZN7rocprim17ROCPRIM_400000_NS6detail31init_lookback_scan_state_kernelINS1_19lookback_scan_stateImLb0ELb1EEENS1_16block_id_wrapperIjLb0EEEEEvT_jT0_jPNS7_10value_typeE
		.amdhsa_group_segment_fixed_size 0
		.amdhsa_private_segment_fixed_size 0
		.amdhsa_kernarg_size 288
		.amdhsa_user_sgpr_count 2
		.amdhsa_user_sgpr_dispatch_ptr 0
		.amdhsa_user_sgpr_queue_ptr 0
		.amdhsa_user_sgpr_kernarg_segment_ptr 1
		.amdhsa_user_sgpr_dispatch_id 0
		.amdhsa_user_sgpr_kernarg_preload_length 0
		.amdhsa_user_sgpr_kernarg_preload_offset 0
		.amdhsa_user_sgpr_private_segment_size 0
		.amdhsa_uses_dynamic_stack 0
		.amdhsa_enable_private_segment 0
		.amdhsa_system_sgpr_workgroup_id_x 1
		.amdhsa_system_sgpr_workgroup_id_y 0
		.amdhsa_system_sgpr_workgroup_id_z 0
		.amdhsa_system_sgpr_workgroup_info 0
		.amdhsa_system_vgpr_workitem_id 0
		.amdhsa_next_free_vgpr 10
		.amdhsa_next_free_sgpr 13
		.amdhsa_accum_offset 12
		.amdhsa_reserve_vcc 1
		.amdhsa_float_round_mode_32 0
		.amdhsa_float_round_mode_16_64 0
		.amdhsa_float_denorm_mode_32 3
		.amdhsa_float_denorm_mode_16_64 3
		.amdhsa_dx10_clamp 1
		.amdhsa_ieee_mode 1
		.amdhsa_fp16_overflow 0
		.amdhsa_tg_split 0
		.amdhsa_exception_fp_ieee_invalid_op 0
		.amdhsa_exception_fp_denorm_src 0
		.amdhsa_exception_fp_ieee_div_zero 0
		.amdhsa_exception_fp_ieee_overflow 0
		.amdhsa_exception_fp_ieee_underflow 0
		.amdhsa_exception_fp_ieee_inexact 0
		.amdhsa_exception_int_div_zero 0
	.end_amdhsa_kernel
	.section	.text._ZN7rocprim17ROCPRIM_400000_NS6detail31init_lookback_scan_state_kernelINS1_19lookback_scan_stateImLb0ELb1EEENS1_16block_id_wrapperIjLb0EEEEEvT_jT0_jPNS7_10value_typeE,"axG",@progbits,_ZN7rocprim17ROCPRIM_400000_NS6detail31init_lookback_scan_state_kernelINS1_19lookback_scan_stateImLb0ELb1EEENS1_16block_id_wrapperIjLb0EEEEEvT_jT0_jPNS7_10value_typeE,comdat
.Lfunc_end36:
	.size	_ZN7rocprim17ROCPRIM_400000_NS6detail31init_lookback_scan_state_kernelINS1_19lookback_scan_stateImLb0ELb1EEENS1_16block_id_wrapperIjLb0EEEEEvT_jT0_jPNS7_10value_typeE, .Lfunc_end36-_ZN7rocprim17ROCPRIM_400000_NS6detail31init_lookback_scan_state_kernelINS1_19lookback_scan_stateImLb0ELb1EEENS1_16block_id_wrapperIjLb0EEEEEvT_jT0_jPNS7_10value_typeE
                                        ; -- End function
	.set _ZN7rocprim17ROCPRIM_400000_NS6detail31init_lookback_scan_state_kernelINS1_19lookback_scan_stateImLb0ELb1EEENS1_16block_id_wrapperIjLb0EEEEEvT_jT0_jPNS7_10value_typeE.num_vgpr, 10
	.set _ZN7rocprim17ROCPRIM_400000_NS6detail31init_lookback_scan_state_kernelINS1_19lookback_scan_stateImLb0ELb1EEENS1_16block_id_wrapperIjLb0EEEEEvT_jT0_jPNS7_10value_typeE.num_agpr, 0
	.set _ZN7rocprim17ROCPRIM_400000_NS6detail31init_lookback_scan_state_kernelINS1_19lookback_scan_stateImLb0ELb1EEENS1_16block_id_wrapperIjLb0EEEEEvT_jT0_jPNS7_10value_typeE.numbered_sgpr, 13
	.set _ZN7rocprim17ROCPRIM_400000_NS6detail31init_lookback_scan_state_kernelINS1_19lookback_scan_stateImLb0ELb1EEENS1_16block_id_wrapperIjLb0EEEEEvT_jT0_jPNS7_10value_typeE.num_named_barrier, 0
	.set _ZN7rocprim17ROCPRIM_400000_NS6detail31init_lookback_scan_state_kernelINS1_19lookback_scan_stateImLb0ELb1EEENS1_16block_id_wrapperIjLb0EEEEEvT_jT0_jPNS7_10value_typeE.private_seg_size, 0
	.set _ZN7rocprim17ROCPRIM_400000_NS6detail31init_lookback_scan_state_kernelINS1_19lookback_scan_stateImLb0ELb1EEENS1_16block_id_wrapperIjLb0EEEEEvT_jT0_jPNS7_10value_typeE.uses_vcc, 1
	.set _ZN7rocprim17ROCPRIM_400000_NS6detail31init_lookback_scan_state_kernelINS1_19lookback_scan_stateImLb0ELb1EEENS1_16block_id_wrapperIjLb0EEEEEvT_jT0_jPNS7_10value_typeE.uses_flat_scratch, 0
	.set _ZN7rocprim17ROCPRIM_400000_NS6detail31init_lookback_scan_state_kernelINS1_19lookback_scan_stateImLb0ELb1EEENS1_16block_id_wrapperIjLb0EEEEEvT_jT0_jPNS7_10value_typeE.has_dyn_sized_stack, 0
	.set _ZN7rocprim17ROCPRIM_400000_NS6detail31init_lookback_scan_state_kernelINS1_19lookback_scan_stateImLb0ELb1EEENS1_16block_id_wrapperIjLb0EEEEEvT_jT0_jPNS7_10value_typeE.has_recursion, 0
	.set _ZN7rocprim17ROCPRIM_400000_NS6detail31init_lookback_scan_state_kernelINS1_19lookback_scan_stateImLb0ELb1EEENS1_16block_id_wrapperIjLb0EEEEEvT_jT0_jPNS7_10value_typeE.has_indirect_call, 0
	.section	.AMDGPU.csdata,"",@progbits
; Kernel info:
; codeLenInByte = 388
; TotalNumSgprs: 19
; NumVgprs: 10
; NumAgprs: 0
; TotalNumVgprs: 10
; ScratchSize: 0
; MemoryBound: 0
; FloatMode: 240
; IeeeMode: 1
; LDSByteSize: 0 bytes/workgroup (compile time only)
; SGPRBlocks: 2
; VGPRBlocks: 1
; NumSGPRsForWavesPerEU: 19
; NumVGPRsForWavesPerEU: 10
; AccumOffset: 12
; Occupancy: 8
; WaveLimiterHint : 0
; COMPUTE_PGM_RSRC2:SCRATCH_EN: 0
; COMPUTE_PGM_RSRC2:USER_SGPR: 2
; COMPUTE_PGM_RSRC2:TRAP_HANDLER: 0
; COMPUTE_PGM_RSRC2:TGID_X_EN: 1
; COMPUTE_PGM_RSRC2:TGID_Y_EN: 0
; COMPUTE_PGM_RSRC2:TGID_Z_EN: 0
; COMPUTE_PGM_RSRC2:TIDIG_COMP_CNT: 0
; COMPUTE_PGM_RSRC3_GFX90A:ACCUM_OFFSET: 2
; COMPUTE_PGM_RSRC3_GFX90A:TG_SPLIT: 0
	.section	.text._ZN7rocprim17ROCPRIM_400000_NS6detail17trampoline_kernelINS0_14default_configENS1_25partition_config_selectorILNS1_17partition_subalgoE5ElNS0_10empty_typeEbEEZZNS1_14partition_implILS5_5ELb0ES3_mN6hipcub16HIPCUB_304000_NS21CountingInputIteratorIllEEPS6_NSA_22TransformInputIteratorIb7NonZeroIaEPalEENS0_5tupleIJPlS6_EEENSJ_IJSD_SD_EEES6_SK_JS6_EEE10hipError_tPvRmT3_T4_T5_T6_T7_T9_mT8_P12ihipStream_tbDpT10_ENKUlT_T0_E_clISt17integral_constantIbLb0EES16_EEDaS11_S12_EUlS11_E_NS1_11comp_targetILNS1_3genE0ELNS1_11target_archE4294967295ELNS1_3gpuE0ELNS1_3repE0EEENS1_30default_config_static_selectorELNS0_4arch9wavefront6targetE1EEEvT1_,"axG",@progbits,_ZN7rocprim17ROCPRIM_400000_NS6detail17trampoline_kernelINS0_14default_configENS1_25partition_config_selectorILNS1_17partition_subalgoE5ElNS0_10empty_typeEbEEZZNS1_14partition_implILS5_5ELb0ES3_mN6hipcub16HIPCUB_304000_NS21CountingInputIteratorIllEEPS6_NSA_22TransformInputIteratorIb7NonZeroIaEPalEENS0_5tupleIJPlS6_EEENSJ_IJSD_SD_EEES6_SK_JS6_EEE10hipError_tPvRmT3_T4_T5_T6_T7_T9_mT8_P12ihipStream_tbDpT10_ENKUlT_T0_E_clISt17integral_constantIbLb0EES16_EEDaS11_S12_EUlS11_E_NS1_11comp_targetILNS1_3genE0ELNS1_11target_archE4294967295ELNS1_3gpuE0ELNS1_3repE0EEENS1_30default_config_static_selectorELNS0_4arch9wavefront6targetE1EEEvT1_,comdat
	.protected	_ZN7rocprim17ROCPRIM_400000_NS6detail17trampoline_kernelINS0_14default_configENS1_25partition_config_selectorILNS1_17partition_subalgoE5ElNS0_10empty_typeEbEEZZNS1_14partition_implILS5_5ELb0ES3_mN6hipcub16HIPCUB_304000_NS21CountingInputIteratorIllEEPS6_NSA_22TransformInputIteratorIb7NonZeroIaEPalEENS0_5tupleIJPlS6_EEENSJ_IJSD_SD_EEES6_SK_JS6_EEE10hipError_tPvRmT3_T4_T5_T6_T7_T9_mT8_P12ihipStream_tbDpT10_ENKUlT_T0_E_clISt17integral_constantIbLb0EES16_EEDaS11_S12_EUlS11_E_NS1_11comp_targetILNS1_3genE0ELNS1_11target_archE4294967295ELNS1_3gpuE0ELNS1_3repE0EEENS1_30default_config_static_selectorELNS0_4arch9wavefront6targetE1EEEvT1_ ; -- Begin function _ZN7rocprim17ROCPRIM_400000_NS6detail17trampoline_kernelINS0_14default_configENS1_25partition_config_selectorILNS1_17partition_subalgoE5ElNS0_10empty_typeEbEEZZNS1_14partition_implILS5_5ELb0ES3_mN6hipcub16HIPCUB_304000_NS21CountingInputIteratorIllEEPS6_NSA_22TransformInputIteratorIb7NonZeroIaEPalEENS0_5tupleIJPlS6_EEENSJ_IJSD_SD_EEES6_SK_JS6_EEE10hipError_tPvRmT3_T4_T5_T6_T7_T9_mT8_P12ihipStream_tbDpT10_ENKUlT_T0_E_clISt17integral_constantIbLb0EES16_EEDaS11_S12_EUlS11_E_NS1_11comp_targetILNS1_3genE0ELNS1_11target_archE4294967295ELNS1_3gpuE0ELNS1_3repE0EEENS1_30default_config_static_selectorELNS0_4arch9wavefront6targetE1EEEvT1_
	.globl	_ZN7rocprim17ROCPRIM_400000_NS6detail17trampoline_kernelINS0_14default_configENS1_25partition_config_selectorILNS1_17partition_subalgoE5ElNS0_10empty_typeEbEEZZNS1_14partition_implILS5_5ELb0ES3_mN6hipcub16HIPCUB_304000_NS21CountingInputIteratorIllEEPS6_NSA_22TransformInputIteratorIb7NonZeroIaEPalEENS0_5tupleIJPlS6_EEENSJ_IJSD_SD_EEES6_SK_JS6_EEE10hipError_tPvRmT3_T4_T5_T6_T7_T9_mT8_P12ihipStream_tbDpT10_ENKUlT_T0_E_clISt17integral_constantIbLb0EES16_EEDaS11_S12_EUlS11_E_NS1_11comp_targetILNS1_3genE0ELNS1_11target_archE4294967295ELNS1_3gpuE0ELNS1_3repE0EEENS1_30default_config_static_selectorELNS0_4arch9wavefront6targetE1EEEvT1_
	.p2align	8
	.type	_ZN7rocprim17ROCPRIM_400000_NS6detail17trampoline_kernelINS0_14default_configENS1_25partition_config_selectorILNS1_17partition_subalgoE5ElNS0_10empty_typeEbEEZZNS1_14partition_implILS5_5ELb0ES3_mN6hipcub16HIPCUB_304000_NS21CountingInputIteratorIllEEPS6_NSA_22TransformInputIteratorIb7NonZeroIaEPalEENS0_5tupleIJPlS6_EEENSJ_IJSD_SD_EEES6_SK_JS6_EEE10hipError_tPvRmT3_T4_T5_T6_T7_T9_mT8_P12ihipStream_tbDpT10_ENKUlT_T0_E_clISt17integral_constantIbLb0EES16_EEDaS11_S12_EUlS11_E_NS1_11comp_targetILNS1_3genE0ELNS1_11target_archE4294967295ELNS1_3gpuE0ELNS1_3repE0EEENS1_30default_config_static_selectorELNS0_4arch9wavefront6targetE1EEEvT1_,@function
_ZN7rocprim17ROCPRIM_400000_NS6detail17trampoline_kernelINS0_14default_configENS1_25partition_config_selectorILNS1_17partition_subalgoE5ElNS0_10empty_typeEbEEZZNS1_14partition_implILS5_5ELb0ES3_mN6hipcub16HIPCUB_304000_NS21CountingInputIteratorIllEEPS6_NSA_22TransformInputIteratorIb7NonZeroIaEPalEENS0_5tupleIJPlS6_EEENSJ_IJSD_SD_EEES6_SK_JS6_EEE10hipError_tPvRmT3_T4_T5_T6_T7_T9_mT8_P12ihipStream_tbDpT10_ENKUlT_T0_E_clISt17integral_constantIbLb0EES16_EEDaS11_S12_EUlS11_E_NS1_11comp_targetILNS1_3genE0ELNS1_11target_archE4294967295ELNS1_3gpuE0ELNS1_3repE0EEENS1_30default_config_static_selectorELNS0_4arch9wavefront6targetE1EEEvT1_: ; @_ZN7rocprim17ROCPRIM_400000_NS6detail17trampoline_kernelINS0_14default_configENS1_25partition_config_selectorILNS1_17partition_subalgoE5ElNS0_10empty_typeEbEEZZNS1_14partition_implILS5_5ELb0ES3_mN6hipcub16HIPCUB_304000_NS21CountingInputIteratorIllEEPS6_NSA_22TransformInputIteratorIb7NonZeroIaEPalEENS0_5tupleIJPlS6_EEENSJ_IJSD_SD_EEES6_SK_JS6_EEE10hipError_tPvRmT3_T4_T5_T6_T7_T9_mT8_P12ihipStream_tbDpT10_ENKUlT_T0_E_clISt17integral_constantIbLb0EES16_EEDaS11_S12_EUlS11_E_NS1_11comp_targetILNS1_3genE0ELNS1_11target_archE4294967295ELNS1_3gpuE0ELNS1_3repE0EEENS1_30default_config_static_selectorELNS0_4arch9wavefront6targetE1EEEvT1_
; %bb.0:
	s_load_dwordx4 s[4:7], s[0:1], 0x8
	s_load_dwordx2 s[20:21], s[0:1], 0x58
	s_load_dwordx4 s[16:19], s[0:1], 0x48
	s_load_dwordx2 s[8:9], s[0:1], 0x20
	s_load_dword s3, s[0:1], 0x70
	s_waitcnt lgkmcnt(0)
	s_add_u32 s11, s6, s4
	s_addc_u32 s12, s7, s5
	s_load_dwordx2 s[14:15], s[18:19], 0x0
	s_mul_i32 s10, s2, 0x380
	s_mul_i32 s4, s3, 0x380
	s_add_i32 s13, s3, -1
	s_add_i32 s3, s4, s6
	s_sub_i32 s3, s20, s3
	s_add_u32 s4, s6, s4
	s_addc_u32 s5, s7, 0
	v_mov_b64_e32 v[2:3], s[4:5]
	s_cmp_eq_u32 s2, s13
	v_cmp_le_u64_e32 vcc, s[20:21], v[2:3]
	s_cselect_b64 s[18:19], -1, 0
	s_and_b64 s[20:21], s[18:19], vcc
	s_xor_b64 s[20:21], s[20:21], -1
	s_mov_b64 s[4:5], -1
	s_and_b64 vcc, exec, s[20:21]
	s_cbranch_vccz .LBB37_2
; %bb.1:
	s_add_u32 s4, s11, s10
	v_mov_b32_e32 v1, 0
	s_addc_u32 s5, s12, 0
	v_lshl_add_u64 v[2:3], s[4:5], 0, v[0:1]
	s_mov_b64 s[4:5], 0x80
	v_lshl_add_u64 v[4:5], v[2:3], 0, s[4:5]
	s_mov_b64 s[4:5], 0x100
	;; [unrolled: 2-line block ×6, first 2 shown]
	v_lshlrev_b32_e32 v1, 3, v0
	v_lshl_add_u64 v[14:15], v[2:3], 0, s[4:5]
	ds_write2st64_b64 v1, v[2:3], v[4:5] offset1:2
	ds_write2st64_b64 v1, v[6:7], v[8:9] offset0:4 offset1:6
	ds_write2st64_b64 v1, v[10:11], v[12:13] offset0:8 offset1:10
	ds_write_b64 v1, v[14:15] offset:6144
	s_waitcnt lgkmcnt(0)
	s_barrier
	s_mov_b64 s[4:5], 0
.LBB37_2:
	s_addk_i32 s3, 0x380
	s_andn2_b64 vcc, exec, s[4:5]
	v_cmp_gt_u32_e64 s[4:5], s3, v0
	s_cbranch_vccnz .LBB37_4
; %bb.3:
	s_add_u32 s22, s11, s10
	v_mov_b32_e32 v1, 0
	s_addc_u32 s23, s12, 0
	v_or_b32_e32 v4, 0x80, v0
	v_mov_b32_e32 v5, v1
	v_lshl_add_u64 v[6:7], s[22:23], 0, v[4:5]
	v_cmp_gt_u32_e32 vcc, s3, v4
	v_lshl_add_u64 v[2:3], s[22:23], 0, v[0:1]
	v_cndmask_b32_e64 v3, 0, v3, s[4:5]
	v_cndmask_b32_e32 v5, 0, v7, vcc
	v_cndmask_b32_e32 v4, 0, v6, vcc
	v_or_b32_e32 v6, 0x100, v0
	v_mov_b32_e32 v7, v1
	v_lshl_add_u64 v[8:9], s[22:23], 0, v[6:7]
	v_cmp_gt_u32_e32 vcc, s3, v6
	v_cndmask_b32_e64 v2, 0, v2, s[4:5]
	s_nop 0
	v_cndmask_b32_e32 v7, 0, v9, vcc
	v_cndmask_b32_e32 v6, 0, v8, vcc
	v_or_b32_e32 v8, 0x180, v0
	v_mov_b32_e32 v9, v1
	v_lshl_add_u64 v[10:11], s[22:23], 0, v[8:9]
	v_cmp_gt_u32_e32 vcc, s3, v8
	s_nop 1
	v_cndmask_b32_e32 v9, 0, v11, vcc
	v_cndmask_b32_e32 v8, 0, v10, vcc
	v_or_b32_e32 v10, 0x200, v0
	v_mov_b32_e32 v11, v1
	v_lshl_add_u64 v[12:13], s[22:23], 0, v[10:11]
	v_cmp_gt_u32_e32 vcc, s3, v10
	;; [unrolled: 7-line block ×4, first 2 shown]
	v_lshlrev_b32_e32 v1, 3, v0
	s_nop 0
	v_cndmask_b32_e32 v15, 0, v17, vcc
	v_cndmask_b32_e32 v14, 0, v16, vcc
	ds_write2st64_b64 v1, v[2:3], v[4:5] offset1:2
	ds_write2st64_b64 v1, v[6:7], v[8:9] offset0:4 offset1:6
	ds_write2st64_b64 v1, v[10:11], v[12:13] offset0:8 offset1:10
	ds_write_b64 v1, v[14:15] offset:6144
	s_waitcnt lgkmcnt(0)
	s_barrier
.LBB37_4:
	v_mul_u32_u24_e32 v1, 7, v0
	v_lshlrev_b32_e32 v3, 3, v1
	s_waitcnt lgkmcnt(0)
	ds_read2_b64 v[66:69], v3 offset1:1
	ds_read2_b64 v[62:65], v3 offset0:2 offset1:3
	ds_read2_b64 v[58:61], v3 offset0:4 offset1:5
	ds_read_b64 v[10:11], v3 offset:48
	s_add_u32 s4, s8, s6
	s_addc_u32 s5, s9, s7
	s_add_u32 s4, s4, s10
	s_addc_u32 s5, s5, 0
	s_mov_b64 s[6:7], -1
	s_and_b64 vcc, exec, s[20:21]
	s_waitcnt lgkmcnt(0)
	s_barrier
	s_cbranch_vccz .LBB37_6
; %bb.5:
	global_load_ubyte v1, v0, s[4:5]
	global_load_ubyte v2, v0, s[4:5] offset:128
	global_load_ubyte v4, v0, s[4:5] offset:256
	;; [unrolled: 1-line block ×6, first 2 shown]
	s_mov_b64 s[6:7], 0
	s_waitcnt vmcnt(6)
	v_cmp_ne_u16_e32 vcc, 0, v1
	s_nop 1
	v_cndmask_b32_e64 v1, 0, 1, vcc
	s_waitcnt vmcnt(5)
	v_cmp_ne_u16_e32 vcc, 0, v2
	s_nop 1
	v_cndmask_b32_e64 v2, 0, 1, vcc
	;; [unrolled: 4-line block ×7, first 2 shown]
	ds_write_b8 v0, v1
	ds_write_b8 v0, v2 offset:128
	ds_write_b8 v0, v4 offset:256
	;; [unrolled: 1-line block ×6, first 2 shown]
	s_waitcnt lgkmcnt(0)
	s_barrier
.LBB37_6:
	s_load_dwordx2 s[22:23], s[0:1], 0x68
	s_andn2_b64 vcc, exec, s[6:7]
	s_cbranch_vccnz .LBB37_22
; %bb.7:
	v_mov_b32_e32 v2, 0
	v_cmp_gt_u32_e32 vcc, s3, v0
	s_mov_b32 s8, 0
	v_mov_b32_e32 v1, v2
	v_mov_b32_e32 v4, v2
	s_and_saveexec_b64 s[6:7], vcc
	s_cbranch_execz .LBB37_9
; %bb.8:
	global_load_ubyte v1, v0, s[4:5]
	s_waitcnt vmcnt(0)
	v_cmp_ne_u16_e32 vcc, 0, v1
	s_nop 1
	v_cndmask_b32_e64 v2, 0, 1, vcc
	v_mov_b32_e32 v1, s8
	v_mov_b32_e32 v4, v2
.LBB37_9:
	s_or_b64 exec, exec, s[6:7]
	v_or_b32_e32 v5, 0x80, v0
	v_cmp_gt_u32_e32 vcc, s3, v5
	s_and_saveexec_b64 s[6:7], vcc
	s_cbranch_execz .LBB37_11
; %bb.10:
	global_load_ubyte v5, v0, s[4:5] offset:128
	v_lshrrev_b32_e32 v6, 24, v2
	v_mov_b32_e32 v8, 8
	v_lshrrev_b32_e32 v7, 16, v2
	s_movk_i32 s8, 0xff
	v_lshlrev_b16_e32 v6, 8, v6
	v_lshrrev_b32_sdwa v8, v8, v1 dst_sel:BYTE_1 dst_unused:UNUSED_PAD src0_sel:DWORD src1_sel:DWORD
	v_bfe_u32 v9, v1, 16, 8
	v_bitop3_b16 v6, v7, v6, s8 bitop3:0xec
	v_bitop3_b16 v1, v1, v8, s8 bitop3:0xec
	v_lshlrev_b32_e32 v6, 16, v6
	v_and_b32_e32 v1, 0xffff, v1
	v_lshl_or_b32 v1, v9, 16, v1
	s_waitcnt vmcnt(0)
	v_cmp_ne_u16_e32 vcc, 0, v5
	s_nop 1
	v_cndmask_b32_e64 v5, 0, 1, vcc
	v_lshlrev_b16_e32 v5, 8, v5
	v_bitop3_b16 v2, v2, v5, s8 bitop3:0xec
	v_or_b32_sdwa v2, v2, v6 dst_sel:DWORD dst_unused:UNUSED_PAD src0_sel:WORD_0 src1_sel:DWORD
.LBB37_11:
	s_or_b64 exec, exec, s[6:7]
	v_or_b32_e32 v5, 0x100, v0
	v_cmp_gt_u32_e32 vcc, s3, v5
	s_and_saveexec_b64 s[6:7], vcc
	s_cbranch_execz .LBB37_13
; %bb.12:
	global_load_ubyte v5, v0, s[4:5] offset:256
	v_mov_b32_e32 v7, 8
	v_lshrrev_b32_e32 v6, 24, v2
	s_movk_i32 s9, 0xff
	v_lshrrev_b32_sdwa v7, v7, v1 dst_sel:BYTE_1 dst_unused:UNUSED_PAD src0_sel:DWORD src1_sel:DWORD
	s_mov_b32 s8, 0xc0c0104
	v_bfe_u32 v8, v1, 16, 8
	v_lshlrev_b16_e32 v6, 8, v6
	v_bitop3_b16 v1, v1, v7, s9 bitop3:0xec
	v_perm_b32 v2, v2, v2, s8
	v_and_b32_e32 v1, 0xffff, v1
	v_lshl_or_b32 v1, v8, 16, v1
	s_waitcnt vmcnt(0)
	v_cmp_ne_u16_e32 vcc, 0, v5
	s_nop 1
	v_cndmask_b32_e64 v5, 0, 1, vcc
	v_or_b32_sdwa v5, v5, v6 dst_sel:WORD_1 dst_unused:UNUSED_PAD src0_sel:DWORD src1_sel:DWORD
	s_nop 0
	v_or_b32_e32 v2, v2, v5
.LBB37_13:
	s_or_b64 exec, exec, s[6:7]
	v_or_b32_e32 v5, 0x180, v0
	v_cmp_gt_u32_e32 vcc, s3, v5
	s_and_saveexec_b64 s[6:7], vcc
	s_cbranch_execz .LBB37_15
; %bb.14:
	global_load_ubyte v5, v0, s[4:5] offset:384
	v_mov_b32_e32 v7, 8
	v_lshrrev_b32_e32 v6, 16, v2
	s_movk_i32 s8, 0xff
	v_lshrrev_b32_sdwa v7, v7, v1 dst_sel:BYTE_1 dst_unused:UNUSED_PAD src0_sel:DWORD src1_sel:DWORD
	s_mov_b32 s9, 0xc0c0104
	v_bfe_u32 v8, v1, 16, 8
	v_bitop3_b16 v1, v1, v7, s8 bitop3:0xec
	v_perm_b32 v2, v2, v2, s9
	v_and_b32_e32 v1, 0xffff, v1
	v_lshl_or_b32 v1, v8, 16, v1
	s_waitcnt vmcnt(0)
	v_cmp_ne_u16_e32 vcc, 0, v5
	s_nop 1
	v_cndmask_b32_e64 v5, 0, 1, vcc
	v_lshlrev_b16_e32 v5, 8, v5
	v_bitop3_b16 v5, v6, v5, s8 bitop3:0xec
	v_lshlrev_b32_e32 v5, 16, v5
	v_or_b32_e32 v2, v2, v5
.LBB37_15:
	s_or_b64 exec, exec, s[6:7]
	v_or_b32_e32 v5, 0x200, v0
	v_cmp_gt_u32_e32 vcc, s3, v5
	s_and_saveexec_b64 s[6:7], vcc
	s_cbranch_execz .LBB37_17
; %bb.16:
	global_load_ubyte v5, v0, s[4:5] offset:512
	v_mov_b32_e32 v6, 8
	v_bfe_u32 v7, v1, 16, 8
	v_lshrrev_b32_sdwa v1, v6, v1 dst_sel:BYTE_1 dst_unused:UNUSED_PAD src0_sel:DWORD src1_sel:DWORD
	s_mov_b32 s8, 0x3020104
	v_perm_b32 v2, v2, v2, s8
	s_waitcnt vmcnt(0)
	v_cmp_ne_u16_e32 vcc, 0, v5
	s_nop 1
	v_cndmask_b32_e64 v5, 0, 1, vcc
	v_or_b32_e32 v1, v5, v1
	v_and_b32_e32 v1, 0xffff, v1
	v_lshl_or_b32 v1, v7, 16, v1
.LBB37_17:
	s_or_b64 exec, exec, s[6:7]
	v_or_b32_e32 v5, 0x280, v0
	v_cmp_gt_u32_e32 vcc, s3, v5
	s_and_saveexec_b64 s[6:7], vcc
	s_cbranch_execz .LBB37_19
; %bb.18:
	global_load_ubyte v5, v0, s[4:5] offset:640
	s_movk_i32 s8, 0xff
	v_bfe_u32 v6, v1, 16, 8
	s_mov_b32 s9, 0x3020104
	v_perm_b32 v2, v2, v2, s9
	s_waitcnt vmcnt(0)
	v_cmp_ne_u16_e32 vcc, 0, v5
	s_nop 1
	v_cndmask_b32_e64 v5, 0, 1, vcc
	v_lshlrev_b16_e32 v5, 8, v5
	v_bitop3_b16 v1, v1, v5, s8 bitop3:0xec
	v_and_b32_e32 v1, 0xffff, v1
	v_lshl_or_b32 v1, v6, 16, v1
.LBB37_19:
	s_or_b64 exec, exec, s[6:7]
	v_or_b32_e32 v5, 0x300, v0
	v_cmp_gt_u32_e32 vcc, s3, v5
	s_and_saveexec_b64 s[6:7], vcc
	s_cbranch_execz .LBB37_21
; %bb.20:
	global_load_ubyte v5, v0, s[4:5] offset:768
	v_mov_b32_e32 v6, 8
	s_movk_i32 s3, 0xff
	v_lshrrev_b32_sdwa v6, v6, v1 dst_sel:BYTE_1 dst_unused:UNUSED_PAD src0_sel:DWORD src1_sel:DWORD
	s_mov_b32 s4, 0x3020104
	v_bitop3_b16 v1, v1, v6, s3 bitop3:0xec
	v_and_b32_e32 v1, 0xffff, v1
	v_perm_b32 v2, v2, v2, s4
	s_waitcnt vmcnt(0)
	v_cmp_ne_u16_e32 vcc, 0, v5
	s_nop 1
	v_cndmask_b32_e64 v5, 0, 1, vcc
	v_lshl_or_b32 v1, v5, 16, v1
.LBB37_21:
	s_or_b64 exec, exec, s[6:7]
	ds_write_b8 v0, v4
	v_lshrrev_b32_e32 v4, 8, v2
	ds_write_b8 v0, v4 offset:128
	ds_write_b8_d16_hi v0, v2 offset:256
	v_lshrrev_b32_e32 v2, 24, v2
	ds_write_b8 v0, v2 offset:384
	ds_write_b8 v0, v1 offset:512
	v_lshrrev_b32_e32 v2, 8, v1
	ds_write_b8 v0, v2 offset:640
	ds_write_b8_d16_hi v0, v1 offset:768
	s_waitcnt lgkmcnt(0)
	s_barrier
.LBB37_22:
	s_movk_i32 s3, 0xffcf
	v_mad_i32_i24 v1, v0, s3, v3
	s_waitcnt lgkmcnt(0)
	ds_read_u8 v2, v1
	ds_read_u8 v3, v1 offset:1
	ds_read_u8 v4, v1 offset:2
	;; [unrolled: 1-line block ×6, first 2 shown]
	s_waitcnt lgkmcnt(6)
	v_and_b32_e32 v24, 1, v2
	v_mov_b32_e32 v25, 0
	s_waitcnt lgkmcnt(5)
	v_and_b32_e32 v22, 1, v3
	s_waitcnt lgkmcnt(4)
	v_and_b32_e32 v20, 1, v4
	;; [unrolled: 2-line block ×3, first 2 shown]
	v_mov_b32_e32 v19, v25
	v_add3_u32 v2, v22, v24, v20
	v_mov_b32_e32 v3, v25
	s_waitcnt lgkmcnt(2)
	v_and_b32_e32 v16, 1, v6
	v_mov_b32_e32 v17, v25
	v_lshl_add_u64 v[2:3], v[2:3], 0, v[18:19]
	s_waitcnt lgkmcnt(1)
	v_and_b32_e32 v14, 1, v7
	v_mov_b32_e32 v15, v25
	v_lshl_add_u64 v[2:3], v[2:3], 0, v[16:17]
	;; [unrolled: 4-line block ×3, first 2 shown]
	v_lshl_add_u64 v[26:27], v[2:3], 0, v[12:13]
	v_mbcnt_lo_u32_b32 v2, -1, 0
	v_mbcnt_hi_u32_b32 v13, -1, v2
	v_and_b32_e32 v39, 15, v13
	s_cmp_lg_u32 s2, 0
	v_mov_b32_e32 v23, v25
	v_mov_b32_e32 v21, v25
	v_cmp_eq_u32_e64 s[4:5], 0, v39
	v_cmp_lt_u32_e64 s[12:13], 1, v39
	v_cmp_lt_u32_e64 s[10:11], 3, v39
	;; [unrolled: 1-line block ×3, first 2 shown]
	v_and_b32_e32 v38, 16, v13
	v_cmp_eq_u32_e64 s[6:7], 0, v13
	v_cmp_ne_u32_e32 vcc, 0, v13
	s_barrier
	s_cbranch_scc0 .LBB37_50
; %bb.23:
	v_mov_b32_dpp v2, v26 row_shr:1 row_mask:0xf bank_mask:0xf
	v_mov_b32_e32 v3, v25
	v_mov_b32_dpp v5, v25 row_shr:1 row_mask:0xf bank_mask:0xf
	v_mov_b32_e32 v4, v25
	v_lshl_add_u64 v[2:3], v[26:27], 0, v[2:3]
	v_lshl_add_u64 v[4:5], v[4:5], 0, v[2:3]
	v_cndmask_b32_e64 v6, v5, 0, s[4:5]
	v_cndmask_b32_e64 v7, v2, v26, s[4:5]
	v_cndmask_b32_e64 v3, v5, v27, s[4:5]
	v_cndmask_b32_e64 v2, v4, v26, s[4:5]
	v_mov_b32_dpp v4, v7 row_shr:2 row_mask:0xf bank_mask:0xf
	v_mov_b32_dpp v5, v6 row_shr:2 row_mask:0xf bank_mask:0xf
	v_lshl_add_u64 v[4:5], v[4:5], 0, v[2:3]
	v_cndmask_b32_e64 v6, v6, v5, s[12:13]
	v_cndmask_b32_e64 v7, v7, v4, s[12:13]
	v_cndmask_b32_e64 v3, v3, v5, s[12:13]
	v_cndmask_b32_e64 v2, v2, v4, s[12:13]
	v_mov_b32_dpp v4, v7 row_shr:4 row_mask:0xf bank_mask:0xf
	v_mov_b32_dpp v5, v6 row_shr:4 row_mask:0xf bank_mask:0xf
	;; [unrolled: 7-line block ×3, first 2 shown]
	v_lshl_add_u64 v[4:5], v[4:5], 0, v[2:3]
	v_cndmask_b32_e64 v8, v6, v5, s[8:9]
	v_cndmask_b32_e64 v9, v7, v4, s[8:9]
	v_cndmask_b32_e64 v5, v3, v5, s[8:9]
	v_cndmask_b32_e64 v4, v2, v4, s[8:9]
	v_mov_b32_dpp v2, v9 row_bcast:15 row_mask:0xf bank_mask:0xf
	v_mov_b32_dpp v3, v8 row_bcast:15 row_mask:0xf bank_mask:0xf
	v_lshl_add_u64 v[6:7], v[2:3], 0, v[4:5]
	v_cmp_eq_u32_e64 s[8:9], 0, v38
	s_nop 1
	v_cndmask_b32_e64 v2, v7, v8, s[8:9]
	v_cndmask_b32_e64 v3, v6, v9, s[8:9]
	s_nop 0
	v_mov_b32_dpp v9, v2 row_bcast:31 row_mask:0xf bank_mask:0xf
	v_mov_b32_dpp v8, v3 row_bcast:31 row_mask:0xf bank_mask:0xf
	v_mov_b64_e32 v[2:3], v[26:27]
	s_and_saveexec_b64 s[10:11], vcc
; %bb.24:
	v_cmp_lt_u32_e32 vcc, 31, v13
	v_cndmask_b32_e64 v3, v7, v5, s[8:9]
	v_cndmask_b32_e64 v2, v6, v4, s[8:9]
	v_cndmask_b32_e32 v5, 0, v9, vcc
	v_cndmask_b32_e32 v4, 0, v8, vcc
	v_lshl_add_u64 v[2:3], v[4:5], 0, v[2:3]
; %bb.25:
	s_or_b64 exec, exec, s[10:11]
	v_or_b32_e32 v5, 63, v0
	v_lshrrev_b32_e32 v4, 6, v0
	v_cmp_eq_u32_e32 vcc, v0, v5
	s_and_saveexec_b64 s[8:9], vcc
; %bb.26:
	v_lshlrev_b32_e32 v5, 3, v4
	ds_write_b64 v5, v[2:3]
; %bb.27:
	s_or_b64 exec, exec, s[8:9]
	v_cmp_gt_u32_e32 vcc, 2, v0
	s_waitcnt lgkmcnt(0)
	s_barrier
	s_and_saveexec_b64 s[8:9], vcc
	s_cbranch_execz .LBB37_29
; %bb.28:
	v_lshlrev_b32_e32 v5, 3, v0
	ds_read_b64 v[6:7], v5
	v_and_b32_e32 v8, 1, v13
	v_cmp_eq_u32_e32 vcc, 1, v8
	s_waitcnt lgkmcnt(0)
	v_mov_b32_dpp v28, v6 row_shr:1 row_mask:0xf bank_mask:0xf
	v_mov_b32_dpp v9, v7 row_shr:1 row_mask:0xf bank_mask:0xf
	v_cndmask_b32_e32 v9, 0, v9, vcc
	v_cndmask_b32_e32 v8, 0, v28, vcc
	v_lshl_add_u64 v[6:7], v[8:9], 0, v[6:7]
	ds_write_b64 v5, v[6:7]
.LBB37_29:
	s_or_b64 exec, exec, s[8:9]
	v_cmp_gt_u32_e32 vcc, 64, v0
	v_cmp_lt_u32_e64 s[8:9], 63, v0
	s_waitcnt lgkmcnt(0)
	s_barrier
                                        ; implicit-def: $vgpr28_vgpr29
	s_and_saveexec_b64 s[10:11], s[8:9]
	s_cbranch_execz .LBB37_31
; %bb.30:
	v_lshl_add_u32 v4, v4, 3, -8
	ds_read_b64 v[28:29], v4
	s_waitcnt lgkmcnt(0)
	v_lshl_add_u64 v[2:3], v[28:29], 0, v[2:3]
.LBB37_31:
	s_or_b64 exec, exec, s[10:11]
	v_add_u32_e32 v4, -1, v13
	v_and_b32_e32 v5, 64, v13
	v_cmp_lt_i32_e64 s[8:9], v4, v5
	s_nop 1
	v_cndmask_b32_e64 v4, v4, v13, s[8:9]
	v_lshlrev_b32_e32 v4, 2, v4
	ds_bpermute_b32 v41, v4, v2
	ds_bpermute_b32 v40, v4, v3
	s_and_saveexec_b64 s[24:25], vcc
	s_cbranch_execz .LBB37_55
; %bb.32:
	v_mov_b32_e32 v5, 0
	ds_read_b64 v[2:3], v5 offset:8
	s_and_saveexec_b64 s[8:9], s[6:7]
	s_cbranch_execz .LBB37_34
; %bb.33:
	s_add_i32 s10, s2, 64
	s_mov_b32 s11, 0
	s_lshl_b64 s[10:11], s[10:11], 4
	s_add_u32 s10, s22, s10
	s_addc_u32 s11, s23, s11
	v_mov_b32_e32 v4, 1
	v_mov_b64_e32 v[6:7], s[10:11]
	s_waitcnt lgkmcnt(0)
	;;#ASMSTART
	global_store_dwordx4 v[6:7], v[2:5] off sc1	
s_waitcnt vmcnt(0)
	;;#ASMEND
.LBB37_34:
	s_or_b64 exec, exec, s[8:9]
	v_xad_u32 v30, v13, -1, s2
	v_add_u32_e32 v4, 64, v30
	v_lshl_add_u64 v[32:33], v[4:5], 4, s[22:23]
	;;#ASMSTART
	global_load_dwordx4 v[6:9], v[32:33] off sc1	
s_waitcnt vmcnt(0)
	;;#ASMEND
	s_nop 0
	v_cmp_eq_u16_sdwa s[10:11], v8, v5 src0_sel:BYTE_0 src1_sel:DWORD
	s_and_saveexec_b64 s[8:9], s[10:11]
	s_cbranch_execz .LBB37_38
; %bb.35:
	s_mov_b64 s[10:11], 0
	v_mov_b32_e32 v4, 0
.LBB37_36:                              ; =>This Inner Loop Header: Depth=1
	;;#ASMSTART
	global_load_dwordx4 v[6:9], v[32:33] off sc1	
s_waitcnt vmcnt(0)
	;;#ASMEND
	s_nop 0
	v_cmp_ne_u16_sdwa s[26:27], v8, v4 src0_sel:BYTE_0 src1_sel:DWORD
	s_or_b64 s[10:11], s[26:27], s[10:11]
	s_andn2_b64 exec, exec, s[10:11]
	s_cbranch_execnz .LBB37_36
; %bb.37:
	s_or_b64 exec, exec, s[10:11]
.LBB37_38:
	s_or_b64 exec, exec, s[8:9]
	v_mov_b32_e32 v42, 2
	v_cmp_eq_u16_sdwa s[8:9], v8, v42 src0_sel:BYTE_0 src1_sel:DWORD
	v_lshlrev_b64 v[32:33], v13, -1
	v_and_b32_e32 v43, 63, v13
	v_and_b32_e32 v4, s9, v33
	v_or_b32_e32 v4, 0x80000000, v4
	v_and_b32_e32 v5, s8, v32
	v_ffbl_b32_e32 v4, v4
	v_add_u32_e32 v4, 32, v4
	v_ffbl_b32_e32 v5, v5
	v_cmp_ne_u32_e32 vcc, 63, v43
	v_min_u32_e32 v9, v5, v4
	v_mov_b32_e32 v31, 0
	v_addc_co_u32_e32 v4, vcc, 0, v13, vcc
	v_lshlrev_b32_e32 v44, 2, v4
	ds_bpermute_b32 v4, v44, v6
	ds_bpermute_b32 v35, v44, v7
	v_mov_b32_e32 v5, v31
	v_mov_b32_e32 v34, v31
	v_cmp_lt_u32_e64 s[8:9], v43, v9
	s_waitcnt lgkmcnt(1)
	v_lshl_add_u64 v[4:5], v[6:7], 0, v[4:5]
	v_cmp_gt_u32_e32 vcc, 62, v43
	s_waitcnt lgkmcnt(0)
	v_lshl_add_u64 v[34:35], v[34:35], 0, v[4:5]
	v_cndmask_b32_e64 v47, v6, v4, s[8:9]
	v_cndmask_b32_e64 v4, 0, 2, vcc
	v_cndmask_b32_e64 v5, v7, v35, s[8:9]
	v_add_lshl_u32 v45, v4, v13, 2
	ds_bpermute_b32 v36, v45, v47
	ds_bpermute_b32 v37, v45, v5
	v_cndmask_b32_e64 v4, v6, v34, s[8:9]
	v_add_u32_e32 v46, 2, v43
	v_cmp_gt_u32_e32 vcc, v46, v9
	v_cmp_gt_u32_e64 s[10:11], 60, v43
	s_waitcnt lgkmcnt(0)
	v_lshl_add_u64 v[34:35], v[36:37], 0, v[4:5]
	v_cndmask_b32_e32 v5, v35, v5, vcc
	v_cndmask_b32_e64 v35, 0, 4, s[10:11]
	v_cndmask_b32_e32 v49, v34, v47, vcc
	v_add_lshl_u32 v47, v35, v13, 2
	ds_bpermute_b32 v36, v47, v49
	ds_bpermute_b32 v37, v47, v5
	v_cndmask_b32_e32 v4, v34, v4, vcc
	v_add_u32_e32 v48, 4, v43
	v_cmp_gt_u32_e32 vcc, v48, v9
	v_cmp_gt_u32_e64 s[10:11], 56, v43
	s_waitcnt lgkmcnt(0)
	v_lshl_add_u64 v[34:35], v[36:37], 0, v[4:5]
	v_cndmask_b32_e32 v5, v35, v5, vcc
	v_cndmask_b32_e64 v35, 0, 8, s[10:11]
	v_cndmask_b32_e32 v51, v34, v49, vcc
	v_add_lshl_u32 v49, v35, v13, 2
	ds_bpermute_b32 v36, v49, v51
	ds_bpermute_b32 v37, v49, v5
	v_cndmask_b32_e32 v4, v34, v4, vcc
	;; [unrolled: 12-line block ×3, first 2 shown]
	v_add_u32_e32 v52, 16, v43
	v_cmp_gt_u32_e32 vcc, v52, v9
	v_add_u32_e32 v54, 32, v43
	s_waitcnt lgkmcnt(0)
	v_lshl_add_u64 v[34:35], v[36:37], 0, v[4:5]
	v_cndmask_b32_e32 v36, v34, v53, vcc
	v_mov_b32_e32 v53, 0x80
	v_cndmask_b32_e32 v37, v35, v5, vcc
	v_lshl_or_b32 v53, v13, 2, v53
	ds_bpermute_b32 v36, v53, v36
	ds_bpermute_b32 v37, v53, v37
	s_and_saveexec_b64 s[10:11], s[8:9]
	s_cbranch_execz .LBB37_40
; %bb.39:
	v_cndmask_b32_e32 v5, v35, v5, vcc
	v_cndmask_b32_e32 v4, v34, v4, vcc
	v_cmp_le_u32_e32 vcc, v54, v9
	s_waitcnt lgkmcnt(0)
	s_nop 0
	v_cndmask_b32_e32 v7, 0, v37, vcc
	v_cndmask_b32_e32 v6, 0, v36, vcc
	v_lshl_add_u64 v[6:7], v[6:7], 0, v[4:5]
.LBB37_40:
	s_or_b64 exec, exec, s[10:11]
	s_branch .LBB37_43
.LBB37_41:                              ;   in Loop: Header=BB37_43 Depth=1
	s_or_b64 exec, exec, s[10:11]
	v_subrev_u32_e32 v30, 64, v30
	v_lshl_add_u64 v[6:7], v[6:7], 0, v[4:5]
	s_mov_b64 s[8:9], 0
.LBB37_42:                              ;   in Loop: Header=BB37_43 Depth=1
	s_and_b64 vcc, exec, s[8:9]
	s_cbranch_vccnz .LBB37_51
.LBB37_43:                              ; =>This Loop Header: Depth=1
                                        ;     Child Loop BB37_46 Depth 2
	v_cmp_ne_u16_sdwa s[8:9], v8, v42 src0_sel:BYTE_0 src1_sel:DWORD
	v_mov_b64_e32 v[4:5], v[6:7]
	s_cmp_lg_u64 s[8:9], exec
	s_mov_b64 s[8:9], -1
                                        ; implicit-def: $vgpr6_vgpr7
	s_cbranch_scc1 .LBB37_42
; %bb.44:                               ;   in Loop: Header=BB37_43 Depth=1
	v_lshl_add_u64 v[34:35], v[30:31], 4, s[22:23]
	;;#ASMSTART
	global_load_dwordx4 v[6:9], v[34:35] off sc1	
s_waitcnt vmcnt(0)
	;;#ASMEND
	s_nop 0
	v_cmp_eq_u16_sdwa s[10:11], v8, v31 src0_sel:BYTE_0 src1_sel:DWORD
	s_and_saveexec_b64 s[8:9], s[10:11]
	s_cbranch_execz .LBB37_48
; %bb.45:                               ;   in Loop: Header=BB37_43 Depth=1
	s_mov_b64 s[10:11], 0
.LBB37_46:                              ;   Parent Loop BB37_43 Depth=1
                                        ; =>  This Inner Loop Header: Depth=2
	;;#ASMSTART
	global_load_dwordx4 v[6:9], v[34:35] off sc1	
s_waitcnt vmcnt(0)
	;;#ASMEND
	s_nop 0
	v_cmp_ne_u16_sdwa s[26:27], v8, v31 src0_sel:BYTE_0 src1_sel:DWORD
	s_or_b64 s[10:11], s[26:27], s[10:11]
	s_andn2_b64 exec, exec, s[10:11]
	s_cbranch_execnz .LBB37_46
; %bb.47:                               ;   in Loop: Header=BB37_43 Depth=1
	s_or_b64 exec, exec, s[10:11]
.LBB37_48:                              ;   in Loop: Header=BB37_43 Depth=1
	s_or_b64 exec, exec, s[8:9]
	v_cmp_eq_u16_sdwa s[8:9], v8, v42 src0_sel:BYTE_0 src1_sel:DWORD
	s_waitcnt lgkmcnt(0)
	ds_bpermute_b32 v37, v44, v7
	v_mov_b32_e32 v36, v31
	v_and_b32_e32 v34, s8, v32
	v_and_b32_e32 v9, s9, v33
	v_ffbl_b32_e32 v35, v34
	ds_bpermute_b32 v34, v44, v6
	v_or_b32_e32 v9, 0x80000000, v9
	v_ffbl_b32_e32 v9, v9
	v_add_u32_e32 v9, 32, v9
	v_min_u32_e32 v9, v35, v9
	v_mov_b32_e32 v35, v31
	s_waitcnt lgkmcnt(0)
	v_lshl_add_u64 v[34:35], v[6:7], 0, v[34:35]
	v_lshl_add_u64 v[36:37], v[36:37], 0, v[34:35]
	v_cmp_lt_u32_e64 s[8:9], v43, v9
	v_cmp_gt_u32_e32 vcc, v46, v9
	s_nop 0
	v_cndmask_b32_e64 v55, v6, v34, s[8:9]
	v_cndmask_b32_e64 v35, v7, v37, s[8:9]
	ds_bpermute_b32 v56, v45, v55
	ds_bpermute_b32 v57, v45, v35
	v_cndmask_b32_e64 v34, v6, v36, s[8:9]
	s_waitcnt lgkmcnt(0)
	v_lshl_add_u64 v[36:37], v[56:57], 0, v[34:35]
	v_cndmask_b32_e32 v55, v36, v55, vcc
	v_cndmask_b32_e32 v35, v37, v35, vcc
	ds_bpermute_b32 v56, v47, v55
	ds_bpermute_b32 v57, v47, v35
	v_cndmask_b32_e32 v34, v36, v34, vcc
	v_cmp_gt_u32_e32 vcc, v48, v9
	s_waitcnt lgkmcnt(0)
	v_lshl_add_u64 v[36:37], v[56:57], 0, v[34:35]
	v_cndmask_b32_e32 v55, v36, v55, vcc
	v_cndmask_b32_e32 v35, v37, v35, vcc
	ds_bpermute_b32 v56, v49, v55
	ds_bpermute_b32 v57, v49, v35
	v_cndmask_b32_e32 v34, v36, v34, vcc
	v_cmp_gt_u32_e32 vcc, v50, v9
	;; [unrolled: 8-line block ×3, first 2 shown]
	s_waitcnt lgkmcnt(0)
	v_lshl_add_u64 v[36:37], v[56:57], 0, v[34:35]
	v_cndmask_b32_e32 v56, v37, v35, vcc
	v_cndmask_b32_e32 v55, v36, v55, vcc
	ds_bpermute_b32 v55, v53, v55
	ds_bpermute_b32 v56, v53, v56
	s_and_saveexec_b64 s[10:11], s[8:9]
	s_cbranch_execz .LBB37_41
; %bb.49:                               ;   in Loop: Header=BB37_43 Depth=1
	v_cndmask_b32_e32 v7, v37, v35, vcc
	v_cndmask_b32_e32 v6, v36, v34, vcc
	v_cmp_le_u32_e32 vcc, v54, v9
	s_waitcnt lgkmcnt(0)
	s_nop 0
	v_cndmask_b32_e32 v35, 0, v56, vcc
	v_cndmask_b32_e32 v34, 0, v55, vcc
	v_lshl_add_u64 v[6:7], v[34:35], 0, v[6:7]
	s_branch .LBB37_41
.LBB37_50:
                                        ; implicit-def: $vgpr6_vgpr7
                                        ; implicit-def: $vgpr8_vgpr9
                                        ; implicit-def: $vgpr28_vgpr29
                                        ; implicit-def: $vgpr30_vgpr31
                                        ; implicit-def: $vgpr32_vgpr33
                                        ; implicit-def: $vgpr34_vgpr35
                                        ; implicit-def: $vgpr36_vgpr37
                                        ; implicit-def: $vgpr4_vgpr5
	s_load_dwordx2 s[6:7], s[0:1], 0x30
	s_cbranch_execnz .LBB37_56
	s_branch .LBB37_67
.LBB37_51:
	s_and_saveexec_b64 s[8:9], s[6:7]
	s_cbranch_execz .LBB37_53
; %bb.52:
	s_add_i32 s2, s2, 64
	s_mov_b32 s3, 0
	s_lshl_b64 s[2:3], s[2:3], 4
	s_add_u32 s2, s22, s2
	s_addc_u32 s3, s23, s3
	v_lshl_add_u64 v[6:7], v[4:5], 0, v[2:3]
	v_mov_b32_e32 v8, 2
	v_mov_b32_e32 v9, 0
	v_mov_b64_e32 v[30:31], s[2:3]
	;;#ASMSTART
	global_store_dwordx4 v[30:31], v[6:9] off sc1	
s_waitcnt vmcnt(0)
	;;#ASMEND
	ds_write_b128 v9, v[2:5] offset:7168
.LBB37_53:
	s_or_b64 exec, exec, s[8:9]
	v_cmp_eq_u32_e32 vcc, 0, v0
	s_and_b64 exec, exec, vcc
; %bb.54:
	v_mov_b32_e32 v2, 0
	ds_write_b64 v2, v[4:5] offset:8
.LBB37_55:
	s_or_b64 exec, exec, s[24:25]
	v_mov_b32_e32 v6, 0
	s_waitcnt lgkmcnt(0)
	s_barrier
	ds_read_b64 v[2:3], v6 offset:8
	v_cndmask_b32_e64 v4, v41, v28, s[6:7]
	v_cndmask_b32_e64 v5, v40, v29, s[6:7]
	v_cmp_ne_u32_e32 vcc, 0, v0
	s_waitcnt lgkmcnt(0)
	s_barrier
	v_cndmask_b32_e32 v5, 0, v5, vcc
	v_cndmask_b32_e32 v4, 0, v4, vcc
	v_lshl_add_u64 v[36:37], v[2:3], 0, v[4:5]
	v_lshl_add_u64 v[34:35], v[36:37], 0, v[24:25]
	;; [unrolled: 1-line block ×3, first 2 shown]
	ds_read_b128 v[2:5], v6 offset:7168
	v_lshl_add_u64 v[30:31], v[32:33], 0, v[20:21]
	v_lshl_add_u64 v[28:29], v[30:31], 0, v[18:19]
	;; [unrolled: 1-line block ×4, first 2 shown]
	s_load_dwordx2 s[6:7], s[0:1], 0x30
	s_branch .LBB37_67
.LBB37_56:
	s_waitcnt lgkmcnt(0)
	v_mov_b32_e32 v4, 0
	v_mov_b32_dpp v2, v26 row_shr:1 row_mask:0xf bank_mask:0xf
	v_mov_b32_e32 v3, v4
	v_mov_b32_dpp v5, v4 row_shr:1 row_mask:0xf bank_mask:0xf
	v_lshl_add_u64 v[2:3], v[26:27], 0, v[2:3]
	v_lshl_add_u64 v[4:5], v[4:5], 0, v[2:3]
	v_cndmask_b32_e64 v6, v5, 0, s[4:5]
	v_cndmask_b32_e64 v7, v2, v26, s[4:5]
	;; [unrolled: 1-line block ×4, first 2 shown]
	v_mov_b32_dpp v4, v7 row_shr:2 row_mask:0xf bank_mask:0xf
	v_mov_b32_dpp v5, v6 row_shr:2 row_mask:0xf bank_mask:0xf
	v_lshl_add_u64 v[4:5], v[4:5], 0, v[2:3]
	v_cndmask_b32_e64 v6, v6, v5, s[12:13]
	v_cndmask_b32_e64 v7, v7, v4, s[12:13]
	;; [unrolled: 1-line block ×4, first 2 shown]
	v_mov_b32_dpp v4, v7 row_shr:4 row_mask:0xf bank_mask:0xf
	v_mov_b32_dpp v5, v6 row_shr:4 row_mask:0xf bank_mask:0xf
	v_lshl_add_u64 v[4:5], v[4:5], 0, v[2:3]
	v_cmp_lt_u32_e32 vcc, 3, v39
	v_cmp_eq_u32_e64 s[0:1], 0, v38
	v_cmp_ne_u32_e64 s[2:3], 0, v13
	v_cndmask_b32_e32 v6, v6, v5, vcc
	v_cndmask_b32_e32 v7, v7, v4, vcc
	;; [unrolled: 1-line block ×4, first 2 shown]
	v_mov_b32_dpp v4, v7 row_shr:8 row_mask:0xf bank_mask:0xf
	v_mov_b32_dpp v5, v6 row_shr:8 row_mask:0xf bank_mask:0xf
	v_lshl_add_u64 v[4:5], v[4:5], 0, v[2:3]
	v_cmp_lt_u32_e32 vcc, 7, v39
	s_nop 1
	v_cndmask_b32_e32 v6, v6, v5, vcc
	v_cndmask_b32_e32 v7, v7, v4, vcc
	;; [unrolled: 1-line block ×4, first 2 shown]
	v_mov_b32_dpp v4, v7 row_bcast:15 row_mask:0xf bank_mask:0xf
	v_mov_b32_dpp v5, v6 row_bcast:15 row_mask:0xf bank_mask:0xf
	v_lshl_add_u64 v[4:5], v[4:5], 0, v[2:3]
	v_cndmask_b32_e64 v8, v5, v6, s[0:1]
	v_cndmask_b32_e64 v6, v4, v7, s[0:1]
	v_cmp_eq_u32_e32 vcc, 0, v13
	v_mov_b32_dpp v7, v8 row_bcast:31 row_mask:0xf bank_mask:0xf
	v_mov_b32_dpp v6, v6 row_bcast:31 row_mask:0xf bank_mask:0xf
	s_and_saveexec_b64 s[4:5], s[2:3]
; %bb.57:
	v_cndmask_b32_e64 v3, v5, v3, s[0:1]
	v_cndmask_b32_e64 v2, v4, v2, s[0:1]
	v_cmp_lt_u32_e64 s[0:1], 31, v13
	s_nop 1
	v_cndmask_b32_e64 v5, 0, v7, s[0:1]
	v_cndmask_b32_e64 v4, 0, v6, s[0:1]
	v_lshl_add_u64 v[26:27], v[4:5], 0, v[2:3]
; %bb.58:
	s_or_b64 exec, exec, s[4:5]
	v_or_b32_e32 v3, 63, v0
	v_lshrrev_b32_e32 v2, 6, v0
	v_cmp_eq_u32_e64 s[0:1], v0, v3
	s_and_saveexec_b64 s[2:3], s[0:1]
; %bb.59:
	v_lshlrev_b32_e32 v3, 3, v2
	ds_write_b64 v3, v[26:27]
; %bb.60:
	s_or_b64 exec, exec, s[2:3]
	v_cmp_gt_u32_e64 s[0:1], 2, v0
	s_waitcnt lgkmcnt(0)
	s_barrier
	s_and_saveexec_b64 s[2:3], s[0:1]
	s_cbranch_execz .LBB37_62
; %bb.61:
	v_add_u32_e32 v1, v1, v0
	ds_read_b64 v[4:5], v1
	v_and_b32_e32 v3, 1, v13
	v_cmp_eq_u32_e64 s[0:1], 1, v3
	s_waitcnt lgkmcnt(0)
	v_mov_b32_dpp v6, v4 row_shr:1 row_mask:0xf bank_mask:0xf
	v_mov_b32_dpp v7, v5 row_shr:1 row_mask:0xf bank_mask:0xf
	v_cndmask_b32_e64 v7, 0, v7, s[0:1]
	v_cndmask_b32_e64 v6, 0, v6, s[0:1]
	v_lshl_add_u64 v[4:5], v[6:7], 0, v[4:5]
	ds_write_b64 v1, v[4:5]
.LBB37_62:
	s_or_b64 exec, exec, s[2:3]
	v_cmp_lt_u32_e64 s[0:1], 63, v0
	v_mov_b64_e32 v[6:7], 0
	s_waitcnt lgkmcnt(0)
	s_barrier
	s_and_saveexec_b64 s[2:3], s[0:1]
; %bb.63:
	v_lshl_add_u32 v1, v2, 3, -8
	ds_read_b64 v[6:7], v1
; %bb.64:
	s_or_b64 exec, exec, s[2:3]
	v_add_u32_e32 v1, -1, v13
	v_and_b32_e32 v4, 64, v13
	v_cmp_lt_i32_e64 s[0:1], v1, v4
	s_waitcnt lgkmcnt(0)
	v_lshl_add_u64 v[2:3], v[6:7], 0, v[26:27]
	v_mov_b32_e32 v5, 0
	v_cndmask_b32_e64 v1, v1, v13, s[0:1]
	v_lshlrev_b32_e32 v4, 2, v1
	ds_bpermute_b32 v1, v4, v2
	ds_bpermute_b32 v8, v4, v3
	ds_read_b64 v[2:3], v5 offset:8
	v_cmp_eq_u32_e64 s[0:1], 0, v0
	s_and_saveexec_b64 s[2:3], s[0:1]
	s_cbranch_execz .LBB37_66
; %bb.65:
	s_add_u32 s4, s22, 0x400
	s_addc_u32 s5, s23, 0
	v_mov_b32_e32 v4, 2
	v_mov_b64_e32 v[26:27], s[4:5]
	s_waitcnt lgkmcnt(0)
	;;#ASMSTART
	global_store_dwordx4 v[26:27], v[2:5] off sc1	
s_waitcnt vmcnt(0)
	;;#ASMEND
.LBB37_66:
	s_or_b64 exec, exec, s[2:3]
	s_waitcnt lgkmcnt(2)
	v_cndmask_b32_e32 v1, v1, v6, vcc
	s_waitcnt lgkmcnt(1)
	v_cndmask_b32_e32 v4, v8, v7, vcc
	v_cndmask_b32_e64 v37, v4, 0, s[0:1]
	v_cndmask_b32_e64 v36, v1, 0, s[0:1]
	v_lshl_add_u64 v[34:35], v[36:37], 0, v[24:25]
	v_lshl_add_u64 v[32:33], v[34:35], 0, v[22:23]
	;; [unrolled: 1-line block ×6, first 2 shown]
	s_waitcnt lgkmcnt(0)
	s_barrier
	v_mov_b64_e32 v[4:5], 0
.LBB37_67:
	s_mov_b64 s[0:1], 0x81
	s_waitcnt lgkmcnt(0)
	v_cmp_gt_u64_e32 vcc, s[0:1], v[2:3]
	s_mov_b64 s[2:3], -1
	v_lshl_add_u64 v[26:27], v[4:5], 0, v[2:3]
	v_cmp_eq_u32_e64 s[0:1], 1, v24
	s_cbranch_vccnz .LBB37_71
; %bb.68:
	s_and_b64 vcc, exec, s[2:3]
	s_cbranch_vccnz .LBB37_86
.LBB37_69:
	v_cmp_eq_u32_e32 vcc, 0, v0
	s_and_b64 s[0:1], vcc, s[18:19]
	s_and_saveexec_b64 s[2:3], s[0:1]
	s_cbranch_execnz .LBB37_97
.LBB37_70:
	s_endpgm
.LBB37_71:
	v_cmp_lt_u64_e32 vcc, v[36:37], v[26:27]
	s_or_b64 s[2:3], s[20:21], vcc
	s_and_b64 s[2:3], s[2:3], s[0:1]
	s_and_saveexec_b64 s[0:1], s[2:3]
	s_cbranch_execz .LBB37_73
; %bb.72:
	s_lshl_b64 s[2:3], s[14:15], 3
	s_add_u32 s2, s6, s2
	s_addc_u32 s3, s7, s3
	v_lshl_add_u64 v[38:39], v[36:37], 3, s[2:3]
	global_store_dwordx2 v[38:39], v[66:67], off
.LBB37_73:
	s_or_b64 exec, exec, s[0:1]
	v_cmp_lt_u64_e32 vcc, v[34:35], v[26:27]
	s_or_b64 s[0:1], s[20:21], vcc
	v_cmp_eq_u32_e32 vcc, 1, v22
	s_and_b64 s[2:3], s[0:1], vcc
	s_and_saveexec_b64 s[0:1], s[2:3]
	s_cbranch_execz .LBB37_75
; %bb.74:
	s_lshl_b64 s[2:3], s[14:15], 3
	s_add_u32 s2, s6, s2
	s_addc_u32 s3, s7, s3
	v_lshl_add_u64 v[38:39], v[34:35], 3, s[2:3]
	global_store_dwordx2 v[38:39], v[68:69], off
.LBB37_75:
	s_or_b64 exec, exec, s[0:1]
	v_cmp_lt_u64_e32 vcc, v[32:33], v[26:27]
	s_or_b64 s[0:1], s[20:21], vcc
	v_cmp_eq_u32_e32 vcc, 1, v20
	s_and_b64 s[2:3], s[0:1], vcc
	;; [unrolled: 14-line block ×6, first 2 shown]
	s_and_saveexec_b64 s[0:1], s[2:3]
	s_cbranch_execz .LBB37_85
; %bb.84:
	s_lshl_b64 s[2:3], s[14:15], 3
	s_add_u32 s2, s6, s2
	s_addc_u32 s3, s7, s3
	v_lshl_add_u64 v[38:39], v[6:7], 3, s[2:3]
	global_store_dwordx2 v[38:39], v[10:11], off
.LBB37_85:
	s_or_b64 exec, exec, s[0:1]
	s_branch .LBB37_69
.LBB37_86:
	v_cmp_eq_u32_e32 vcc, 1, v24
	s_and_saveexec_b64 s[0:1], vcc
	s_cbranch_execnz .LBB37_98
; %bb.87:
	s_or_b64 exec, exec, s[0:1]
	v_cmp_eq_u32_e32 vcc, 1, v22
	s_and_saveexec_b64 s[0:1], vcc
	s_cbranch_execnz .LBB37_99
.LBB37_88:
	s_or_b64 exec, exec, s[0:1]
	v_cmp_eq_u32_e32 vcc, 1, v20
	s_and_saveexec_b64 s[0:1], vcc
	s_cbranch_execnz .LBB37_100
.LBB37_89:
	s_or_b64 exec, exec, s[0:1]
	v_cmp_eq_u32_e32 vcc, 1, v18
	s_and_saveexec_b64 s[0:1], vcc
	s_cbranch_execnz .LBB37_101
.LBB37_90:
	s_or_b64 exec, exec, s[0:1]
	v_cmp_eq_u32_e32 vcc, 1, v16
	s_and_saveexec_b64 s[0:1], vcc
	s_cbranch_execnz .LBB37_102
.LBB37_91:
	s_or_b64 exec, exec, s[0:1]
	v_cmp_eq_u32_e32 vcc, 1, v14
	s_and_saveexec_b64 s[0:1], vcc
	s_cbranch_execnz .LBB37_103
.LBB37_92:
	s_or_b64 exec, exec, s[0:1]
	v_cmp_eq_u32_e32 vcc, 1, v12
	s_and_saveexec_b64 s[0:1], vcc
.LBB37_93:
	v_sub_u32_e32 v1, v6, v4
	v_lshlrev_b32_e32 v1, 3, v1
	ds_write_b64 v1, v[10:11]
.LBB37_94:
	s_or_b64 exec, exec, s[0:1]
	v_mov_b32_e32 v7, 0
	v_lshlrev_b64 v[4:5], 3, v[4:5]
	v_mov_b32_e32 v1, v7
	v_lshl_add_u64 v[4:5], s[6:7], 0, v[4:5]
	s_lshl_b64 s[0:1], s[14:15], 3
	v_lshl_add_u64 v[4:5], v[4:5], 0, s[0:1]
	v_or_b32_e32 v6, 0x80, v0
	s_mov_b64 s[0:1], 0
	v_mov_b64_e32 v[8:9], v[0:1]
	s_waitcnt lgkmcnt(0)
	s_barrier
.LBB37_95:                              ; =>This Inner Loop Header: Depth=1
	v_lshlrev_b32_e32 v1, 3, v8
	ds_read_b64 v[12:13], v1
	v_cmp_le_u64_e32 vcc, v[2:3], v[6:7]
	v_lshl_add_u64 v[10:11], v[8:9], 3, v[4:5]
	v_mov_b64_e32 v[8:9], v[6:7]
	v_add_u32_e32 v6, 0x80, v6
	s_or_b64 s[0:1], vcc, s[0:1]
	s_waitcnt lgkmcnt(0)
	global_store_dwordx2 v[10:11], v[12:13], off
	s_andn2_b64 exec, exec, s[0:1]
	s_cbranch_execnz .LBB37_95
; %bb.96:
	s_or_b64 exec, exec, s[0:1]
	v_cmp_eq_u32_e32 vcc, 0, v0
	s_and_b64 s[0:1], vcc, s[18:19]
	s_and_saveexec_b64 s[2:3], s[0:1]
	s_cbranch_execz .LBB37_70
.LBB37_97:
	v_mov_b32_e32 v2, 0
	v_lshl_add_u64 v[0:1], v[26:27], 0, s[14:15]
	global_store_dwordx2 v2, v[0:1], s[16:17]
	s_endpgm
.LBB37_98:
	v_sub_u32_e32 v1, v36, v4
	v_lshlrev_b32_e32 v1, 3, v1
	ds_write_b64 v1, v[66:67]
	s_or_b64 exec, exec, s[0:1]
	v_cmp_eq_u32_e32 vcc, 1, v22
	s_and_saveexec_b64 s[0:1], vcc
	s_cbranch_execz .LBB37_88
.LBB37_99:
	v_sub_u32_e32 v1, v34, v4
	v_lshlrev_b32_e32 v1, 3, v1
	ds_write_b64 v1, v[68:69]
	s_or_b64 exec, exec, s[0:1]
	v_cmp_eq_u32_e32 vcc, 1, v20
	s_and_saveexec_b64 s[0:1], vcc
	s_cbranch_execz .LBB37_89
.LBB37_100:
	v_sub_u32_e32 v1, v32, v4
	v_lshlrev_b32_e32 v1, 3, v1
	ds_write_b64 v1, v[62:63]
	s_or_b64 exec, exec, s[0:1]
	v_cmp_eq_u32_e32 vcc, 1, v18
	s_and_saveexec_b64 s[0:1], vcc
	s_cbranch_execz .LBB37_90
.LBB37_101:
	v_sub_u32_e32 v1, v30, v4
	v_lshlrev_b32_e32 v1, 3, v1
	ds_write_b64 v1, v[64:65]
	s_or_b64 exec, exec, s[0:1]
	v_cmp_eq_u32_e32 vcc, 1, v16
	s_and_saveexec_b64 s[0:1], vcc
	s_cbranch_execz .LBB37_91
.LBB37_102:
	v_sub_u32_e32 v1, v28, v4
	v_lshlrev_b32_e32 v1, 3, v1
	ds_write_b64 v1, v[58:59]
	s_or_b64 exec, exec, s[0:1]
	v_cmp_eq_u32_e32 vcc, 1, v14
	s_and_saveexec_b64 s[0:1], vcc
	s_cbranch_execz .LBB37_92
.LBB37_103:
	v_sub_u32_e32 v1, v8, v4
	v_lshlrev_b32_e32 v1, 3, v1
	ds_write_b64 v1, v[60:61]
	s_or_b64 exec, exec, s[0:1]
	v_cmp_eq_u32_e32 vcc, 1, v12
	s_and_saveexec_b64 s[0:1], vcc
	s_cbranch_execnz .LBB37_93
	s_branch .LBB37_94
	.section	.rodata,"a",@progbits
	.p2align	6, 0x0
	.amdhsa_kernel _ZN7rocprim17ROCPRIM_400000_NS6detail17trampoline_kernelINS0_14default_configENS1_25partition_config_selectorILNS1_17partition_subalgoE5ElNS0_10empty_typeEbEEZZNS1_14partition_implILS5_5ELb0ES3_mN6hipcub16HIPCUB_304000_NS21CountingInputIteratorIllEEPS6_NSA_22TransformInputIteratorIb7NonZeroIaEPalEENS0_5tupleIJPlS6_EEENSJ_IJSD_SD_EEES6_SK_JS6_EEE10hipError_tPvRmT3_T4_T5_T6_T7_T9_mT8_P12ihipStream_tbDpT10_ENKUlT_T0_E_clISt17integral_constantIbLb0EES16_EEDaS11_S12_EUlS11_E_NS1_11comp_targetILNS1_3genE0ELNS1_11target_archE4294967295ELNS1_3gpuE0ELNS1_3repE0EEENS1_30default_config_static_selectorELNS0_4arch9wavefront6targetE1EEEvT1_
		.amdhsa_group_segment_fixed_size 7184
		.amdhsa_private_segment_fixed_size 0
		.amdhsa_kernarg_size 120
		.amdhsa_user_sgpr_count 2
		.amdhsa_user_sgpr_dispatch_ptr 0
		.amdhsa_user_sgpr_queue_ptr 0
		.amdhsa_user_sgpr_kernarg_segment_ptr 1
		.amdhsa_user_sgpr_dispatch_id 0
		.amdhsa_user_sgpr_kernarg_preload_length 0
		.amdhsa_user_sgpr_kernarg_preload_offset 0
		.amdhsa_user_sgpr_private_segment_size 0
		.amdhsa_uses_dynamic_stack 0
		.amdhsa_enable_private_segment 0
		.amdhsa_system_sgpr_workgroup_id_x 1
		.amdhsa_system_sgpr_workgroup_id_y 0
		.amdhsa_system_sgpr_workgroup_id_z 0
		.amdhsa_system_sgpr_workgroup_info 0
		.amdhsa_system_vgpr_workitem_id 0
		.amdhsa_next_free_vgpr 70
		.amdhsa_next_free_sgpr 28
		.amdhsa_accum_offset 72
		.amdhsa_reserve_vcc 1
		.amdhsa_float_round_mode_32 0
		.amdhsa_float_round_mode_16_64 0
		.amdhsa_float_denorm_mode_32 3
		.amdhsa_float_denorm_mode_16_64 3
		.amdhsa_dx10_clamp 1
		.amdhsa_ieee_mode 1
		.amdhsa_fp16_overflow 0
		.amdhsa_tg_split 0
		.amdhsa_exception_fp_ieee_invalid_op 0
		.amdhsa_exception_fp_denorm_src 0
		.amdhsa_exception_fp_ieee_div_zero 0
		.amdhsa_exception_fp_ieee_overflow 0
		.amdhsa_exception_fp_ieee_underflow 0
		.amdhsa_exception_fp_ieee_inexact 0
		.amdhsa_exception_int_div_zero 0
	.end_amdhsa_kernel
	.section	.text._ZN7rocprim17ROCPRIM_400000_NS6detail17trampoline_kernelINS0_14default_configENS1_25partition_config_selectorILNS1_17partition_subalgoE5ElNS0_10empty_typeEbEEZZNS1_14partition_implILS5_5ELb0ES3_mN6hipcub16HIPCUB_304000_NS21CountingInputIteratorIllEEPS6_NSA_22TransformInputIteratorIb7NonZeroIaEPalEENS0_5tupleIJPlS6_EEENSJ_IJSD_SD_EEES6_SK_JS6_EEE10hipError_tPvRmT3_T4_T5_T6_T7_T9_mT8_P12ihipStream_tbDpT10_ENKUlT_T0_E_clISt17integral_constantIbLb0EES16_EEDaS11_S12_EUlS11_E_NS1_11comp_targetILNS1_3genE0ELNS1_11target_archE4294967295ELNS1_3gpuE0ELNS1_3repE0EEENS1_30default_config_static_selectorELNS0_4arch9wavefront6targetE1EEEvT1_,"axG",@progbits,_ZN7rocprim17ROCPRIM_400000_NS6detail17trampoline_kernelINS0_14default_configENS1_25partition_config_selectorILNS1_17partition_subalgoE5ElNS0_10empty_typeEbEEZZNS1_14partition_implILS5_5ELb0ES3_mN6hipcub16HIPCUB_304000_NS21CountingInputIteratorIllEEPS6_NSA_22TransformInputIteratorIb7NonZeroIaEPalEENS0_5tupleIJPlS6_EEENSJ_IJSD_SD_EEES6_SK_JS6_EEE10hipError_tPvRmT3_T4_T5_T6_T7_T9_mT8_P12ihipStream_tbDpT10_ENKUlT_T0_E_clISt17integral_constantIbLb0EES16_EEDaS11_S12_EUlS11_E_NS1_11comp_targetILNS1_3genE0ELNS1_11target_archE4294967295ELNS1_3gpuE0ELNS1_3repE0EEENS1_30default_config_static_selectorELNS0_4arch9wavefront6targetE1EEEvT1_,comdat
.Lfunc_end37:
	.size	_ZN7rocprim17ROCPRIM_400000_NS6detail17trampoline_kernelINS0_14default_configENS1_25partition_config_selectorILNS1_17partition_subalgoE5ElNS0_10empty_typeEbEEZZNS1_14partition_implILS5_5ELb0ES3_mN6hipcub16HIPCUB_304000_NS21CountingInputIteratorIllEEPS6_NSA_22TransformInputIteratorIb7NonZeroIaEPalEENS0_5tupleIJPlS6_EEENSJ_IJSD_SD_EEES6_SK_JS6_EEE10hipError_tPvRmT3_T4_T5_T6_T7_T9_mT8_P12ihipStream_tbDpT10_ENKUlT_T0_E_clISt17integral_constantIbLb0EES16_EEDaS11_S12_EUlS11_E_NS1_11comp_targetILNS1_3genE0ELNS1_11target_archE4294967295ELNS1_3gpuE0ELNS1_3repE0EEENS1_30default_config_static_selectorELNS0_4arch9wavefront6targetE1EEEvT1_, .Lfunc_end37-_ZN7rocprim17ROCPRIM_400000_NS6detail17trampoline_kernelINS0_14default_configENS1_25partition_config_selectorILNS1_17partition_subalgoE5ElNS0_10empty_typeEbEEZZNS1_14partition_implILS5_5ELb0ES3_mN6hipcub16HIPCUB_304000_NS21CountingInputIteratorIllEEPS6_NSA_22TransformInputIteratorIb7NonZeroIaEPalEENS0_5tupleIJPlS6_EEENSJ_IJSD_SD_EEES6_SK_JS6_EEE10hipError_tPvRmT3_T4_T5_T6_T7_T9_mT8_P12ihipStream_tbDpT10_ENKUlT_T0_E_clISt17integral_constantIbLb0EES16_EEDaS11_S12_EUlS11_E_NS1_11comp_targetILNS1_3genE0ELNS1_11target_archE4294967295ELNS1_3gpuE0ELNS1_3repE0EEENS1_30default_config_static_selectorELNS0_4arch9wavefront6targetE1EEEvT1_
                                        ; -- End function
	.set _ZN7rocprim17ROCPRIM_400000_NS6detail17trampoline_kernelINS0_14default_configENS1_25partition_config_selectorILNS1_17partition_subalgoE5ElNS0_10empty_typeEbEEZZNS1_14partition_implILS5_5ELb0ES3_mN6hipcub16HIPCUB_304000_NS21CountingInputIteratorIllEEPS6_NSA_22TransformInputIteratorIb7NonZeroIaEPalEENS0_5tupleIJPlS6_EEENSJ_IJSD_SD_EEES6_SK_JS6_EEE10hipError_tPvRmT3_T4_T5_T6_T7_T9_mT8_P12ihipStream_tbDpT10_ENKUlT_T0_E_clISt17integral_constantIbLb0EES16_EEDaS11_S12_EUlS11_E_NS1_11comp_targetILNS1_3genE0ELNS1_11target_archE4294967295ELNS1_3gpuE0ELNS1_3repE0EEENS1_30default_config_static_selectorELNS0_4arch9wavefront6targetE1EEEvT1_.num_vgpr, 70
	.set _ZN7rocprim17ROCPRIM_400000_NS6detail17trampoline_kernelINS0_14default_configENS1_25partition_config_selectorILNS1_17partition_subalgoE5ElNS0_10empty_typeEbEEZZNS1_14partition_implILS5_5ELb0ES3_mN6hipcub16HIPCUB_304000_NS21CountingInputIteratorIllEEPS6_NSA_22TransformInputIteratorIb7NonZeroIaEPalEENS0_5tupleIJPlS6_EEENSJ_IJSD_SD_EEES6_SK_JS6_EEE10hipError_tPvRmT3_T4_T5_T6_T7_T9_mT8_P12ihipStream_tbDpT10_ENKUlT_T0_E_clISt17integral_constantIbLb0EES16_EEDaS11_S12_EUlS11_E_NS1_11comp_targetILNS1_3genE0ELNS1_11target_archE4294967295ELNS1_3gpuE0ELNS1_3repE0EEENS1_30default_config_static_selectorELNS0_4arch9wavefront6targetE1EEEvT1_.num_agpr, 0
	.set _ZN7rocprim17ROCPRIM_400000_NS6detail17trampoline_kernelINS0_14default_configENS1_25partition_config_selectorILNS1_17partition_subalgoE5ElNS0_10empty_typeEbEEZZNS1_14partition_implILS5_5ELb0ES3_mN6hipcub16HIPCUB_304000_NS21CountingInputIteratorIllEEPS6_NSA_22TransformInputIteratorIb7NonZeroIaEPalEENS0_5tupleIJPlS6_EEENSJ_IJSD_SD_EEES6_SK_JS6_EEE10hipError_tPvRmT3_T4_T5_T6_T7_T9_mT8_P12ihipStream_tbDpT10_ENKUlT_T0_E_clISt17integral_constantIbLb0EES16_EEDaS11_S12_EUlS11_E_NS1_11comp_targetILNS1_3genE0ELNS1_11target_archE4294967295ELNS1_3gpuE0ELNS1_3repE0EEENS1_30default_config_static_selectorELNS0_4arch9wavefront6targetE1EEEvT1_.numbered_sgpr, 28
	.set _ZN7rocprim17ROCPRIM_400000_NS6detail17trampoline_kernelINS0_14default_configENS1_25partition_config_selectorILNS1_17partition_subalgoE5ElNS0_10empty_typeEbEEZZNS1_14partition_implILS5_5ELb0ES3_mN6hipcub16HIPCUB_304000_NS21CountingInputIteratorIllEEPS6_NSA_22TransformInputIteratorIb7NonZeroIaEPalEENS0_5tupleIJPlS6_EEENSJ_IJSD_SD_EEES6_SK_JS6_EEE10hipError_tPvRmT3_T4_T5_T6_T7_T9_mT8_P12ihipStream_tbDpT10_ENKUlT_T0_E_clISt17integral_constantIbLb0EES16_EEDaS11_S12_EUlS11_E_NS1_11comp_targetILNS1_3genE0ELNS1_11target_archE4294967295ELNS1_3gpuE0ELNS1_3repE0EEENS1_30default_config_static_selectorELNS0_4arch9wavefront6targetE1EEEvT1_.num_named_barrier, 0
	.set _ZN7rocprim17ROCPRIM_400000_NS6detail17trampoline_kernelINS0_14default_configENS1_25partition_config_selectorILNS1_17partition_subalgoE5ElNS0_10empty_typeEbEEZZNS1_14partition_implILS5_5ELb0ES3_mN6hipcub16HIPCUB_304000_NS21CountingInputIteratorIllEEPS6_NSA_22TransformInputIteratorIb7NonZeroIaEPalEENS0_5tupleIJPlS6_EEENSJ_IJSD_SD_EEES6_SK_JS6_EEE10hipError_tPvRmT3_T4_T5_T6_T7_T9_mT8_P12ihipStream_tbDpT10_ENKUlT_T0_E_clISt17integral_constantIbLb0EES16_EEDaS11_S12_EUlS11_E_NS1_11comp_targetILNS1_3genE0ELNS1_11target_archE4294967295ELNS1_3gpuE0ELNS1_3repE0EEENS1_30default_config_static_selectorELNS0_4arch9wavefront6targetE1EEEvT1_.private_seg_size, 0
	.set _ZN7rocprim17ROCPRIM_400000_NS6detail17trampoline_kernelINS0_14default_configENS1_25partition_config_selectorILNS1_17partition_subalgoE5ElNS0_10empty_typeEbEEZZNS1_14partition_implILS5_5ELb0ES3_mN6hipcub16HIPCUB_304000_NS21CountingInputIteratorIllEEPS6_NSA_22TransformInputIteratorIb7NonZeroIaEPalEENS0_5tupleIJPlS6_EEENSJ_IJSD_SD_EEES6_SK_JS6_EEE10hipError_tPvRmT3_T4_T5_T6_T7_T9_mT8_P12ihipStream_tbDpT10_ENKUlT_T0_E_clISt17integral_constantIbLb0EES16_EEDaS11_S12_EUlS11_E_NS1_11comp_targetILNS1_3genE0ELNS1_11target_archE4294967295ELNS1_3gpuE0ELNS1_3repE0EEENS1_30default_config_static_selectorELNS0_4arch9wavefront6targetE1EEEvT1_.uses_vcc, 1
	.set _ZN7rocprim17ROCPRIM_400000_NS6detail17trampoline_kernelINS0_14default_configENS1_25partition_config_selectorILNS1_17partition_subalgoE5ElNS0_10empty_typeEbEEZZNS1_14partition_implILS5_5ELb0ES3_mN6hipcub16HIPCUB_304000_NS21CountingInputIteratorIllEEPS6_NSA_22TransformInputIteratorIb7NonZeroIaEPalEENS0_5tupleIJPlS6_EEENSJ_IJSD_SD_EEES6_SK_JS6_EEE10hipError_tPvRmT3_T4_T5_T6_T7_T9_mT8_P12ihipStream_tbDpT10_ENKUlT_T0_E_clISt17integral_constantIbLb0EES16_EEDaS11_S12_EUlS11_E_NS1_11comp_targetILNS1_3genE0ELNS1_11target_archE4294967295ELNS1_3gpuE0ELNS1_3repE0EEENS1_30default_config_static_selectorELNS0_4arch9wavefront6targetE1EEEvT1_.uses_flat_scratch, 0
	.set _ZN7rocprim17ROCPRIM_400000_NS6detail17trampoline_kernelINS0_14default_configENS1_25partition_config_selectorILNS1_17partition_subalgoE5ElNS0_10empty_typeEbEEZZNS1_14partition_implILS5_5ELb0ES3_mN6hipcub16HIPCUB_304000_NS21CountingInputIteratorIllEEPS6_NSA_22TransformInputIteratorIb7NonZeroIaEPalEENS0_5tupleIJPlS6_EEENSJ_IJSD_SD_EEES6_SK_JS6_EEE10hipError_tPvRmT3_T4_T5_T6_T7_T9_mT8_P12ihipStream_tbDpT10_ENKUlT_T0_E_clISt17integral_constantIbLb0EES16_EEDaS11_S12_EUlS11_E_NS1_11comp_targetILNS1_3genE0ELNS1_11target_archE4294967295ELNS1_3gpuE0ELNS1_3repE0EEENS1_30default_config_static_selectorELNS0_4arch9wavefront6targetE1EEEvT1_.has_dyn_sized_stack, 0
	.set _ZN7rocprim17ROCPRIM_400000_NS6detail17trampoline_kernelINS0_14default_configENS1_25partition_config_selectorILNS1_17partition_subalgoE5ElNS0_10empty_typeEbEEZZNS1_14partition_implILS5_5ELb0ES3_mN6hipcub16HIPCUB_304000_NS21CountingInputIteratorIllEEPS6_NSA_22TransformInputIteratorIb7NonZeroIaEPalEENS0_5tupleIJPlS6_EEENSJ_IJSD_SD_EEES6_SK_JS6_EEE10hipError_tPvRmT3_T4_T5_T6_T7_T9_mT8_P12ihipStream_tbDpT10_ENKUlT_T0_E_clISt17integral_constantIbLb0EES16_EEDaS11_S12_EUlS11_E_NS1_11comp_targetILNS1_3genE0ELNS1_11target_archE4294967295ELNS1_3gpuE0ELNS1_3repE0EEENS1_30default_config_static_selectorELNS0_4arch9wavefront6targetE1EEEvT1_.has_recursion, 0
	.set _ZN7rocprim17ROCPRIM_400000_NS6detail17trampoline_kernelINS0_14default_configENS1_25partition_config_selectorILNS1_17partition_subalgoE5ElNS0_10empty_typeEbEEZZNS1_14partition_implILS5_5ELb0ES3_mN6hipcub16HIPCUB_304000_NS21CountingInputIteratorIllEEPS6_NSA_22TransformInputIteratorIb7NonZeroIaEPalEENS0_5tupleIJPlS6_EEENSJ_IJSD_SD_EEES6_SK_JS6_EEE10hipError_tPvRmT3_T4_T5_T6_T7_T9_mT8_P12ihipStream_tbDpT10_ENKUlT_T0_E_clISt17integral_constantIbLb0EES16_EEDaS11_S12_EUlS11_E_NS1_11comp_targetILNS1_3genE0ELNS1_11target_archE4294967295ELNS1_3gpuE0ELNS1_3repE0EEENS1_30default_config_static_selectorELNS0_4arch9wavefront6targetE1EEEvT1_.has_indirect_call, 0
	.section	.AMDGPU.csdata,"",@progbits
; Kernel info:
; codeLenInByte = 6016
; TotalNumSgprs: 34
; NumVgprs: 70
; NumAgprs: 0
; TotalNumVgprs: 70
; ScratchSize: 0
; MemoryBound: 0
; FloatMode: 240
; IeeeMode: 1
; LDSByteSize: 7184 bytes/workgroup (compile time only)
; SGPRBlocks: 4
; VGPRBlocks: 8
; NumSGPRsForWavesPerEU: 34
; NumVGPRsForWavesPerEU: 70
; AccumOffset: 72
; Occupancy: 7
; WaveLimiterHint : 1
; COMPUTE_PGM_RSRC2:SCRATCH_EN: 0
; COMPUTE_PGM_RSRC2:USER_SGPR: 2
; COMPUTE_PGM_RSRC2:TRAP_HANDLER: 0
; COMPUTE_PGM_RSRC2:TGID_X_EN: 1
; COMPUTE_PGM_RSRC2:TGID_Y_EN: 0
; COMPUTE_PGM_RSRC2:TGID_Z_EN: 0
; COMPUTE_PGM_RSRC2:TIDIG_COMP_CNT: 0
; COMPUTE_PGM_RSRC3_GFX90A:ACCUM_OFFSET: 17
; COMPUTE_PGM_RSRC3_GFX90A:TG_SPLIT: 0
	.section	.text._ZN7rocprim17ROCPRIM_400000_NS6detail17trampoline_kernelINS0_14default_configENS1_25partition_config_selectorILNS1_17partition_subalgoE5ElNS0_10empty_typeEbEEZZNS1_14partition_implILS5_5ELb0ES3_mN6hipcub16HIPCUB_304000_NS21CountingInputIteratorIllEEPS6_NSA_22TransformInputIteratorIb7NonZeroIaEPalEENS0_5tupleIJPlS6_EEENSJ_IJSD_SD_EEES6_SK_JS6_EEE10hipError_tPvRmT3_T4_T5_T6_T7_T9_mT8_P12ihipStream_tbDpT10_ENKUlT_T0_E_clISt17integral_constantIbLb0EES16_EEDaS11_S12_EUlS11_E_NS1_11comp_targetILNS1_3genE5ELNS1_11target_archE942ELNS1_3gpuE9ELNS1_3repE0EEENS1_30default_config_static_selectorELNS0_4arch9wavefront6targetE1EEEvT1_,"axG",@progbits,_ZN7rocprim17ROCPRIM_400000_NS6detail17trampoline_kernelINS0_14default_configENS1_25partition_config_selectorILNS1_17partition_subalgoE5ElNS0_10empty_typeEbEEZZNS1_14partition_implILS5_5ELb0ES3_mN6hipcub16HIPCUB_304000_NS21CountingInputIteratorIllEEPS6_NSA_22TransformInputIteratorIb7NonZeroIaEPalEENS0_5tupleIJPlS6_EEENSJ_IJSD_SD_EEES6_SK_JS6_EEE10hipError_tPvRmT3_T4_T5_T6_T7_T9_mT8_P12ihipStream_tbDpT10_ENKUlT_T0_E_clISt17integral_constantIbLb0EES16_EEDaS11_S12_EUlS11_E_NS1_11comp_targetILNS1_3genE5ELNS1_11target_archE942ELNS1_3gpuE9ELNS1_3repE0EEENS1_30default_config_static_selectorELNS0_4arch9wavefront6targetE1EEEvT1_,comdat
	.protected	_ZN7rocprim17ROCPRIM_400000_NS6detail17trampoline_kernelINS0_14default_configENS1_25partition_config_selectorILNS1_17partition_subalgoE5ElNS0_10empty_typeEbEEZZNS1_14partition_implILS5_5ELb0ES3_mN6hipcub16HIPCUB_304000_NS21CountingInputIteratorIllEEPS6_NSA_22TransformInputIteratorIb7NonZeroIaEPalEENS0_5tupleIJPlS6_EEENSJ_IJSD_SD_EEES6_SK_JS6_EEE10hipError_tPvRmT3_T4_T5_T6_T7_T9_mT8_P12ihipStream_tbDpT10_ENKUlT_T0_E_clISt17integral_constantIbLb0EES16_EEDaS11_S12_EUlS11_E_NS1_11comp_targetILNS1_3genE5ELNS1_11target_archE942ELNS1_3gpuE9ELNS1_3repE0EEENS1_30default_config_static_selectorELNS0_4arch9wavefront6targetE1EEEvT1_ ; -- Begin function _ZN7rocprim17ROCPRIM_400000_NS6detail17trampoline_kernelINS0_14default_configENS1_25partition_config_selectorILNS1_17partition_subalgoE5ElNS0_10empty_typeEbEEZZNS1_14partition_implILS5_5ELb0ES3_mN6hipcub16HIPCUB_304000_NS21CountingInputIteratorIllEEPS6_NSA_22TransformInputIteratorIb7NonZeroIaEPalEENS0_5tupleIJPlS6_EEENSJ_IJSD_SD_EEES6_SK_JS6_EEE10hipError_tPvRmT3_T4_T5_T6_T7_T9_mT8_P12ihipStream_tbDpT10_ENKUlT_T0_E_clISt17integral_constantIbLb0EES16_EEDaS11_S12_EUlS11_E_NS1_11comp_targetILNS1_3genE5ELNS1_11target_archE942ELNS1_3gpuE9ELNS1_3repE0EEENS1_30default_config_static_selectorELNS0_4arch9wavefront6targetE1EEEvT1_
	.globl	_ZN7rocprim17ROCPRIM_400000_NS6detail17trampoline_kernelINS0_14default_configENS1_25partition_config_selectorILNS1_17partition_subalgoE5ElNS0_10empty_typeEbEEZZNS1_14partition_implILS5_5ELb0ES3_mN6hipcub16HIPCUB_304000_NS21CountingInputIteratorIllEEPS6_NSA_22TransformInputIteratorIb7NonZeroIaEPalEENS0_5tupleIJPlS6_EEENSJ_IJSD_SD_EEES6_SK_JS6_EEE10hipError_tPvRmT3_T4_T5_T6_T7_T9_mT8_P12ihipStream_tbDpT10_ENKUlT_T0_E_clISt17integral_constantIbLb0EES16_EEDaS11_S12_EUlS11_E_NS1_11comp_targetILNS1_3genE5ELNS1_11target_archE942ELNS1_3gpuE9ELNS1_3repE0EEENS1_30default_config_static_selectorELNS0_4arch9wavefront6targetE1EEEvT1_
	.p2align	8
	.type	_ZN7rocprim17ROCPRIM_400000_NS6detail17trampoline_kernelINS0_14default_configENS1_25partition_config_selectorILNS1_17partition_subalgoE5ElNS0_10empty_typeEbEEZZNS1_14partition_implILS5_5ELb0ES3_mN6hipcub16HIPCUB_304000_NS21CountingInputIteratorIllEEPS6_NSA_22TransformInputIteratorIb7NonZeroIaEPalEENS0_5tupleIJPlS6_EEENSJ_IJSD_SD_EEES6_SK_JS6_EEE10hipError_tPvRmT3_T4_T5_T6_T7_T9_mT8_P12ihipStream_tbDpT10_ENKUlT_T0_E_clISt17integral_constantIbLb0EES16_EEDaS11_S12_EUlS11_E_NS1_11comp_targetILNS1_3genE5ELNS1_11target_archE942ELNS1_3gpuE9ELNS1_3repE0EEENS1_30default_config_static_selectorELNS0_4arch9wavefront6targetE1EEEvT1_,@function
_ZN7rocprim17ROCPRIM_400000_NS6detail17trampoline_kernelINS0_14default_configENS1_25partition_config_selectorILNS1_17partition_subalgoE5ElNS0_10empty_typeEbEEZZNS1_14partition_implILS5_5ELb0ES3_mN6hipcub16HIPCUB_304000_NS21CountingInputIteratorIllEEPS6_NSA_22TransformInputIteratorIb7NonZeroIaEPalEENS0_5tupleIJPlS6_EEENSJ_IJSD_SD_EEES6_SK_JS6_EEE10hipError_tPvRmT3_T4_T5_T6_T7_T9_mT8_P12ihipStream_tbDpT10_ENKUlT_T0_E_clISt17integral_constantIbLb0EES16_EEDaS11_S12_EUlS11_E_NS1_11comp_targetILNS1_3genE5ELNS1_11target_archE942ELNS1_3gpuE9ELNS1_3repE0EEENS1_30default_config_static_selectorELNS0_4arch9wavefront6targetE1EEEvT1_: ; @_ZN7rocprim17ROCPRIM_400000_NS6detail17trampoline_kernelINS0_14default_configENS1_25partition_config_selectorILNS1_17partition_subalgoE5ElNS0_10empty_typeEbEEZZNS1_14partition_implILS5_5ELb0ES3_mN6hipcub16HIPCUB_304000_NS21CountingInputIteratorIllEEPS6_NSA_22TransformInputIteratorIb7NonZeroIaEPalEENS0_5tupleIJPlS6_EEENSJ_IJSD_SD_EEES6_SK_JS6_EEE10hipError_tPvRmT3_T4_T5_T6_T7_T9_mT8_P12ihipStream_tbDpT10_ENKUlT_T0_E_clISt17integral_constantIbLb0EES16_EEDaS11_S12_EUlS11_E_NS1_11comp_targetILNS1_3genE5ELNS1_11target_archE942ELNS1_3gpuE9ELNS1_3repE0EEENS1_30default_config_static_selectorELNS0_4arch9wavefront6targetE1EEEvT1_
; %bb.0:
	.section	.rodata,"a",@progbits
	.p2align	6, 0x0
	.amdhsa_kernel _ZN7rocprim17ROCPRIM_400000_NS6detail17trampoline_kernelINS0_14default_configENS1_25partition_config_selectorILNS1_17partition_subalgoE5ElNS0_10empty_typeEbEEZZNS1_14partition_implILS5_5ELb0ES3_mN6hipcub16HIPCUB_304000_NS21CountingInputIteratorIllEEPS6_NSA_22TransformInputIteratorIb7NonZeroIaEPalEENS0_5tupleIJPlS6_EEENSJ_IJSD_SD_EEES6_SK_JS6_EEE10hipError_tPvRmT3_T4_T5_T6_T7_T9_mT8_P12ihipStream_tbDpT10_ENKUlT_T0_E_clISt17integral_constantIbLb0EES16_EEDaS11_S12_EUlS11_E_NS1_11comp_targetILNS1_3genE5ELNS1_11target_archE942ELNS1_3gpuE9ELNS1_3repE0EEENS1_30default_config_static_selectorELNS0_4arch9wavefront6targetE1EEEvT1_
		.amdhsa_group_segment_fixed_size 0
		.amdhsa_private_segment_fixed_size 0
		.amdhsa_kernarg_size 120
		.amdhsa_user_sgpr_count 2
		.amdhsa_user_sgpr_dispatch_ptr 0
		.amdhsa_user_sgpr_queue_ptr 0
		.amdhsa_user_sgpr_kernarg_segment_ptr 1
		.amdhsa_user_sgpr_dispatch_id 0
		.amdhsa_user_sgpr_kernarg_preload_length 0
		.amdhsa_user_sgpr_kernarg_preload_offset 0
		.amdhsa_user_sgpr_private_segment_size 0
		.amdhsa_uses_dynamic_stack 0
		.amdhsa_enable_private_segment 0
		.amdhsa_system_sgpr_workgroup_id_x 1
		.amdhsa_system_sgpr_workgroup_id_y 0
		.amdhsa_system_sgpr_workgroup_id_z 0
		.amdhsa_system_sgpr_workgroup_info 0
		.amdhsa_system_vgpr_workitem_id 0
		.amdhsa_next_free_vgpr 1
		.amdhsa_next_free_sgpr 0
		.amdhsa_accum_offset 4
		.amdhsa_reserve_vcc 0
		.amdhsa_float_round_mode_32 0
		.amdhsa_float_round_mode_16_64 0
		.amdhsa_float_denorm_mode_32 3
		.amdhsa_float_denorm_mode_16_64 3
		.amdhsa_dx10_clamp 1
		.amdhsa_ieee_mode 1
		.amdhsa_fp16_overflow 0
		.amdhsa_tg_split 0
		.amdhsa_exception_fp_ieee_invalid_op 0
		.amdhsa_exception_fp_denorm_src 0
		.amdhsa_exception_fp_ieee_div_zero 0
		.amdhsa_exception_fp_ieee_overflow 0
		.amdhsa_exception_fp_ieee_underflow 0
		.amdhsa_exception_fp_ieee_inexact 0
		.amdhsa_exception_int_div_zero 0
	.end_amdhsa_kernel
	.section	.text._ZN7rocprim17ROCPRIM_400000_NS6detail17trampoline_kernelINS0_14default_configENS1_25partition_config_selectorILNS1_17partition_subalgoE5ElNS0_10empty_typeEbEEZZNS1_14partition_implILS5_5ELb0ES3_mN6hipcub16HIPCUB_304000_NS21CountingInputIteratorIllEEPS6_NSA_22TransformInputIteratorIb7NonZeroIaEPalEENS0_5tupleIJPlS6_EEENSJ_IJSD_SD_EEES6_SK_JS6_EEE10hipError_tPvRmT3_T4_T5_T6_T7_T9_mT8_P12ihipStream_tbDpT10_ENKUlT_T0_E_clISt17integral_constantIbLb0EES16_EEDaS11_S12_EUlS11_E_NS1_11comp_targetILNS1_3genE5ELNS1_11target_archE942ELNS1_3gpuE9ELNS1_3repE0EEENS1_30default_config_static_selectorELNS0_4arch9wavefront6targetE1EEEvT1_,"axG",@progbits,_ZN7rocprim17ROCPRIM_400000_NS6detail17trampoline_kernelINS0_14default_configENS1_25partition_config_selectorILNS1_17partition_subalgoE5ElNS0_10empty_typeEbEEZZNS1_14partition_implILS5_5ELb0ES3_mN6hipcub16HIPCUB_304000_NS21CountingInputIteratorIllEEPS6_NSA_22TransformInputIteratorIb7NonZeroIaEPalEENS0_5tupleIJPlS6_EEENSJ_IJSD_SD_EEES6_SK_JS6_EEE10hipError_tPvRmT3_T4_T5_T6_T7_T9_mT8_P12ihipStream_tbDpT10_ENKUlT_T0_E_clISt17integral_constantIbLb0EES16_EEDaS11_S12_EUlS11_E_NS1_11comp_targetILNS1_3genE5ELNS1_11target_archE942ELNS1_3gpuE9ELNS1_3repE0EEENS1_30default_config_static_selectorELNS0_4arch9wavefront6targetE1EEEvT1_,comdat
.Lfunc_end38:
	.size	_ZN7rocprim17ROCPRIM_400000_NS6detail17trampoline_kernelINS0_14default_configENS1_25partition_config_selectorILNS1_17partition_subalgoE5ElNS0_10empty_typeEbEEZZNS1_14partition_implILS5_5ELb0ES3_mN6hipcub16HIPCUB_304000_NS21CountingInputIteratorIllEEPS6_NSA_22TransformInputIteratorIb7NonZeroIaEPalEENS0_5tupleIJPlS6_EEENSJ_IJSD_SD_EEES6_SK_JS6_EEE10hipError_tPvRmT3_T4_T5_T6_T7_T9_mT8_P12ihipStream_tbDpT10_ENKUlT_T0_E_clISt17integral_constantIbLb0EES16_EEDaS11_S12_EUlS11_E_NS1_11comp_targetILNS1_3genE5ELNS1_11target_archE942ELNS1_3gpuE9ELNS1_3repE0EEENS1_30default_config_static_selectorELNS0_4arch9wavefront6targetE1EEEvT1_, .Lfunc_end38-_ZN7rocprim17ROCPRIM_400000_NS6detail17trampoline_kernelINS0_14default_configENS1_25partition_config_selectorILNS1_17partition_subalgoE5ElNS0_10empty_typeEbEEZZNS1_14partition_implILS5_5ELb0ES3_mN6hipcub16HIPCUB_304000_NS21CountingInputIteratorIllEEPS6_NSA_22TransformInputIteratorIb7NonZeroIaEPalEENS0_5tupleIJPlS6_EEENSJ_IJSD_SD_EEES6_SK_JS6_EEE10hipError_tPvRmT3_T4_T5_T6_T7_T9_mT8_P12ihipStream_tbDpT10_ENKUlT_T0_E_clISt17integral_constantIbLb0EES16_EEDaS11_S12_EUlS11_E_NS1_11comp_targetILNS1_3genE5ELNS1_11target_archE942ELNS1_3gpuE9ELNS1_3repE0EEENS1_30default_config_static_selectorELNS0_4arch9wavefront6targetE1EEEvT1_
                                        ; -- End function
	.set _ZN7rocprim17ROCPRIM_400000_NS6detail17trampoline_kernelINS0_14default_configENS1_25partition_config_selectorILNS1_17partition_subalgoE5ElNS0_10empty_typeEbEEZZNS1_14partition_implILS5_5ELb0ES3_mN6hipcub16HIPCUB_304000_NS21CountingInputIteratorIllEEPS6_NSA_22TransformInputIteratorIb7NonZeroIaEPalEENS0_5tupleIJPlS6_EEENSJ_IJSD_SD_EEES6_SK_JS6_EEE10hipError_tPvRmT3_T4_T5_T6_T7_T9_mT8_P12ihipStream_tbDpT10_ENKUlT_T0_E_clISt17integral_constantIbLb0EES16_EEDaS11_S12_EUlS11_E_NS1_11comp_targetILNS1_3genE5ELNS1_11target_archE942ELNS1_3gpuE9ELNS1_3repE0EEENS1_30default_config_static_selectorELNS0_4arch9wavefront6targetE1EEEvT1_.num_vgpr, 0
	.set _ZN7rocprim17ROCPRIM_400000_NS6detail17trampoline_kernelINS0_14default_configENS1_25partition_config_selectorILNS1_17partition_subalgoE5ElNS0_10empty_typeEbEEZZNS1_14partition_implILS5_5ELb0ES3_mN6hipcub16HIPCUB_304000_NS21CountingInputIteratorIllEEPS6_NSA_22TransformInputIteratorIb7NonZeroIaEPalEENS0_5tupleIJPlS6_EEENSJ_IJSD_SD_EEES6_SK_JS6_EEE10hipError_tPvRmT3_T4_T5_T6_T7_T9_mT8_P12ihipStream_tbDpT10_ENKUlT_T0_E_clISt17integral_constantIbLb0EES16_EEDaS11_S12_EUlS11_E_NS1_11comp_targetILNS1_3genE5ELNS1_11target_archE942ELNS1_3gpuE9ELNS1_3repE0EEENS1_30default_config_static_selectorELNS0_4arch9wavefront6targetE1EEEvT1_.num_agpr, 0
	.set _ZN7rocprim17ROCPRIM_400000_NS6detail17trampoline_kernelINS0_14default_configENS1_25partition_config_selectorILNS1_17partition_subalgoE5ElNS0_10empty_typeEbEEZZNS1_14partition_implILS5_5ELb0ES3_mN6hipcub16HIPCUB_304000_NS21CountingInputIteratorIllEEPS6_NSA_22TransformInputIteratorIb7NonZeroIaEPalEENS0_5tupleIJPlS6_EEENSJ_IJSD_SD_EEES6_SK_JS6_EEE10hipError_tPvRmT3_T4_T5_T6_T7_T9_mT8_P12ihipStream_tbDpT10_ENKUlT_T0_E_clISt17integral_constantIbLb0EES16_EEDaS11_S12_EUlS11_E_NS1_11comp_targetILNS1_3genE5ELNS1_11target_archE942ELNS1_3gpuE9ELNS1_3repE0EEENS1_30default_config_static_selectorELNS0_4arch9wavefront6targetE1EEEvT1_.numbered_sgpr, 0
	.set _ZN7rocprim17ROCPRIM_400000_NS6detail17trampoline_kernelINS0_14default_configENS1_25partition_config_selectorILNS1_17partition_subalgoE5ElNS0_10empty_typeEbEEZZNS1_14partition_implILS5_5ELb0ES3_mN6hipcub16HIPCUB_304000_NS21CountingInputIteratorIllEEPS6_NSA_22TransformInputIteratorIb7NonZeroIaEPalEENS0_5tupleIJPlS6_EEENSJ_IJSD_SD_EEES6_SK_JS6_EEE10hipError_tPvRmT3_T4_T5_T6_T7_T9_mT8_P12ihipStream_tbDpT10_ENKUlT_T0_E_clISt17integral_constantIbLb0EES16_EEDaS11_S12_EUlS11_E_NS1_11comp_targetILNS1_3genE5ELNS1_11target_archE942ELNS1_3gpuE9ELNS1_3repE0EEENS1_30default_config_static_selectorELNS0_4arch9wavefront6targetE1EEEvT1_.num_named_barrier, 0
	.set _ZN7rocprim17ROCPRIM_400000_NS6detail17trampoline_kernelINS0_14default_configENS1_25partition_config_selectorILNS1_17partition_subalgoE5ElNS0_10empty_typeEbEEZZNS1_14partition_implILS5_5ELb0ES3_mN6hipcub16HIPCUB_304000_NS21CountingInputIteratorIllEEPS6_NSA_22TransformInputIteratorIb7NonZeroIaEPalEENS0_5tupleIJPlS6_EEENSJ_IJSD_SD_EEES6_SK_JS6_EEE10hipError_tPvRmT3_T4_T5_T6_T7_T9_mT8_P12ihipStream_tbDpT10_ENKUlT_T0_E_clISt17integral_constantIbLb0EES16_EEDaS11_S12_EUlS11_E_NS1_11comp_targetILNS1_3genE5ELNS1_11target_archE942ELNS1_3gpuE9ELNS1_3repE0EEENS1_30default_config_static_selectorELNS0_4arch9wavefront6targetE1EEEvT1_.private_seg_size, 0
	.set _ZN7rocprim17ROCPRIM_400000_NS6detail17trampoline_kernelINS0_14default_configENS1_25partition_config_selectorILNS1_17partition_subalgoE5ElNS0_10empty_typeEbEEZZNS1_14partition_implILS5_5ELb0ES3_mN6hipcub16HIPCUB_304000_NS21CountingInputIteratorIllEEPS6_NSA_22TransformInputIteratorIb7NonZeroIaEPalEENS0_5tupleIJPlS6_EEENSJ_IJSD_SD_EEES6_SK_JS6_EEE10hipError_tPvRmT3_T4_T5_T6_T7_T9_mT8_P12ihipStream_tbDpT10_ENKUlT_T0_E_clISt17integral_constantIbLb0EES16_EEDaS11_S12_EUlS11_E_NS1_11comp_targetILNS1_3genE5ELNS1_11target_archE942ELNS1_3gpuE9ELNS1_3repE0EEENS1_30default_config_static_selectorELNS0_4arch9wavefront6targetE1EEEvT1_.uses_vcc, 0
	.set _ZN7rocprim17ROCPRIM_400000_NS6detail17trampoline_kernelINS0_14default_configENS1_25partition_config_selectorILNS1_17partition_subalgoE5ElNS0_10empty_typeEbEEZZNS1_14partition_implILS5_5ELb0ES3_mN6hipcub16HIPCUB_304000_NS21CountingInputIteratorIllEEPS6_NSA_22TransformInputIteratorIb7NonZeroIaEPalEENS0_5tupleIJPlS6_EEENSJ_IJSD_SD_EEES6_SK_JS6_EEE10hipError_tPvRmT3_T4_T5_T6_T7_T9_mT8_P12ihipStream_tbDpT10_ENKUlT_T0_E_clISt17integral_constantIbLb0EES16_EEDaS11_S12_EUlS11_E_NS1_11comp_targetILNS1_3genE5ELNS1_11target_archE942ELNS1_3gpuE9ELNS1_3repE0EEENS1_30default_config_static_selectorELNS0_4arch9wavefront6targetE1EEEvT1_.uses_flat_scratch, 0
	.set _ZN7rocprim17ROCPRIM_400000_NS6detail17trampoline_kernelINS0_14default_configENS1_25partition_config_selectorILNS1_17partition_subalgoE5ElNS0_10empty_typeEbEEZZNS1_14partition_implILS5_5ELb0ES3_mN6hipcub16HIPCUB_304000_NS21CountingInputIteratorIllEEPS6_NSA_22TransformInputIteratorIb7NonZeroIaEPalEENS0_5tupleIJPlS6_EEENSJ_IJSD_SD_EEES6_SK_JS6_EEE10hipError_tPvRmT3_T4_T5_T6_T7_T9_mT8_P12ihipStream_tbDpT10_ENKUlT_T0_E_clISt17integral_constantIbLb0EES16_EEDaS11_S12_EUlS11_E_NS1_11comp_targetILNS1_3genE5ELNS1_11target_archE942ELNS1_3gpuE9ELNS1_3repE0EEENS1_30default_config_static_selectorELNS0_4arch9wavefront6targetE1EEEvT1_.has_dyn_sized_stack, 0
	.set _ZN7rocprim17ROCPRIM_400000_NS6detail17trampoline_kernelINS0_14default_configENS1_25partition_config_selectorILNS1_17partition_subalgoE5ElNS0_10empty_typeEbEEZZNS1_14partition_implILS5_5ELb0ES3_mN6hipcub16HIPCUB_304000_NS21CountingInputIteratorIllEEPS6_NSA_22TransformInputIteratorIb7NonZeroIaEPalEENS0_5tupleIJPlS6_EEENSJ_IJSD_SD_EEES6_SK_JS6_EEE10hipError_tPvRmT3_T4_T5_T6_T7_T9_mT8_P12ihipStream_tbDpT10_ENKUlT_T0_E_clISt17integral_constantIbLb0EES16_EEDaS11_S12_EUlS11_E_NS1_11comp_targetILNS1_3genE5ELNS1_11target_archE942ELNS1_3gpuE9ELNS1_3repE0EEENS1_30default_config_static_selectorELNS0_4arch9wavefront6targetE1EEEvT1_.has_recursion, 0
	.set _ZN7rocprim17ROCPRIM_400000_NS6detail17trampoline_kernelINS0_14default_configENS1_25partition_config_selectorILNS1_17partition_subalgoE5ElNS0_10empty_typeEbEEZZNS1_14partition_implILS5_5ELb0ES3_mN6hipcub16HIPCUB_304000_NS21CountingInputIteratorIllEEPS6_NSA_22TransformInputIteratorIb7NonZeroIaEPalEENS0_5tupleIJPlS6_EEENSJ_IJSD_SD_EEES6_SK_JS6_EEE10hipError_tPvRmT3_T4_T5_T6_T7_T9_mT8_P12ihipStream_tbDpT10_ENKUlT_T0_E_clISt17integral_constantIbLb0EES16_EEDaS11_S12_EUlS11_E_NS1_11comp_targetILNS1_3genE5ELNS1_11target_archE942ELNS1_3gpuE9ELNS1_3repE0EEENS1_30default_config_static_selectorELNS0_4arch9wavefront6targetE1EEEvT1_.has_indirect_call, 0
	.section	.AMDGPU.csdata,"",@progbits
; Kernel info:
; codeLenInByte = 0
; TotalNumSgprs: 6
; NumVgprs: 0
; NumAgprs: 0
; TotalNumVgprs: 0
; ScratchSize: 0
; MemoryBound: 0
; FloatMode: 240
; IeeeMode: 1
; LDSByteSize: 0 bytes/workgroup (compile time only)
; SGPRBlocks: 0
; VGPRBlocks: 0
; NumSGPRsForWavesPerEU: 6
; NumVGPRsForWavesPerEU: 1
; AccumOffset: 4
; Occupancy: 8
; WaveLimiterHint : 0
; COMPUTE_PGM_RSRC2:SCRATCH_EN: 0
; COMPUTE_PGM_RSRC2:USER_SGPR: 2
; COMPUTE_PGM_RSRC2:TRAP_HANDLER: 0
; COMPUTE_PGM_RSRC2:TGID_X_EN: 1
; COMPUTE_PGM_RSRC2:TGID_Y_EN: 0
; COMPUTE_PGM_RSRC2:TGID_Z_EN: 0
; COMPUTE_PGM_RSRC2:TIDIG_COMP_CNT: 0
; COMPUTE_PGM_RSRC3_GFX90A:ACCUM_OFFSET: 0
; COMPUTE_PGM_RSRC3_GFX90A:TG_SPLIT: 0
	.section	.text._ZN7rocprim17ROCPRIM_400000_NS6detail17trampoline_kernelINS0_14default_configENS1_25partition_config_selectorILNS1_17partition_subalgoE5ElNS0_10empty_typeEbEEZZNS1_14partition_implILS5_5ELb0ES3_mN6hipcub16HIPCUB_304000_NS21CountingInputIteratorIllEEPS6_NSA_22TransformInputIteratorIb7NonZeroIaEPalEENS0_5tupleIJPlS6_EEENSJ_IJSD_SD_EEES6_SK_JS6_EEE10hipError_tPvRmT3_T4_T5_T6_T7_T9_mT8_P12ihipStream_tbDpT10_ENKUlT_T0_E_clISt17integral_constantIbLb0EES16_EEDaS11_S12_EUlS11_E_NS1_11comp_targetILNS1_3genE4ELNS1_11target_archE910ELNS1_3gpuE8ELNS1_3repE0EEENS1_30default_config_static_selectorELNS0_4arch9wavefront6targetE1EEEvT1_,"axG",@progbits,_ZN7rocprim17ROCPRIM_400000_NS6detail17trampoline_kernelINS0_14default_configENS1_25partition_config_selectorILNS1_17partition_subalgoE5ElNS0_10empty_typeEbEEZZNS1_14partition_implILS5_5ELb0ES3_mN6hipcub16HIPCUB_304000_NS21CountingInputIteratorIllEEPS6_NSA_22TransformInputIteratorIb7NonZeroIaEPalEENS0_5tupleIJPlS6_EEENSJ_IJSD_SD_EEES6_SK_JS6_EEE10hipError_tPvRmT3_T4_T5_T6_T7_T9_mT8_P12ihipStream_tbDpT10_ENKUlT_T0_E_clISt17integral_constantIbLb0EES16_EEDaS11_S12_EUlS11_E_NS1_11comp_targetILNS1_3genE4ELNS1_11target_archE910ELNS1_3gpuE8ELNS1_3repE0EEENS1_30default_config_static_selectorELNS0_4arch9wavefront6targetE1EEEvT1_,comdat
	.protected	_ZN7rocprim17ROCPRIM_400000_NS6detail17trampoline_kernelINS0_14default_configENS1_25partition_config_selectorILNS1_17partition_subalgoE5ElNS0_10empty_typeEbEEZZNS1_14partition_implILS5_5ELb0ES3_mN6hipcub16HIPCUB_304000_NS21CountingInputIteratorIllEEPS6_NSA_22TransformInputIteratorIb7NonZeroIaEPalEENS0_5tupleIJPlS6_EEENSJ_IJSD_SD_EEES6_SK_JS6_EEE10hipError_tPvRmT3_T4_T5_T6_T7_T9_mT8_P12ihipStream_tbDpT10_ENKUlT_T0_E_clISt17integral_constantIbLb0EES16_EEDaS11_S12_EUlS11_E_NS1_11comp_targetILNS1_3genE4ELNS1_11target_archE910ELNS1_3gpuE8ELNS1_3repE0EEENS1_30default_config_static_selectorELNS0_4arch9wavefront6targetE1EEEvT1_ ; -- Begin function _ZN7rocprim17ROCPRIM_400000_NS6detail17trampoline_kernelINS0_14default_configENS1_25partition_config_selectorILNS1_17partition_subalgoE5ElNS0_10empty_typeEbEEZZNS1_14partition_implILS5_5ELb0ES3_mN6hipcub16HIPCUB_304000_NS21CountingInputIteratorIllEEPS6_NSA_22TransformInputIteratorIb7NonZeroIaEPalEENS0_5tupleIJPlS6_EEENSJ_IJSD_SD_EEES6_SK_JS6_EEE10hipError_tPvRmT3_T4_T5_T6_T7_T9_mT8_P12ihipStream_tbDpT10_ENKUlT_T0_E_clISt17integral_constantIbLb0EES16_EEDaS11_S12_EUlS11_E_NS1_11comp_targetILNS1_3genE4ELNS1_11target_archE910ELNS1_3gpuE8ELNS1_3repE0EEENS1_30default_config_static_selectorELNS0_4arch9wavefront6targetE1EEEvT1_
	.globl	_ZN7rocprim17ROCPRIM_400000_NS6detail17trampoline_kernelINS0_14default_configENS1_25partition_config_selectorILNS1_17partition_subalgoE5ElNS0_10empty_typeEbEEZZNS1_14partition_implILS5_5ELb0ES3_mN6hipcub16HIPCUB_304000_NS21CountingInputIteratorIllEEPS6_NSA_22TransformInputIteratorIb7NonZeroIaEPalEENS0_5tupleIJPlS6_EEENSJ_IJSD_SD_EEES6_SK_JS6_EEE10hipError_tPvRmT3_T4_T5_T6_T7_T9_mT8_P12ihipStream_tbDpT10_ENKUlT_T0_E_clISt17integral_constantIbLb0EES16_EEDaS11_S12_EUlS11_E_NS1_11comp_targetILNS1_3genE4ELNS1_11target_archE910ELNS1_3gpuE8ELNS1_3repE0EEENS1_30default_config_static_selectorELNS0_4arch9wavefront6targetE1EEEvT1_
	.p2align	8
	.type	_ZN7rocprim17ROCPRIM_400000_NS6detail17trampoline_kernelINS0_14default_configENS1_25partition_config_selectorILNS1_17partition_subalgoE5ElNS0_10empty_typeEbEEZZNS1_14partition_implILS5_5ELb0ES3_mN6hipcub16HIPCUB_304000_NS21CountingInputIteratorIllEEPS6_NSA_22TransformInputIteratorIb7NonZeroIaEPalEENS0_5tupleIJPlS6_EEENSJ_IJSD_SD_EEES6_SK_JS6_EEE10hipError_tPvRmT3_T4_T5_T6_T7_T9_mT8_P12ihipStream_tbDpT10_ENKUlT_T0_E_clISt17integral_constantIbLb0EES16_EEDaS11_S12_EUlS11_E_NS1_11comp_targetILNS1_3genE4ELNS1_11target_archE910ELNS1_3gpuE8ELNS1_3repE0EEENS1_30default_config_static_selectorELNS0_4arch9wavefront6targetE1EEEvT1_,@function
_ZN7rocprim17ROCPRIM_400000_NS6detail17trampoline_kernelINS0_14default_configENS1_25partition_config_selectorILNS1_17partition_subalgoE5ElNS0_10empty_typeEbEEZZNS1_14partition_implILS5_5ELb0ES3_mN6hipcub16HIPCUB_304000_NS21CountingInputIteratorIllEEPS6_NSA_22TransformInputIteratorIb7NonZeroIaEPalEENS0_5tupleIJPlS6_EEENSJ_IJSD_SD_EEES6_SK_JS6_EEE10hipError_tPvRmT3_T4_T5_T6_T7_T9_mT8_P12ihipStream_tbDpT10_ENKUlT_T0_E_clISt17integral_constantIbLb0EES16_EEDaS11_S12_EUlS11_E_NS1_11comp_targetILNS1_3genE4ELNS1_11target_archE910ELNS1_3gpuE8ELNS1_3repE0EEENS1_30default_config_static_selectorELNS0_4arch9wavefront6targetE1EEEvT1_: ; @_ZN7rocprim17ROCPRIM_400000_NS6detail17trampoline_kernelINS0_14default_configENS1_25partition_config_selectorILNS1_17partition_subalgoE5ElNS0_10empty_typeEbEEZZNS1_14partition_implILS5_5ELb0ES3_mN6hipcub16HIPCUB_304000_NS21CountingInputIteratorIllEEPS6_NSA_22TransformInputIteratorIb7NonZeroIaEPalEENS0_5tupleIJPlS6_EEENSJ_IJSD_SD_EEES6_SK_JS6_EEE10hipError_tPvRmT3_T4_T5_T6_T7_T9_mT8_P12ihipStream_tbDpT10_ENKUlT_T0_E_clISt17integral_constantIbLb0EES16_EEDaS11_S12_EUlS11_E_NS1_11comp_targetILNS1_3genE4ELNS1_11target_archE910ELNS1_3gpuE8ELNS1_3repE0EEENS1_30default_config_static_selectorELNS0_4arch9wavefront6targetE1EEEvT1_
; %bb.0:
	.section	.rodata,"a",@progbits
	.p2align	6, 0x0
	.amdhsa_kernel _ZN7rocprim17ROCPRIM_400000_NS6detail17trampoline_kernelINS0_14default_configENS1_25partition_config_selectorILNS1_17partition_subalgoE5ElNS0_10empty_typeEbEEZZNS1_14partition_implILS5_5ELb0ES3_mN6hipcub16HIPCUB_304000_NS21CountingInputIteratorIllEEPS6_NSA_22TransformInputIteratorIb7NonZeroIaEPalEENS0_5tupleIJPlS6_EEENSJ_IJSD_SD_EEES6_SK_JS6_EEE10hipError_tPvRmT3_T4_T5_T6_T7_T9_mT8_P12ihipStream_tbDpT10_ENKUlT_T0_E_clISt17integral_constantIbLb0EES16_EEDaS11_S12_EUlS11_E_NS1_11comp_targetILNS1_3genE4ELNS1_11target_archE910ELNS1_3gpuE8ELNS1_3repE0EEENS1_30default_config_static_selectorELNS0_4arch9wavefront6targetE1EEEvT1_
		.amdhsa_group_segment_fixed_size 0
		.amdhsa_private_segment_fixed_size 0
		.amdhsa_kernarg_size 120
		.amdhsa_user_sgpr_count 2
		.amdhsa_user_sgpr_dispatch_ptr 0
		.amdhsa_user_sgpr_queue_ptr 0
		.amdhsa_user_sgpr_kernarg_segment_ptr 1
		.amdhsa_user_sgpr_dispatch_id 0
		.amdhsa_user_sgpr_kernarg_preload_length 0
		.amdhsa_user_sgpr_kernarg_preload_offset 0
		.amdhsa_user_sgpr_private_segment_size 0
		.amdhsa_uses_dynamic_stack 0
		.amdhsa_enable_private_segment 0
		.amdhsa_system_sgpr_workgroup_id_x 1
		.amdhsa_system_sgpr_workgroup_id_y 0
		.amdhsa_system_sgpr_workgroup_id_z 0
		.amdhsa_system_sgpr_workgroup_info 0
		.amdhsa_system_vgpr_workitem_id 0
		.amdhsa_next_free_vgpr 1
		.amdhsa_next_free_sgpr 0
		.amdhsa_accum_offset 4
		.amdhsa_reserve_vcc 0
		.amdhsa_float_round_mode_32 0
		.amdhsa_float_round_mode_16_64 0
		.amdhsa_float_denorm_mode_32 3
		.amdhsa_float_denorm_mode_16_64 3
		.amdhsa_dx10_clamp 1
		.amdhsa_ieee_mode 1
		.amdhsa_fp16_overflow 0
		.amdhsa_tg_split 0
		.amdhsa_exception_fp_ieee_invalid_op 0
		.amdhsa_exception_fp_denorm_src 0
		.amdhsa_exception_fp_ieee_div_zero 0
		.amdhsa_exception_fp_ieee_overflow 0
		.amdhsa_exception_fp_ieee_underflow 0
		.amdhsa_exception_fp_ieee_inexact 0
		.amdhsa_exception_int_div_zero 0
	.end_amdhsa_kernel
	.section	.text._ZN7rocprim17ROCPRIM_400000_NS6detail17trampoline_kernelINS0_14default_configENS1_25partition_config_selectorILNS1_17partition_subalgoE5ElNS0_10empty_typeEbEEZZNS1_14partition_implILS5_5ELb0ES3_mN6hipcub16HIPCUB_304000_NS21CountingInputIteratorIllEEPS6_NSA_22TransformInputIteratorIb7NonZeroIaEPalEENS0_5tupleIJPlS6_EEENSJ_IJSD_SD_EEES6_SK_JS6_EEE10hipError_tPvRmT3_T4_T5_T6_T7_T9_mT8_P12ihipStream_tbDpT10_ENKUlT_T0_E_clISt17integral_constantIbLb0EES16_EEDaS11_S12_EUlS11_E_NS1_11comp_targetILNS1_3genE4ELNS1_11target_archE910ELNS1_3gpuE8ELNS1_3repE0EEENS1_30default_config_static_selectorELNS0_4arch9wavefront6targetE1EEEvT1_,"axG",@progbits,_ZN7rocprim17ROCPRIM_400000_NS6detail17trampoline_kernelINS0_14default_configENS1_25partition_config_selectorILNS1_17partition_subalgoE5ElNS0_10empty_typeEbEEZZNS1_14partition_implILS5_5ELb0ES3_mN6hipcub16HIPCUB_304000_NS21CountingInputIteratorIllEEPS6_NSA_22TransformInputIteratorIb7NonZeroIaEPalEENS0_5tupleIJPlS6_EEENSJ_IJSD_SD_EEES6_SK_JS6_EEE10hipError_tPvRmT3_T4_T5_T6_T7_T9_mT8_P12ihipStream_tbDpT10_ENKUlT_T0_E_clISt17integral_constantIbLb0EES16_EEDaS11_S12_EUlS11_E_NS1_11comp_targetILNS1_3genE4ELNS1_11target_archE910ELNS1_3gpuE8ELNS1_3repE0EEENS1_30default_config_static_selectorELNS0_4arch9wavefront6targetE1EEEvT1_,comdat
.Lfunc_end39:
	.size	_ZN7rocprim17ROCPRIM_400000_NS6detail17trampoline_kernelINS0_14default_configENS1_25partition_config_selectorILNS1_17partition_subalgoE5ElNS0_10empty_typeEbEEZZNS1_14partition_implILS5_5ELb0ES3_mN6hipcub16HIPCUB_304000_NS21CountingInputIteratorIllEEPS6_NSA_22TransformInputIteratorIb7NonZeroIaEPalEENS0_5tupleIJPlS6_EEENSJ_IJSD_SD_EEES6_SK_JS6_EEE10hipError_tPvRmT3_T4_T5_T6_T7_T9_mT8_P12ihipStream_tbDpT10_ENKUlT_T0_E_clISt17integral_constantIbLb0EES16_EEDaS11_S12_EUlS11_E_NS1_11comp_targetILNS1_3genE4ELNS1_11target_archE910ELNS1_3gpuE8ELNS1_3repE0EEENS1_30default_config_static_selectorELNS0_4arch9wavefront6targetE1EEEvT1_, .Lfunc_end39-_ZN7rocprim17ROCPRIM_400000_NS6detail17trampoline_kernelINS0_14default_configENS1_25partition_config_selectorILNS1_17partition_subalgoE5ElNS0_10empty_typeEbEEZZNS1_14partition_implILS5_5ELb0ES3_mN6hipcub16HIPCUB_304000_NS21CountingInputIteratorIllEEPS6_NSA_22TransformInputIteratorIb7NonZeroIaEPalEENS0_5tupleIJPlS6_EEENSJ_IJSD_SD_EEES6_SK_JS6_EEE10hipError_tPvRmT3_T4_T5_T6_T7_T9_mT8_P12ihipStream_tbDpT10_ENKUlT_T0_E_clISt17integral_constantIbLb0EES16_EEDaS11_S12_EUlS11_E_NS1_11comp_targetILNS1_3genE4ELNS1_11target_archE910ELNS1_3gpuE8ELNS1_3repE0EEENS1_30default_config_static_selectorELNS0_4arch9wavefront6targetE1EEEvT1_
                                        ; -- End function
	.set _ZN7rocprim17ROCPRIM_400000_NS6detail17trampoline_kernelINS0_14default_configENS1_25partition_config_selectorILNS1_17partition_subalgoE5ElNS0_10empty_typeEbEEZZNS1_14partition_implILS5_5ELb0ES3_mN6hipcub16HIPCUB_304000_NS21CountingInputIteratorIllEEPS6_NSA_22TransformInputIteratorIb7NonZeroIaEPalEENS0_5tupleIJPlS6_EEENSJ_IJSD_SD_EEES6_SK_JS6_EEE10hipError_tPvRmT3_T4_T5_T6_T7_T9_mT8_P12ihipStream_tbDpT10_ENKUlT_T0_E_clISt17integral_constantIbLb0EES16_EEDaS11_S12_EUlS11_E_NS1_11comp_targetILNS1_3genE4ELNS1_11target_archE910ELNS1_3gpuE8ELNS1_3repE0EEENS1_30default_config_static_selectorELNS0_4arch9wavefront6targetE1EEEvT1_.num_vgpr, 0
	.set _ZN7rocprim17ROCPRIM_400000_NS6detail17trampoline_kernelINS0_14default_configENS1_25partition_config_selectorILNS1_17partition_subalgoE5ElNS0_10empty_typeEbEEZZNS1_14partition_implILS5_5ELb0ES3_mN6hipcub16HIPCUB_304000_NS21CountingInputIteratorIllEEPS6_NSA_22TransformInputIteratorIb7NonZeroIaEPalEENS0_5tupleIJPlS6_EEENSJ_IJSD_SD_EEES6_SK_JS6_EEE10hipError_tPvRmT3_T4_T5_T6_T7_T9_mT8_P12ihipStream_tbDpT10_ENKUlT_T0_E_clISt17integral_constantIbLb0EES16_EEDaS11_S12_EUlS11_E_NS1_11comp_targetILNS1_3genE4ELNS1_11target_archE910ELNS1_3gpuE8ELNS1_3repE0EEENS1_30default_config_static_selectorELNS0_4arch9wavefront6targetE1EEEvT1_.num_agpr, 0
	.set _ZN7rocprim17ROCPRIM_400000_NS6detail17trampoline_kernelINS0_14default_configENS1_25partition_config_selectorILNS1_17partition_subalgoE5ElNS0_10empty_typeEbEEZZNS1_14partition_implILS5_5ELb0ES3_mN6hipcub16HIPCUB_304000_NS21CountingInputIteratorIllEEPS6_NSA_22TransformInputIteratorIb7NonZeroIaEPalEENS0_5tupleIJPlS6_EEENSJ_IJSD_SD_EEES6_SK_JS6_EEE10hipError_tPvRmT3_T4_T5_T6_T7_T9_mT8_P12ihipStream_tbDpT10_ENKUlT_T0_E_clISt17integral_constantIbLb0EES16_EEDaS11_S12_EUlS11_E_NS1_11comp_targetILNS1_3genE4ELNS1_11target_archE910ELNS1_3gpuE8ELNS1_3repE0EEENS1_30default_config_static_selectorELNS0_4arch9wavefront6targetE1EEEvT1_.numbered_sgpr, 0
	.set _ZN7rocprim17ROCPRIM_400000_NS6detail17trampoline_kernelINS0_14default_configENS1_25partition_config_selectorILNS1_17partition_subalgoE5ElNS0_10empty_typeEbEEZZNS1_14partition_implILS5_5ELb0ES3_mN6hipcub16HIPCUB_304000_NS21CountingInputIteratorIllEEPS6_NSA_22TransformInputIteratorIb7NonZeroIaEPalEENS0_5tupleIJPlS6_EEENSJ_IJSD_SD_EEES6_SK_JS6_EEE10hipError_tPvRmT3_T4_T5_T6_T7_T9_mT8_P12ihipStream_tbDpT10_ENKUlT_T0_E_clISt17integral_constantIbLb0EES16_EEDaS11_S12_EUlS11_E_NS1_11comp_targetILNS1_3genE4ELNS1_11target_archE910ELNS1_3gpuE8ELNS1_3repE0EEENS1_30default_config_static_selectorELNS0_4arch9wavefront6targetE1EEEvT1_.num_named_barrier, 0
	.set _ZN7rocprim17ROCPRIM_400000_NS6detail17trampoline_kernelINS0_14default_configENS1_25partition_config_selectorILNS1_17partition_subalgoE5ElNS0_10empty_typeEbEEZZNS1_14partition_implILS5_5ELb0ES3_mN6hipcub16HIPCUB_304000_NS21CountingInputIteratorIllEEPS6_NSA_22TransformInputIteratorIb7NonZeroIaEPalEENS0_5tupleIJPlS6_EEENSJ_IJSD_SD_EEES6_SK_JS6_EEE10hipError_tPvRmT3_T4_T5_T6_T7_T9_mT8_P12ihipStream_tbDpT10_ENKUlT_T0_E_clISt17integral_constantIbLb0EES16_EEDaS11_S12_EUlS11_E_NS1_11comp_targetILNS1_3genE4ELNS1_11target_archE910ELNS1_3gpuE8ELNS1_3repE0EEENS1_30default_config_static_selectorELNS0_4arch9wavefront6targetE1EEEvT1_.private_seg_size, 0
	.set _ZN7rocprim17ROCPRIM_400000_NS6detail17trampoline_kernelINS0_14default_configENS1_25partition_config_selectorILNS1_17partition_subalgoE5ElNS0_10empty_typeEbEEZZNS1_14partition_implILS5_5ELb0ES3_mN6hipcub16HIPCUB_304000_NS21CountingInputIteratorIllEEPS6_NSA_22TransformInputIteratorIb7NonZeroIaEPalEENS0_5tupleIJPlS6_EEENSJ_IJSD_SD_EEES6_SK_JS6_EEE10hipError_tPvRmT3_T4_T5_T6_T7_T9_mT8_P12ihipStream_tbDpT10_ENKUlT_T0_E_clISt17integral_constantIbLb0EES16_EEDaS11_S12_EUlS11_E_NS1_11comp_targetILNS1_3genE4ELNS1_11target_archE910ELNS1_3gpuE8ELNS1_3repE0EEENS1_30default_config_static_selectorELNS0_4arch9wavefront6targetE1EEEvT1_.uses_vcc, 0
	.set _ZN7rocprim17ROCPRIM_400000_NS6detail17trampoline_kernelINS0_14default_configENS1_25partition_config_selectorILNS1_17partition_subalgoE5ElNS0_10empty_typeEbEEZZNS1_14partition_implILS5_5ELb0ES3_mN6hipcub16HIPCUB_304000_NS21CountingInputIteratorIllEEPS6_NSA_22TransformInputIteratorIb7NonZeroIaEPalEENS0_5tupleIJPlS6_EEENSJ_IJSD_SD_EEES6_SK_JS6_EEE10hipError_tPvRmT3_T4_T5_T6_T7_T9_mT8_P12ihipStream_tbDpT10_ENKUlT_T0_E_clISt17integral_constantIbLb0EES16_EEDaS11_S12_EUlS11_E_NS1_11comp_targetILNS1_3genE4ELNS1_11target_archE910ELNS1_3gpuE8ELNS1_3repE0EEENS1_30default_config_static_selectorELNS0_4arch9wavefront6targetE1EEEvT1_.uses_flat_scratch, 0
	.set _ZN7rocprim17ROCPRIM_400000_NS6detail17trampoline_kernelINS0_14default_configENS1_25partition_config_selectorILNS1_17partition_subalgoE5ElNS0_10empty_typeEbEEZZNS1_14partition_implILS5_5ELb0ES3_mN6hipcub16HIPCUB_304000_NS21CountingInputIteratorIllEEPS6_NSA_22TransformInputIteratorIb7NonZeroIaEPalEENS0_5tupleIJPlS6_EEENSJ_IJSD_SD_EEES6_SK_JS6_EEE10hipError_tPvRmT3_T4_T5_T6_T7_T9_mT8_P12ihipStream_tbDpT10_ENKUlT_T0_E_clISt17integral_constantIbLb0EES16_EEDaS11_S12_EUlS11_E_NS1_11comp_targetILNS1_3genE4ELNS1_11target_archE910ELNS1_3gpuE8ELNS1_3repE0EEENS1_30default_config_static_selectorELNS0_4arch9wavefront6targetE1EEEvT1_.has_dyn_sized_stack, 0
	.set _ZN7rocprim17ROCPRIM_400000_NS6detail17trampoline_kernelINS0_14default_configENS1_25partition_config_selectorILNS1_17partition_subalgoE5ElNS0_10empty_typeEbEEZZNS1_14partition_implILS5_5ELb0ES3_mN6hipcub16HIPCUB_304000_NS21CountingInputIteratorIllEEPS6_NSA_22TransformInputIteratorIb7NonZeroIaEPalEENS0_5tupleIJPlS6_EEENSJ_IJSD_SD_EEES6_SK_JS6_EEE10hipError_tPvRmT3_T4_T5_T6_T7_T9_mT8_P12ihipStream_tbDpT10_ENKUlT_T0_E_clISt17integral_constantIbLb0EES16_EEDaS11_S12_EUlS11_E_NS1_11comp_targetILNS1_3genE4ELNS1_11target_archE910ELNS1_3gpuE8ELNS1_3repE0EEENS1_30default_config_static_selectorELNS0_4arch9wavefront6targetE1EEEvT1_.has_recursion, 0
	.set _ZN7rocprim17ROCPRIM_400000_NS6detail17trampoline_kernelINS0_14default_configENS1_25partition_config_selectorILNS1_17partition_subalgoE5ElNS0_10empty_typeEbEEZZNS1_14partition_implILS5_5ELb0ES3_mN6hipcub16HIPCUB_304000_NS21CountingInputIteratorIllEEPS6_NSA_22TransformInputIteratorIb7NonZeroIaEPalEENS0_5tupleIJPlS6_EEENSJ_IJSD_SD_EEES6_SK_JS6_EEE10hipError_tPvRmT3_T4_T5_T6_T7_T9_mT8_P12ihipStream_tbDpT10_ENKUlT_T0_E_clISt17integral_constantIbLb0EES16_EEDaS11_S12_EUlS11_E_NS1_11comp_targetILNS1_3genE4ELNS1_11target_archE910ELNS1_3gpuE8ELNS1_3repE0EEENS1_30default_config_static_selectorELNS0_4arch9wavefront6targetE1EEEvT1_.has_indirect_call, 0
	.section	.AMDGPU.csdata,"",@progbits
; Kernel info:
; codeLenInByte = 0
; TotalNumSgprs: 6
; NumVgprs: 0
; NumAgprs: 0
; TotalNumVgprs: 0
; ScratchSize: 0
; MemoryBound: 0
; FloatMode: 240
; IeeeMode: 1
; LDSByteSize: 0 bytes/workgroup (compile time only)
; SGPRBlocks: 0
; VGPRBlocks: 0
; NumSGPRsForWavesPerEU: 6
; NumVGPRsForWavesPerEU: 1
; AccumOffset: 4
; Occupancy: 8
; WaveLimiterHint : 0
; COMPUTE_PGM_RSRC2:SCRATCH_EN: 0
; COMPUTE_PGM_RSRC2:USER_SGPR: 2
; COMPUTE_PGM_RSRC2:TRAP_HANDLER: 0
; COMPUTE_PGM_RSRC2:TGID_X_EN: 1
; COMPUTE_PGM_RSRC2:TGID_Y_EN: 0
; COMPUTE_PGM_RSRC2:TGID_Z_EN: 0
; COMPUTE_PGM_RSRC2:TIDIG_COMP_CNT: 0
; COMPUTE_PGM_RSRC3_GFX90A:ACCUM_OFFSET: 0
; COMPUTE_PGM_RSRC3_GFX90A:TG_SPLIT: 0
	.section	.text._ZN7rocprim17ROCPRIM_400000_NS6detail17trampoline_kernelINS0_14default_configENS1_25partition_config_selectorILNS1_17partition_subalgoE5ElNS0_10empty_typeEbEEZZNS1_14partition_implILS5_5ELb0ES3_mN6hipcub16HIPCUB_304000_NS21CountingInputIteratorIllEEPS6_NSA_22TransformInputIteratorIb7NonZeroIaEPalEENS0_5tupleIJPlS6_EEENSJ_IJSD_SD_EEES6_SK_JS6_EEE10hipError_tPvRmT3_T4_T5_T6_T7_T9_mT8_P12ihipStream_tbDpT10_ENKUlT_T0_E_clISt17integral_constantIbLb0EES16_EEDaS11_S12_EUlS11_E_NS1_11comp_targetILNS1_3genE3ELNS1_11target_archE908ELNS1_3gpuE7ELNS1_3repE0EEENS1_30default_config_static_selectorELNS0_4arch9wavefront6targetE1EEEvT1_,"axG",@progbits,_ZN7rocprim17ROCPRIM_400000_NS6detail17trampoline_kernelINS0_14default_configENS1_25partition_config_selectorILNS1_17partition_subalgoE5ElNS0_10empty_typeEbEEZZNS1_14partition_implILS5_5ELb0ES3_mN6hipcub16HIPCUB_304000_NS21CountingInputIteratorIllEEPS6_NSA_22TransformInputIteratorIb7NonZeroIaEPalEENS0_5tupleIJPlS6_EEENSJ_IJSD_SD_EEES6_SK_JS6_EEE10hipError_tPvRmT3_T4_T5_T6_T7_T9_mT8_P12ihipStream_tbDpT10_ENKUlT_T0_E_clISt17integral_constantIbLb0EES16_EEDaS11_S12_EUlS11_E_NS1_11comp_targetILNS1_3genE3ELNS1_11target_archE908ELNS1_3gpuE7ELNS1_3repE0EEENS1_30default_config_static_selectorELNS0_4arch9wavefront6targetE1EEEvT1_,comdat
	.protected	_ZN7rocprim17ROCPRIM_400000_NS6detail17trampoline_kernelINS0_14default_configENS1_25partition_config_selectorILNS1_17partition_subalgoE5ElNS0_10empty_typeEbEEZZNS1_14partition_implILS5_5ELb0ES3_mN6hipcub16HIPCUB_304000_NS21CountingInputIteratorIllEEPS6_NSA_22TransformInputIteratorIb7NonZeroIaEPalEENS0_5tupleIJPlS6_EEENSJ_IJSD_SD_EEES6_SK_JS6_EEE10hipError_tPvRmT3_T4_T5_T6_T7_T9_mT8_P12ihipStream_tbDpT10_ENKUlT_T0_E_clISt17integral_constantIbLb0EES16_EEDaS11_S12_EUlS11_E_NS1_11comp_targetILNS1_3genE3ELNS1_11target_archE908ELNS1_3gpuE7ELNS1_3repE0EEENS1_30default_config_static_selectorELNS0_4arch9wavefront6targetE1EEEvT1_ ; -- Begin function _ZN7rocprim17ROCPRIM_400000_NS6detail17trampoline_kernelINS0_14default_configENS1_25partition_config_selectorILNS1_17partition_subalgoE5ElNS0_10empty_typeEbEEZZNS1_14partition_implILS5_5ELb0ES3_mN6hipcub16HIPCUB_304000_NS21CountingInputIteratorIllEEPS6_NSA_22TransformInputIteratorIb7NonZeroIaEPalEENS0_5tupleIJPlS6_EEENSJ_IJSD_SD_EEES6_SK_JS6_EEE10hipError_tPvRmT3_T4_T5_T6_T7_T9_mT8_P12ihipStream_tbDpT10_ENKUlT_T0_E_clISt17integral_constantIbLb0EES16_EEDaS11_S12_EUlS11_E_NS1_11comp_targetILNS1_3genE3ELNS1_11target_archE908ELNS1_3gpuE7ELNS1_3repE0EEENS1_30default_config_static_selectorELNS0_4arch9wavefront6targetE1EEEvT1_
	.globl	_ZN7rocprim17ROCPRIM_400000_NS6detail17trampoline_kernelINS0_14default_configENS1_25partition_config_selectorILNS1_17partition_subalgoE5ElNS0_10empty_typeEbEEZZNS1_14partition_implILS5_5ELb0ES3_mN6hipcub16HIPCUB_304000_NS21CountingInputIteratorIllEEPS6_NSA_22TransformInputIteratorIb7NonZeroIaEPalEENS0_5tupleIJPlS6_EEENSJ_IJSD_SD_EEES6_SK_JS6_EEE10hipError_tPvRmT3_T4_T5_T6_T7_T9_mT8_P12ihipStream_tbDpT10_ENKUlT_T0_E_clISt17integral_constantIbLb0EES16_EEDaS11_S12_EUlS11_E_NS1_11comp_targetILNS1_3genE3ELNS1_11target_archE908ELNS1_3gpuE7ELNS1_3repE0EEENS1_30default_config_static_selectorELNS0_4arch9wavefront6targetE1EEEvT1_
	.p2align	8
	.type	_ZN7rocprim17ROCPRIM_400000_NS6detail17trampoline_kernelINS0_14default_configENS1_25partition_config_selectorILNS1_17partition_subalgoE5ElNS0_10empty_typeEbEEZZNS1_14partition_implILS5_5ELb0ES3_mN6hipcub16HIPCUB_304000_NS21CountingInputIteratorIllEEPS6_NSA_22TransformInputIteratorIb7NonZeroIaEPalEENS0_5tupleIJPlS6_EEENSJ_IJSD_SD_EEES6_SK_JS6_EEE10hipError_tPvRmT3_T4_T5_T6_T7_T9_mT8_P12ihipStream_tbDpT10_ENKUlT_T0_E_clISt17integral_constantIbLb0EES16_EEDaS11_S12_EUlS11_E_NS1_11comp_targetILNS1_3genE3ELNS1_11target_archE908ELNS1_3gpuE7ELNS1_3repE0EEENS1_30default_config_static_selectorELNS0_4arch9wavefront6targetE1EEEvT1_,@function
_ZN7rocprim17ROCPRIM_400000_NS6detail17trampoline_kernelINS0_14default_configENS1_25partition_config_selectorILNS1_17partition_subalgoE5ElNS0_10empty_typeEbEEZZNS1_14partition_implILS5_5ELb0ES3_mN6hipcub16HIPCUB_304000_NS21CountingInputIteratorIllEEPS6_NSA_22TransformInputIteratorIb7NonZeroIaEPalEENS0_5tupleIJPlS6_EEENSJ_IJSD_SD_EEES6_SK_JS6_EEE10hipError_tPvRmT3_T4_T5_T6_T7_T9_mT8_P12ihipStream_tbDpT10_ENKUlT_T0_E_clISt17integral_constantIbLb0EES16_EEDaS11_S12_EUlS11_E_NS1_11comp_targetILNS1_3genE3ELNS1_11target_archE908ELNS1_3gpuE7ELNS1_3repE0EEENS1_30default_config_static_selectorELNS0_4arch9wavefront6targetE1EEEvT1_: ; @_ZN7rocprim17ROCPRIM_400000_NS6detail17trampoline_kernelINS0_14default_configENS1_25partition_config_selectorILNS1_17partition_subalgoE5ElNS0_10empty_typeEbEEZZNS1_14partition_implILS5_5ELb0ES3_mN6hipcub16HIPCUB_304000_NS21CountingInputIteratorIllEEPS6_NSA_22TransformInputIteratorIb7NonZeroIaEPalEENS0_5tupleIJPlS6_EEENSJ_IJSD_SD_EEES6_SK_JS6_EEE10hipError_tPvRmT3_T4_T5_T6_T7_T9_mT8_P12ihipStream_tbDpT10_ENKUlT_T0_E_clISt17integral_constantIbLb0EES16_EEDaS11_S12_EUlS11_E_NS1_11comp_targetILNS1_3genE3ELNS1_11target_archE908ELNS1_3gpuE7ELNS1_3repE0EEENS1_30default_config_static_selectorELNS0_4arch9wavefront6targetE1EEEvT1_
; %bb.0:
	.section	.rodata,"a",@progbits
	.p2align	6, 0x0
	.amdhsa_kernel _ZN7rocprim17ROCPRIM_400000_NS6detail17trampoline_kernelINS0_14default_configENS1_25partition_config_selectorILNS1_17partition_subalgoE5ElNS0_10empty_typeEbEEZZNS1_14partition_implILS5_5ELb0ES3_mN6hipcub16HIPCUB_304000_NS21CountingInputIteratorIllEEPS6_NSA_22TransformInputIteratorIb7NonZeroIaEPalEENS0_5tupleIJPlS6_EEENSJ_IJSD_SD_EEES6_SK_JS6_EEE10hipError_tPvRmT3_T4_T5_T6_T7_T9_mT8_P12ihipStream_tbDpT10_ENKUlT_T0_E_clISt17integral_constantIbLb0EES16_EEDaS11_S12_EUlS11_E_NS1_11comp_targetILNS1_3genE3ELNS1_11target_archE908ELNS1_3gpuE7ELNS1_3repE0EEENS1_30default_config_static_selectorELNS0_4arch9wavefront6targetE1EEEvT1_
		.amdhsa_group_segment_fixed_size 0
		.amdhsa_private_segment_fixed_size 0
		.amdhsa_kernarg_size 120
		.amdhsa_user_sgpr_count 2
		.amdhsa_user_sgpr_dispatch_ptr 0
		.amdhsa_user_sgpr_queue_ptr 0
		.amdhsa_user_sgpr_kernarg_segment_ptr 1
		.amdhsa_user_sgpr_dispatch_id 0
		.amdhsa_user_sgpr_kernarg_preload_length 0
		.amdhsa_user_sgpr_kernarg_preload_offset 0
		.amdhsa_user_sgpr_private_segment_size 0
		.amdhsa_uses_dynamic_stack 0
		.amdhsa_enable_private_segment 0
		.amdhsa_system_sgpr_workgroup_id_x 1
		.amdhsa_system_sgpr_workgroup_id_y 0
		.amdhsa_system_sgpr_workgroup_id_z 0
		.amdhsa_system_sgpr_workgroup_info 0
		.amdhsa_system_vgpr_workitem_id 0
		.amdhsa_next_free_vgpr 1
		.amdhsa_next_free_sgpr 0
		.amdhsa_accum_offset 4
		.amdhsa_reserve_vcc 0
		.amdhsa_float_round_mode_32 0
		.amdhsa_float_round_mode_16_64 0
		.amdhsa_float_denorm_mode_32 3
		.amdhsa_float_denorm_mode_16_64 3
		.amdhsa_dx10_clamp 1
		.amdhsa_ieee_mode 1
		.amdhsa_fp16_overflow 0
		.amdhsa_tg_split 0
		.amdhsa_exception_fp_ieee_invalid_op 0
		.amdhsa_exception_fp_denorm_src 0
		.amdhsa_exception_fp_ieee_div_zero 0
		.amdhsa_exception_fp_ieee_overflow 0
		.amdhsa_exception_fp_ieee_underflow 0
		.amdhsa_exception_fp_ieee_inexact 0
		.amdhsa_exception_int_div_zero 0
	.end_amdhsa_kernel
	.section	.text._ZN7rocprim17ROCPRIM_400000_NS6detail17trampoline_kernelINS0_14default_configENS1_25partition_config_selectorILNS1_17partition_subalgoE5ElNS0_10empty_typeEbEEZZNS1_14partition_implILS5_5ELb0ES3_mN6hipcub16HIPCUB_304000_NS21CountingInputIteratorIllEEPS6_NSA_22TransformInputIteratorIb7NonZeroIaEPalEENS0_5tupleIJPlS6_EEENSJ_IJSD_SD_EEES6_SK_JS6_EEE10hipError_tPvRmT3_T4_T5_T6_T7_T9_mT8_P12ihipStream_tbDpT10_ENKUlT_T0_E_clISt17integral_constantIbLb0EES16_EEDaS11_S12_EUlS11_E_NS1_11comp_targetILNS1_3genE3ELNS1_11target_archE908ELNS1_3gpuE7ELNS1_3repE0EEENS1_30default_config_static_selectorELNS0_4arch9wavefront6targetE1EEEvT1_,"axG",@progbits,_ZN7rocprim17ROCPRIM_400000_NS6detail17trampoline_kernelINS0_14default_configENS1_25partition_config_selectorILNS1_17partition_subalgoE5ElNS0_10empty_typeEbEEZZNS1_14partition_implILS5_5ELb0ES3_mN6hipcub16HIPCUB_304000_NS21CountingInputIteratorIllEEPS6_NSA_22TransformInputIteratorIb7NonZeroIaEPalEENS0_5tupleIJPlS6_EEENSJ_IJSD_SD_EEES6_SK_JS6_EEE10hipError_tPvRmT3_T4_T5_T6_T7_T9_mT8_P12ihipStream_tbDpT10_ENKUlT_T0_E_clISt17integral_constantIbLb0EES16_EEDaS11_S12_EUlS11_E_NS1_11comp_targetILNS1_3genE3ELNS1_11target_archE908ELNS1_3gpuE7ELNS1_3repE0EEENS1_30default_config_static_selectorELNS0_4arch9wavefront6targetE1EEEvT1_,comdat
.Lfunc_end40:
	.size	_ZN7rocprim17ROCPRIM_400000_NS6detail17trampoline_kernelINS0_14default_configENS1_25partition_config_selectorILNS1_17partition_subalgoE5ElNS0_10empty_typeEbEEZZNS1_14partition_implILS5_5ELb0ES3_mN6hipcub16HIPCUB_304000_NS21CountingInputIteratorIllEEPS6_NSA_22TransformInputIteratorIb7NonZeroIaEPalEENS0_5tupleIJPlS6_EEENSJ_IJSD_SD_EEES6_SK_JS6_EEE10hipError_tPvRmT3_T4_T5_T6_T7_T9_mT8_P12ihipStream_tbDpT10_ENKUlT_T0_E_clISt17integral_constantIbLb0EES16_EEDaS11_S12_EUlS11_E_NS1_11comp_targetILNS1_3genE3ELNS1_11target_archE908ELNS1_3gpuE7ELNS1_3repE0EEENS1_30default_config_static_selectorELNS0_4arch9wavefront6targetE1EEEvT1_, .Lfunc_end40-_ZN7rocprim17ROCPRIM_400000_NS6detail17trampoline_kernelINS0_14default_configENS1_25partition_config_selectorILNS1_17partition_subalgoE5ElNS0_10empty_typeEbEEZZNS1_14partition_implILS5_5ELb0ES3_mN6hipcub16HIPCUB_304000_NS21CountingInputIteratorIllEEPS6_NSA_22TransformInputIteratorIb7NonZeroIaEPalEENS0_5tupleIJPlS6_EEENSJ_IJSD_SD_EEES6_SK_JS6_EEE10hipError_tPvRmT3_T4_T5_T6_T7_T9_mT8_P12ihipStream_tbDpT10_ENKUlT_T0_E_clISt17integral_constantIbLb0EES16_EEDaS11_S12_EUlS11_E_NS1_11comp_targetILNS1_3genE3ELNS1_11target_archE908ELNS1_3gpuE7ELNS1_3repE0EEENS1_30default_config_static_selectorELNS0_4arch9wavefront6targetE1EEEvT1_
                                        ; -- End function
	.set _ZN7rocprim17ROCPRIM_400000_NS6detail17trampoline_kernelINS0_14default_configENS1_25partition_config_selectorILNS1_17partition_subalgoE5ElNS0_10empty_typeEbEEZZNS1_14partition_implILS5_5ELb0ES3_mN6hipcub16HIPCUB_304000_NS21CountingInputIteratorIllEEPS6_NSA_22TransformInputIteratorIb7NonZeroIaEPalEENS0_5tupleIJPlS6_EEENSJ_IJSD_SD_EEES6_SK_JS6_EEE10hipError_tPvRmT3_T4_T5_T6_T7_T9_mT8_P12ihipStream_tbDpT10_ENKUlT_T0_E_clISt17integral_constantIbLb0EES16_EEDaS11_S12_EUlS11_E_NS1_11comp_targetILNS1_3genE3ELNS1_11target_archE908ELNS1_3gpuE7ELNS1_3repE0EEENS1_30default_config_static_selectorELNS0_4arch9wavefront6targetE1EEEvT1_.num_vgpr, 0
	.set _ZN7rocprim17ROCPRIM_400000_NS6detail17trampoline_kernelINS0_14default_configENS1_25partition_config_selectorILNS1_17partition_subalgoE5ElNS0_10empty_typeEbEEZZNS1_14partition_implILS5_5ELb0ES3_mN6hipcub16HIPCUB_304000_NS21CountingInputIteratorIllEEPS6_NSA_22TransformInputIteratorIb7NonZeroIaEPalEENS0_5tupleIJPlS6_EEENSJ_IJSD_SD_EEES6_SK_JS6_EEE10hipError_tPvRmT3_T4_T5_T6_T7_T9_mT8_P12ihipStream_tbDpT10_ENKUlT_T0_E_clISt17integral_constantIbLb0EES16_EEDaS11_S12_EUlS11_E_NS1_11comp_targetILNS1_3genE3ELNS1_11target_archE908ELNS1_3gpuE7ELNS1_3repE0EEENS1_30default_config_static_selectorELNS0_4arch9wavefront6targetE1EEEvT1_.num_agpr, 0
	.set _ZN7rocprim17ROCPRIM_400000_NS6detail17trampoline_kernelINS0_14default_configENS1_25partition_config_selectorILNS1_17partition_subalgoE5ElNS0_10empty_typeEbEEZZNS1_14partition_implILS5_5ELb0ES3_mN6hipcub16HIPCUB_304000_NS21CountingInputIteratorIllEEPS6_NSA_22TransformInputIteratorIb7NonZeroIaEPalEENS0_5tupleIJPlS6_EEENSJ_IJSD_SD_EEES6_SK_JS6_EEE10hipError_tPvRmT3_T4_T5_T6_T7_T9_mT8_P12ihipStream_tbDpT10_ENKUlT_T0_E_clISt17integral_constantIbLb0EES16_EEDaS11_S12_EUlS11_E_NS1_11comp_targetILNS1_3genE3ELNS1_11target_archE908ELNS1_3gpuE7ELNS1_3repE0EEENS1_30default_config_static_selectorELNS0_4arch9wavefront6targetE1EEEvT1_.numbered_sgpr, 0
	.set _ZN7rocprim17ROCPRIM_400000_NS6detail17trampoline_kernelINS0_14default_configENS1_25partition_config_selectorILNS1_17partition_subalgoE5ElNS0_10empty_typeEbEEZZNS1_14partition_implILS5_5ELb0ES3_mN6hipcub16HIPCUB_304000_NS21CountingInputIteratorIllEEPS6_NSA_22TransformInputIteratorIb7NonZeroIaEPalEENS0_5tupleIJPlS6_EEENSJ_IJSD_SD_EEES6_SK_JS6_EEE10hipError_tPvRmT3_T4_T5_T6_T7_T9_mT8_P12ihipStream_tbDpT10_ENKUlT_T0_E_clISt17integral_constantIbLb0EES16_EEDaS11_S12_EUlS11_E_NS1_11comp_targetILNS1_3genE3ELNS1_11target_archE908ELNS1_3gpuE7ELNS1_3repE0EEENS1_30default_config_static_selectorELNS0_4arch9wavefront6targetE1EEEvT1_.num_named_barrier, 0
	.set _ZN7rocprim17ROCPRIM_400000_NS6detail17trampoline_kernelINS0_14default_configENS1_25partition_config_selectorILNS1_17partition_subalgoE5ElNS0_10empty_typeEbEEZZNS1_14partition_implILS5_5ELb0ES3_mN6hipcub16HIPCUB_304000_NS21CountingInputIteratorIllEEPS6_NSA_22TransformInputIteratorIb7NonZeroIaEPalEENS0_5tupleIJPlS6_EEENSJ_IJSD_SD_EEES6_SK_JS6_EEE10hipError_tPvRmT3_T4_T5_T6_T7_T9_mT8_P12ihipStream_tbDpT10_ENKUlT_T0_E_clISt17integral_constantIbLb0EES16_EEDaS11_S12_EUlS11_E_NS1_11comp_targetILNS1_3genE3ELNS1_11target_archE908ELNS1_3gpuE7ELNS1_3repE0EEENS1_30default_config_static_selectorELNS0_4arch9wavefront6targetE1EEEvT1_.private_seg_size, 0
	.set _ZN7rocprim17ROCPRIM_400000_NS6detail17trampoline_kernelINS0_14default_configENS1_25partition_config_selectorILNS1_17partition_subalgoE5ElNS0_10empty_typeEbEEZZNS1_14partition_implILS5_5ELb0ES3_mN6hipcub16HIPCUB_304000_NS21CountingInputIteratorIllEEPS6_NSA_22TransformInputIteratorIb7NonZeroIaEPalEENS0_5tupleIJPlS6_EEENSJ_IJSD_SD_EEES6_SK_JS6_EEE10hipError_tPvRmT3_T4_T5_T6_T7_T9_mT8_P12ihipStream_tbDpT10_ENKUlT_T0_E_clISt17integral_constantIbLb0EES16_EEDaS11_S12_EUlS11_E_NS1_11comp_targetILNS1_3genE3ELNS1_11target_archE908ELNS1_3gpuE7ELNS1_3repE0EEENS1_30default_config_static_selectorELNS0_4arch9wavefront6targetE1EEEvT1_.uses_vcc, 0
	.set _ZN7rocprim17ROCPRIM_400000_NS6detail17trampoline_kernelINS0_14default_configENS1_25partition_config_selectorILNS1_17partition_subalgoE5ElNS0_10empty_typeEbEEZZNS1_14partition_implILS5_5ELb0ES3_mN6hipcub16HIPCUB_304000_NS21CountingInputIteratorIllEEPS6_NSA_22TransformInputIteratorIb7NonZeroIaEPalEENS0_5tupleIJPlS6_EEENSJ_IJSD_SD_EEES6_SK_JS6_EEE10hipError_tPvRmT3_T4_T5_T6_T7_T9_mT8_P12ihipStream_tbDpT10_ENKUlT_T0_E_clISt17integral_constantIbLb0EES16_EEDaS11_S12_EUlS11_E_NS1_11comp_targetILNS1_3genE3ELNS1_11target_archE908ELNS1_3gpuE7ELNS1_3repE0EEENS1_30default_config_static_selectorELNS0_4arch9wavefront6targetE1EEEvT1_.uses_flat_scratch, 0
	.set _ZN7rocprim17ROCPRIM_400000_NS6detail17trampoline_kernelINS0_14default_configENS1_25partition_config_selectorILNS1_17partition_subalgoE5ElNS0_10empty_typeEbEEZZNS1_14partition_implILS5_5ELb0ES3_mN6hipcub16HIPCUB_304000_NS21CountingInputIteratorIllEEPS6_NSA_22TransformInputIteratorIb7NonZeroIaEPalEENS0_5tupleIJPlS6_EEENSJ_IJSD_SD_EEES6_SK_JS6_EEE10hipError_tPvRmT3_T4_T5_T6_T7_T9_mT8_P12ihipStream_tbDpT10_ENKUlT_T0_E_clISt17integral_constantIbLb0EES16_EEDaS11_S12_EUlS11_E_NS1_11comp_targetILNS1_3genE3ELNS1_11target_archE908ELNS1_3gpuE7ELNS1_3repE0EEENS1_30default_config_static_selectorELNS0_4arch9wavefront6targetE1EEEvT1_.has_dyn_sized_stack, 0
	.set _ZN7rocprim17ROCPRIM_400000_NS6detail17trampoline_kernelINS0_14default_configENS1_25partition_config_selectorILNS1_17partition_subalgoE5ElNS0_10empty_typeEbEEZZNS1_14partition_implILS5_5ELb0ES3_mN6hipcub16HIPCUB_304000_NS21CountingInputIteratorIllEEPS6_NSA_22TransformInputIteratorIb7NonZeroIaEPalEENS0_5tupleIJPlS6_EEENSJ_IJSD_SD_EEES6_SK_JS6_EEE10hipError_tPvRmT3_T4_T5_T6_T7_T9_mT8_P12ihipStream_tbDpT10_ENKUlT_T0_E_clISt17integral_constantIbLb0EES16_EEDaS11_S12_EUlS11_E_NS1_11comp_targetILNS1_3genE3ELNS1_11target_archE908ELNS1_3gpuE7ELNS1_3repE0EEENS1_30default_config_static_selectorELNS0_4arch9wavefront6targetE1EEEvT1_.has_recursion, 0
	.set _ZN7rocprim17ROCPRIM_400000_NS6detail17trampoline_kernelINS0_14default_configENS1_25partition_config_selectorILNS1_17partition_subalgoE5ElNS0_10empty_typeEbEEZZNS1_14partition_implILS5_5ELb0ES3_mN6hipcub16HIPCUB_304000_NS21CountingInputIteratorIllEEPS6_NSA_22TransformInputIteratorIb7NonZeroIaEPalEENS0_5tupleIJPlS6_EEENSJ_IJSD_SD_EEES6_SK_JS6_EEE10hipError_tPvRmT3_T4_T5_T6_T7_T9_mT8_P12ihipStream_tbDpT10_ENKUlT_T0_E_clISt17integral_constantIbLb0EES16_EEDaS11_S12_EUlS11_E_NS1_11comp_targetILNS1_3genE3ELNS1_11target_archE908ELNS1_3gpuE7ELNS1_3repE0EEENS1_30default_config_static_selectorELNS0_4arch9wavefront6targetE1EEEvT1_.has_indirect_call, 0
	.section	.AMDGPU.csdata,"",@progbits
; Kernel info:
; codeLenInByte = 0
; TotalNumSgprs: 6
; NumVgprs: 0
; NumAgprs: 0
; TotalNumVgprs: 0
; ScratchSize: 0
; MemoryBound: 0
; FloatMode: 240
; IeeeMode: 1
; LDSByteSize: 0 bytes/workgroup (compile time only)
; SGPRBlocks: 0
; VGPRBlocks: 0
; NumSGPRsForWavesPerEU: 6
; NumVGPRsForWavesPerEU: 1
; AccumOffset: 4
; Occupancy: 8
; WaveLimiterHint : 0
; COMPUTE_PGM_RSRC2:SCRATCH_EN: 0
; COMPUTE_PGM_RSRC2:USER_SGPR: 2
; COMPUTE_PGM_RSRC2:TRAP_HANDLER: 0
; COMPUTE_PGM_RSRC2:TGID_X_EN: 1
; COMPUTE_PGM_RSRC2:TGID_Y_EN: 0
; COMPUTE_PGM_RSRC2:TGID_Z_EN: 0
; COMPUTE_PGM_RSRC2:TIDIG_COMP_CNT: 0
; COMPUTE_PGM_RSRC3_GFX90A:ACCUM_OFFSET: 0
; COMPUTE_PGM_RSRC3_GFX90A:TG_SPLIT: 0
	.section	.text._ZN7rocprim17ROCPRIM_400000_NS6detail17trampoline_kernelINS0_14default_configENS1_25partition_config_selectorILNS1_17partition_subalgoE5ElNS0_10empty_typeEbEEZZNS1_14partition_implILS5_5ELb0ES3_mN6hipcub16HIPCUB_304000_NS21CountingInputIteratorIllEEPS6_NSA_22TransformInputIteratorIb7NonZeroIaEPalEENS0_5tupleIJPlS6_EEENSJ_IJSD_SD_EEES6_SK_JS6_EEE10hipError_tPvRmT3_T4_T5_T6_T7_T9_mT8_P12ihipStream_tbDpT10_ENKUlT_T0_E_clISt17integral_constantIbLb0EES16_EEDaS11_S12_EUlS11_E_NS1_11comp_targetILNS1_3genE2ELNS1_11target_archE906ELNS1_3gpuE6ELNS1_3repE0EEENS1_30default_config_static_selectorELNS0_4arch9wavefront6targetE1EEEvT1_,"axG",@progbits,_ZN7rocprim17ROCPRIM_400000_NS6detail17trampoline_kernelINS0_14default_configENS1_25partition_config_selectorILNS1_17partition_subalgoE5ElNS0_10empty_typeEbEEZZNS1_14partition_implILS5_5ELb0ES3_mN6hipcub16HIPCUB_304000_NS21CountingInputIteratorIllEEPS6_NSA_22TransformInputIteratorIb7NonZeroIaEPalEENS0_5tupleIJPlS6_EEENSJ_IJSD_SD_EEES6_SK_JS6_EEE10hipError_tPvRmT3_T4_T5_T6_T7_T9_mT8_P12ihipStream_tbDpT10_ENKUlT_T0_E_clISt17integral_constantIbLb0EES16_EEDaS11_S12_EUlS11_E_NS1_11comp_targetILNS1_3genE2ELNS1_11target_archE906ELNS1_3gpuE6ELNS1_3repE0EEENS1_30default_config_static_selectorELNS0_4arch9wavefront6targetE1EEEvT1_,comdat
	.protected	_ZN7rocprim17ROCPRIM_400000_NS6detail17trampoline_kernelINS0_14default_configENS1_25partition_config_selectorILNS1_17partition_subalgoE5ElNS0_10empty_typeEbEEZZNS1_14partition_implILS5_5ELb0ES3_mN6hipcub16HIPCUB_304000_NS21CountingInputIteratorIllEEPS6_NSA_22TransformInputIteratorIb7NonZeroIaEPalEENS0_5tupleIJPlS6_EEENSJ_IJSD_SD_EEES6_SK_JS6_EEE10hipError_tPvRmT3_T4_T5_T6_T7_T9_mT8_P12ihipStream_tbDpT10_ENKUlT_T0_E_clISt17integral_constantIbLb0EES16_EEDaS11_S12_EUlS11_E_NS1_11comp_targetILNS1_3genE2ELNS1_11target_archE906ELNS1_3gpuE6ELNS1_3repE0EEENS1_30default_config_static_selectorELNS0_4arch9wavefront6targetE1EEEvT1_ ; -- Begin function _ZN7rocprim17ROCPRIM_400000_NS6detail17trampoline_kernelINS0_14default_configENS1_25partition_config_selectorILNS1_17partition_subalgoE5ElNS0_10empty_typeEbEEZZNS1_14partition_implILS5_5ELb0ES3_mN6hipcub16HIPCUB_304000_NS21CountingInputIteratorIllEEPS6_NSA_22TransformInputIteratorIb7NonZeroIaEPalEENS0_5tupleIJPlS6_EEENSJ_IJSD_SD_EEES6_SK_JS6_EEE10hipError_tPvRmT3_T4_T5_T6_T7_T9_mT8_P12ihipStream_tbDpT10_ENKUlT_T0_E_clISt17integral_constantIbLb0EES16_EEDaS11_S12_EUlS11_E_NS1_11comp_targetILNS1_3genE2ELNS1_11target_archE906ELNS1_3gpuE6ELNS1_3repE0EEENS1_30default_config_static_selectorELNS0_4arch9wavefront6targetE1EEEvT1_
	.globl	_ZN7rocprim17ROCPRIM_400000_NS6detail17trampoline_kernelINS0_14default_configENS1_25partition_config_selectorILNS1_17partition_subalgoE5ElNS0_10empty_typeEbEEZZNS1_14partition_implILS5_5ELb0ES3_mN6hipcub16HIPCUB_304000_NS21CountingInputIteratorIllEEPS6_NSA_22TransformInputIteratorIb7NonZeroIaEPalEENS0_5tupleIJPlS6_EEENSJ_IJSD_SD_EEES6_SK_JS6_EEE10hipError_tPvRmT3_T4_T5_T6_T7_T9_mT8_P12ihipStream_tbDpT10_ENKUlT_T0_E_clISt17integral_constantIbLb0EES16_EEDaS11_S12_EUlS11_E_NS1_11comp_targetILNS1_3genE2ELNS1_11target_archE906ELNS1_3gpuE6ELNS1_3repE0EEENS1_30default_config_static_selectorELNS0_4arch9wavefront6targetE1EEEvT1_
	.p2align	8
	.type	_ZN7rocprim17ROCPRIM_400000_NS6detail17trampoline_kernelINS0_14default_configENS1_25partition_config_selectorILNS1_17partition_subalgoE5ElNS0_10empty_typeEbEEZZNS1_14partition_implILS5_5ELb0ES3_mN6hipcub16HIPCUB_304000_NS21CountingInputIteratorIllEEPS6_NSA_22TransformInputIteratorIb7NonZeroIaEPalEENS0_5tupleIJPlS6_EEENSJ_IJSD_SD_EEES6_SK_JS6_EEE10hipError_tPvRmT3_T4_T5_T6_T7_T9_mT8_P12ihipStream_tbDpT10_ENKUlT_T0_E_clISt17integral_constantIbLb0EES16_EEDaS11_S12_EUlS11_E_NS1_11comp_targetILNS1_3genE2ELNS1_11target_archE906ELNS1_3gpuE6ELNS1_3repE0EEENS1_30default_config_static_selectorELNS0_4arch9wavefront6targetE1EEEvT1_,@function
_ZN7rocprim17ROCPRIM_400000_NS6detail17trampoline_kernelINS0_14default_configENS1_25partition_config_selectorILNS1_17partition_subalgoE5ElNS0_10empty_typeEbEEZZNS1_14partition_implILS5_5ELb0ES3_mN6hipcub16HIPCUB_304000_NS21CountingInputIteratorIllEEPS6_NSA_22TransformInputIteratorIb7NonZeroIaEPalEENS0_5tupleIJPlS6_EEENSJ_IJSD_SD_EEES6_SK_JS6_EEE10hipError_tPvRmT3_T4_T5_T6_T7_T9_mT8_P12ihipStream_tbDpT10_ENKUlT_T0_E_clISt17integral_constantIbLb0EES16_EEDaS11_S12_EUlS11_E_NS1_11comp_targetILNS1_3genE2ELNS1_11target_archE906ELNS1_3gpuE6ELNS1_3repE0EEENS1_30default_config_static_selectorELNS0_4arch9wavefront6targetE1EEEvT1_: ; @_ZN7rocprim17ROCPRIM_400000_NS6detail17trampoline_kernelINS0_14default_configENS1_25partition_config_selectorILNS1_17partition_subalgoE5ElNS0_10empty_typeEbEEZZNS1_14partition_implILS5_5ELb0ES3_mN6hipcub16HIPCUB_304000_NS21CountingInputIteratorIllEEPS6_NSA_22TransformInputIteratorIb7NonZeroIaEPalEENS0_5tupleIJPlS6_EEENSJ_IJSD_SD_EEES6_SK_JS6_EEE10hipError_tPvRmT3_T4_T5_T6_T7_T9_mT8_P12ihipStream_tbDpT10_ENKUlT_T0_E_clISt17integral_constantIbLb0EES16_EEDaS11_S12_EUlS11_E_NS1_11comp_targetILNS1_3genE2ELNS1_11target_archE906ELNS1_3gpuE6ELNS1_3repE0EEENS1_30default_config_static_selectorELNS0_4arch9wavefront6targetE1EEEvT1_
; %bb.0:
	.section	.rodata,"a",@progbits
	.p2align	6, 0x0
	.amdhsa_kernel _ZN7rocprim17ROCPRIM_400000_NS6detail17trampoline_kernelINS0_14default_configENS1_25partition_config_selectorILNS1_17partition_subalgoE5ElNS0_10empty_typeEbEEZZNS1_14partition_implILS5_5ELb0ES3_mN6hipcub16HIPCUB_304000_NS21CountingInputIteratorIllEEPS6_NSA_22TransformInputIteratorIb7NonZeroIaEPalEENS0_5tupleIJPlS6_EEENSJ_IJSD_SD_EEES6_SK_JS6_EEE10hipError_tPvRmT3_T4_T5_T6_T7_T9_mT8_P12ihipStream_tbDpT10_ENKUlT_T0_E_clISt17integral_constantIbLb0EES16_EEDaS11_S12_EUlS11_E_NS1_11comp_targetILNS1_3genE2ELNS1_11target_archE906ELNS1_3gpuE6ELNS1_3repE0EEENS1_30default_config_static_selectorELNS0_4arch9wavefront6targetE1EEEvT1_
		.amdhsa_group_segment_fixed_size 0
		.amdhsa_private_segment_fixed_size 0
		.amdhsa_kernarg_size 120
		.amdhsa_user_sgpr_count 2
		.amdhsa_user_sgpr_dispatch_ptr 0
		.amdhsa_user_sgpr_queue_ptr 0
		.amdhsa_user_sgpr_kernarg_segment_ptr 1
		.amdhsa_user_sgpr_dispatch_id 0
		.amdhsa_user_sgpr_kernarg_preload_length 0
		.amdhsa_user_sgpr_kernarg_preload_offset 0
		.amdhsa_user_sgpr_private_segment_size 0
		.amdhsa_uses_dynamic_stack 0
		.amdhsa_enable_private_segment 0
		.amdhsa_system_sgpr_workgroup_id_x 1
		.amdhsa_system_sgpr_workgroup_id_y 0
		.amdhsa_system_sgpr_workgroup_id_z 0
		.amdhsa_system_sgpr_workgroup_info 0
		.amdhsa_system_vgpr_workitem_id 0
		.amdhsa_next_free_vgpr 1
		.amdhsa_next_free_sgpr 0
		.amdhsa_accum_offset 4
		.amdhsa_reserve_vcc 0
		.amdhsa_float_round_mode_32 0
		.amdhsa_float_round_mode_16_64 0
		.amdhsa_float_denorm_mode_32 3
		.amdhsa_float_denorm_mode_16_64 3
		.amdhsa_dx10_clamp 1
		.amdhsa_ieee_mode 1
		.amdhsa_fp16_overflow 0
		.amdhsa_tg_split 0
		.amdhsa_exception_fp_ieee_invalid_op 0
		.amdhsa_exception_fp_denorm_src 0
		.amdhsa_exception_fp_ieee_div_zero 0
		.amdhsa_exception_fp_ieee_overflow 0
		.amdhsa_exception_fp_ieee_underflow 0
		.amdhsa_exception_fp_ieee_inexact 0
		.amdhsa_exception_int_div_zero 0
	.end_amdhsa_kernel
	.section	.text._ZN7rocprim17ROCPRIM_400000_NS6detail17trampoline_kernelINS0_14default_configENS1_25partition_config_selectorILNS1_17partition_subalgoE5ElNS0_10empty_typeEbEEZZNS1_14partition_implILS5_5ELb0ES3_mN6hipcub16HIPCUB_304000_NS21CountingInputIteratorIllEEPS6_NSA_22TransformInputIteratorIb7NonZeroIaEPalEENS0_5tupleIJPlS6_EEENSJ_IJSD_SD_EEES6_SK_JS6_EEE10hipError_tPvRmT3_T4_T5_T6_T7_T9_mT8_P12ihipStream_tbDpT10_ENKUlT_T0_E_clISt17integral_constantIbLb0EES16_EEDaS11_S12_EUlS11_E_NS1_11comp_targetILNS1_3genE2ELNS1_11target_archE906ELNS1_3gpuE6ELNS1_3repE0EEENS1_30default_config_static_selectorELNS0_4arch9wavefront6targetE1EEEvT1_,"axG",@progbits,_ZN7rocprim17ROCPRIM_400000_NS6detail17trampoline_kernelINS0_14default_configENS1_25partition_config_selectorILNS1_17partition_subalgoE5ElNS0_10empty_typeEbEEZZNS1_14partition_implILS5_5ELb0ES3_mN6hipcub16HIPCUB_304000_NS21CountingInputIteratorIllEEPS6_NSA_22TransformInputIteratorIb7NonZeroIaEPalEENS0_5tupleIJPlS6_EEENSJ_IJSD_SD_EEES6_SK_JS6_EEE10hipError_tPvRmT3_T4_T5_T6_T7_T9_mT8_P12ihipStream_tbDpT10_ENKUlT_T0_E_clISt17integral_constantIbLb0EES16_EEDaS11_S12_EUlS11_E_NS1_11comp_targetILNS1_3genE2ELNS1_11target_archE906ELNS1_3gpuE6ELNS1_3repE0EEENS1_30default_config_static_selectorELNS0_4arch9wavefront6targetE1EEEvT1_,comdat
.Lfunc_end41:
	.size	_ZN7rocprim17ROCPRIM_400000_NS6detail17trampoline_kernelINS0_14default_configENS1_25partition_config_selectorILNS1_17partition_subalgoE5ElNS0_10empty_typeEbEEZZNS1_14partition_implILS5_5ELb0ES3_mN6hipcub16HIPCUB_304000_NS21CountingInputIteratorIllEEPS6_NSA_22TransformInputIteratorIb7NonZeroIaEPalEENS0_5tupleIJPlS6_EEENSJ_IJSD_SD_EEES6_SK_JS6_EEE10hipError_tPvRmT3_T4_T5_T6_T7_T9_mT8_P12ihipStream_tbDpT10_ENKUlT_T0_E_clISt17integral_constantIbLb0EES16_EEDaS11_S12_EUlS11_E_NS1_11comp_targetILNS1_3genE2ELNS1_11target_archE906ELNS1_3gpuE6ELNS1_3repE0EEENS1_30default_config_static_selectorELNS0_4arch9wavefront6targetE1EEEvT1_, .Lfunc_end41-_ZN7rocprim17ROCPRIM_400000_NS6detail17trampoline_kernelINS0_14default_configENS1_25partition_config_selectorILNS1_17partition_subalgoE5ElNS0_10empty_typeEbEEZZNS1_14partition_implILS5_5ELb0ES3_mN6hipcub16HIPCUB_304000_NS21CountingInputIteratorIllEEPS6_NSA_22TransformInputIteratorIb7NonZeroIaEPalEENS0_5tupleIJPlS6_EEENSJ_IJSD_SD_EEES6_SK_JS6_EEE10hipError_tPvRmT3_T4_T5_T6_T7_T9_mT8_P12ihipStream_tbDpT10_ENKUlT_T0_E_clISt17integral_constantIbLb0EES16_EEDaS11_S12_EUlS11_E_NS1_11comp_targetILNS1_3genE2ELNS1_11target_archE906ELNS1_3gpuE6ELNS1_3repE0EEENS1_30default_config_static_selectorELNS0_4arch9wavefront6targetE1EEEvT1_
                                        ; -- End function
	.set _ZN7rocprim17ROCPRIM_400000_NS6detail17trampoline_kernelINS0_14default_configENS1_25partition_config_selectorILNS1_17partition_subalgoE5ElNS0_10empty_typeEbEEZZNS1_14partition_implILS5_5ELb0ES3_mN6hipcub16HIPCUB_304000_NS21CountingInputIteratorIllEEPS6_NSA_22TransformInputIteratorIb7NonZeroIaEPalEENS0_5tupleIJPlS6_EEENSJ_IJSD_SD_EEES6_SK_JS6_EEE10hipError_tPvRmT3_T4_T5_T6_T7_T9_mT8_P12ihipStream_tbDpT10_ENKUlT_T0_E_clISt17integral_constantIbLb0EES16_EEDaS11_S12_EUlS11_E_NS1_11comp_targetILNS1_3genE2ELNS1_11target_archE906ELNS1_3gpuE6ELNS1_3repE0EEENS1_30default_config_static_selectorELNS0_4arch9wavefront6targetE1EEEvT1_.num_vgpr, 0
	.set _ZN7rocprim17ROCPRIM_400000_NS6detail17trampoline_kernelINS0_14default_configENS1_25partition_config_selectorILNS1_17partition_subalgoE5ElNS0_10empty_typeEbEEZZNS1_14partition_implILS5_5ELb0ES3_mN6hipcub16HIPCUB_304000_NS21CountingInputIteratorIllEEPS6_NSA_22TransformInputIteratorIb7NonZeroIaEPalEENS0_5tupleIJPlS6_EEENSJ_IJSD_SD_EEES6_SK_JS6_EEE10hipError_tPvRmT3_T4_T5_T6_T7_T9_mT8_P12ihipStream_tbDpT10_ENKUlT_T0_E_clISt17integral_constantIbLb0EES16_EEDaS11_S12_EUlS11_E_NS1_11comp_targetILNS1_3genE2ELNS1_11target_archE906ELNS1_3gpuE6ELNS1_3repE0EEENS1_30default_config_static_selectorELNS0_4arch9wavefront6targetE1EEEvT1_.num_agpr, 0
	.set _ZN7rocprim17ROCPRIM_400000_NS6detail17trampoline_kernelINS0_14default_configENS1_25partition_config_selectorILNS1_17partition_subalgoE5ElNS0_10empty_typeEbEEZZNS1_14partition_implILS5_5ELb0ES3_mN6hipcub16HIPCUB_304000_NS21CountingInputIteratorIllEEPS6_NSA_22TransformInputIteratorIb7NonZeroIaEPalEENS0_5tupleIJPlS6_EEENSJ_IJSD_SD_EEES6_SK_JS6_EEE10hipError_tPvRmT3_T4_T5_T6_T7_T9_mT8_P12ihipStream_tbDpT10_ENKUlT_T0_E_clISt17integral_constantIbLb0EES16_EEDaS11_S12_EUlS11_E_NS1_11comp_targetILNS1_3genE2ELNS1_11target_archE906ELNS1_3gpuE6ELNS1_3repE0EEENS1_30default_config_static_selectorELNS0_4arch9wavefront6targetE1EEEvT1_.numbered_sgpr, 0
	.set _ZN7rocprim17ROCPRIM_400000_NS6detail17trampoline_kernelINS0_14default_configENS1_25partition_config_selectorILNS1_17partition_subalgoE5ElNS0_10empty_typeEbEEZZNS1_14partition_implILS5_5ELb0ES3_mN6hipcub16HIPCUB_304000_NS21CountingInputIteratorIllEEPS6_NSA_22TransformInputIteratorIb7NonZeroIaEPalEENS0_5tupleIJPlS6_EEENSJ_IJSD_SD_EEES6_SK_JS6_EEE10hipError_tPvRmT3_T4_T5_T6_T7_T9_mT8_P12ihipStream_tbDpT10_ENKUlT_T0_E_clISt17integral_constantIbLb0EES16_EEDaS11_S12_EUlS11_E_NS1_11comp_targetILNS1_3genE2ELNS1_11target_archE906ELNS1_3gpuE6ELNS1_3repE0EEENS1_30default_config_static_selectorELNS0_4arch9wavefront6targetE1EEEvT1_.num_named_barrier, 0
	.set _ZN7rocprim17ROCPRIM_400000_NS6detail17trampoline_kernelINS0_14default_configENS1_25partition_config_selectorILNS1_17partition_subalgoE5ElNS0_10empty_typeEbEEZZNS1_14partition_implILS5_5ELb0ES3_mN6hipcub16HIPCUB_304000_NS21CountingInputIteratorIllEEPS6_NSA_22TransformInputIteratorIb7NonZeroIaEPalEENS0_5tupleIJPlS6_EEENSJ_IJSD_SD_EEES6_SK_JS6_EEE10hipError_tPvRmT3_T4_T5_T6_T7_T9_mT8_P12ihipStream_tbDpT10_ENKUlT_T0_E_clISt17integral_constantIbLb0EES16_EEDaS11_S12_EUlS11_E_NS1_11comp_targetILNS1_3genE2ELNS1_11target_archE906ELNS1_3gpuE6ELNS1_3repE0EEENS1_30default_config_static_selectorELNS0_4arch9wavefront6targetE1EEEvT1_.private_seg_size, 0
	.set _ZN7rocprim17ROCPRIM_400000_NS6detail17trampoline_kernelINS0_14default_configENS1_25partition_config_selectorILNS1_17partition_subalgoE5ElNS0_10empty_typeEbEEZZNS1_14partition_implILS5_5ELb0ES3_mN6hipcub16HIPCUB_304000_NS21CountingInputIteratorIllEEPS6_NSA_22TransformInputIteratorIb7NonZeroIaEPalEENS0_5tupleIJPlS6_EEENSJ_IJSD_SD_EEES6_SK_JS6_EEE10hipError_tPvRmT3_T4_T5_T6_T7_T9_mT8_P12ihipStream_tbDpT10_ENKUlT_T0_E_clISt17integral_constantIbLb0EES16_EEDaS11_S12_EUlS11_E_NS1_11comp_targetILNS1_3genE2ELNS1_11target_archE906ELNS1_3gpuE6ELNS1_3repE0EEENS1_30default_config_static_selectorELNS0_4arch9wavefront6targetE1EEEvT1_.uses_vcc, 0
	.set _ZN7rocprim17ROCPRIM_400000_NS6detail17trampoline_kernelINS0_14default_configENS1_25partition_config_selectorILNS1_17partition_subalgoE5ElNS0_10empty_typeEbEEZZNS1_14partition_implILS5_5ELb0ES3_mN6hipcub16HIPCUB_304000_NS21CountingInputIteratorIllEEPS6_NSA_22TransformInputIteratorIb7NonZeroIaEPalEENS0_5tupleIJPlS6_EEENSJ_IJSD_SD_EEES6_SK_JS6_EEE10hipError_tPvRmT3_T4_T5_T6_T7_T9_mT8_P12ihipStream_tbDpT10_ENKUlT_T0_E_clISt17integral_constantIbLb0EES16_EEDaS11_S12_EUlS11_E_NS1_11comp_targetILNS1_3genE2ELNS1_11target_archE906ELNS1_3gpuE6ELNS1_3repE0EEENS1_30default_config_static_selectorELNS0_4arch9wavefront6targetE1EEEvT1_.uses_flat_scratch, 0
	.set _ZN7rocprim17ROCPRIM_400000_NS6detail17trampoline_kernelINS0_14default_configENS1_25partition_config_selectorILNS1_17partition_subalgoE5ElNS0_10empty_typeEbEEZZNS1_14partition_implILS5_5ELb0ES3_mN6hipcub16HIPCUB_304000_NS21CountingInputIteratorIllEEPS6_NSA_22TransformInputIteratorIb7NonZeroIaEPalEENS0_5tupleIJPlS6_EEENSJ_IJSD_SD_EEES6_SK_JS6_EEE10hipError_tPvRmT3_T4_T5_T6_T7_T9_mT8_P12ihipStream_tbDpT10_ENKUlT_T0_E_clISt17integral_constantIbLb0EES16_EEDaS11_S12_EUlS11_E_NS1_11comp_targetILNS1_3genE2ELNS1_11target_archE906ELNS1_3gpuE6ELNS1_3repE0EEENS1_30default_config_static_selectorELNS0_4arch9wavefront6targetE1EEEvT1_.has_dyn_sized_stack, 0
	.set _ZN7rocprim17ROCPRIM_400000_NS6detail17trampoline_kernelINS0_14default_configENS1_25partition_config_selectorILNS1_17partition_subalgoE5ElNS0_10empty_typeEbEEZZNS1_14partition_implILS5_5ELb0ES3_mN6hipcub16HIPCUB_304000_NS21CountingInputIteratorIllEEPS6_NSA_22TransformInputIteratorIb7NonZeroIaEPalEENS0_5tupleIJPlS6_EEENSJ_IJSD_SD_EEES6_SK_JS6_EEE10hipError_tPvRmT3_T4_T5_T6_T7_T9_mT8_P12ihipStream_tbDpT10_ENKUlT_T0_E_clISt17integral_constantIbLb0EES16_EEDaS11_S12_EUlS11_E_NS1_11comp_targetILNS1_3genE2ELNS1_11target_archE906ELNS1_3gpuE6ELNS1_3repE0EEENS1_30default_config_static_selectorELNS0_4arch9wavefront6targetE1EEEvT1_.has_recursion, 0
	.set _ZN7rocprim17ROCPRIM_400000_NS6detail17trampoline_kernelINS0_14default_configENS1_25partition_config_selectorILNS1_17partition_subalgoE5ElNS0_10empty_typeEbEEZZNS1_14partition_implILS5_5ELb0ES3_mN6hipcub16HIPCUB_304000_NS21CountingInputIteratorIllEEPS6_NSA_22TransformInputIteratorIb7NonZeroIaEPalEENS0_5tupleIJPlS6_EEENSJ_IJSD_SD_EEES6_SK_JS6_EEE10hipError_tPvRmT3_T4_T5_T6_T7_T9_mT8_P12ihipStream_tbDpT10_ENKUlT_T0_E_clISt17integral_constantIbLb0EES16_EEDaS11_S12_EUlS11_E_NS1_11comp_targetILNS1_3genE2ELNS1_11target_archE906ELNS1_3gpuE6ELNS1_3repE0EEENS1_30default_config_static_selectorELNS0_4arch9wavefront6targetE1EEEvT1_.has_indirect_call, 0
	.section	.AMDGPU.csdata,"",@progbits
; Kernel info:
; codeLenInByte = 0
; TotalNumSgprs: 6
; NumVgprs: 0
; NumAgprs: 0
; TotalNumVgprs: 0
; ScratchSize: 0
; MemoryBound: 0
; FloatMode: 240
; IeeeMode: 1
; LDSByteSize: 0 bytes/workgroup (compile time only)
; SGPRBlocks: 0
; VGPRBlocks: 0
; NumSGPRsForWavesPerEU: 6
; NumVGPRsForWavesPerEU: 1
; AccumOffset: 4
; Occupancy: 8
; WaveLimiterHint : 0
; COMPUTE_PGM_RSRC2:SCRATCH_EN: 0
; COMPUTE_PGM_RSRC2:USER_SGPR: 2
; COMPUTE_PGM_RSRC2:TRAP_HANDLER: 0
; COMPUTE_PGM_RSRC2:TGID_X_EN: 1
; COMPUTE_PGM_RSRC2:TGID_Y_EN: 0
; COMPUTE_PGM_RSRC2:TGID_Z_EN: 0
; COMPUTE_PGM_RSRC2:TIDIG_COMP_CNT: 0
; COMPUTE_PGM_RSRC3_GFX90A:ACCUM_OFFSET: 0
; COMPUTE_PGM_RSRC3_GFX90A:TG_SPLIT: 0
	.section	.text._ZN7rocprim17ROCPRIM_400000_NS6detail17trampoline_kernelINS0_14default_configENS1_25partition_config_selectorILNS1_17partition_subalgoE5ElNS0_10empty_typeEbEEZZNS1_14partition_implILS5_5ELb0ES3_mN6hipcub16HIPCUB_304000_NS21CountingInputIteratorIllEEPS6_NSA_22TransformInputIteratorIb7NonZeroIaEPalEENS0_5tupleIJPlS6_EEENSJ_IJSD_SD_EEES6_SK_JS6_EEE10hipError_tPvRmT3_T4_T5_T6_T7_T9_mT8_P12ihipStream_tbDpT10_ENKUlT_T0_E_clISt17integral_constantIbLb0EES16_EEDaS11_S12_EUlS11_E_NS1_11comp_targetILNS1_3genE10ELNS1_11target_archE1200ELNS1_3gpuE4ELNS1_3repE0EEENS1_30default_config_static_selectorELNS0_4arch9wavefront6targetE1EEEvT1_,"axG",@progbits,_ZN7rocprim17ROCPRIM_400000_NS6detail17trampoline_kernelINS0_14default_configENS1_25partition_config_selectorILNS1_17partition_subalgoE5ElNS0_10empty_typeEbEEZZNS1_14partition_implILS5_5ELb0ES3_mN6hipcub16HIPCUB_304000_NS21CountingInputIteratorIllEEPS6_NSA_22TransformInputIteratorIb7NonZeroIaEPalEENS0_5tupleIJPlS6_EEENSJ_IJSD_SD_EEES6_SK_JS6_EEE10hipError_tPvRmT3_T4_T5_T6_T7_T9_mT8_P12ihipStream_tbDpT10_ENKUlT_T0_E_clISt17integral_constantIbLb0EES16_EEDaS11_S12_EUlS11_E_NS1_11comp_targetILNS1_3genE10ELNS1_11target_archE1200ELNS1_3gpuE4ELNS1_3repE0EEENS1_30default_config_static_selectorELNS0_4arch9wavefront6targetE1EEEvT1_,comdat
	.protected	_ZN7rocprim17ROCPRIM_400000_NS6detail17trampoline_kernelINS0_14default_configENS1_25partition_config_selectorILNS1_17partition_subalgoE5ElNS0_10empty_typeEbEEZZNS1_14partition_implILS5_5ELb0ES3_mN6hipcub16HIPCUB_304000_NS21CountingInputIteratorIllEEPS6_NSA_22TransformInputIteratorIb7NonZeroIaEPalEENS0_5tupleIJPlS6_EEENSJ_IJSD_SD_EEES6_SK_JS6_EEE10hipError_tPvRmT3_T4_T5_T6_T7_T9_mT8_P12ihipStream_tbDpT10_ENKUlT_T0_E_clISt17integral_constantIbLb0EES16_EEDaS11_S12_EUlS11_E_NS1_11comp_targetILNS1_3genE10ELNS1_11target_archE1200ELNS1_3gpuE4ELNS1_3repE0EEENS1_30default_config_static_selectorELNS0_4arch9wavefront6targetE1EEEvT1_ ; -- Begin function _ZN7rocprim17ROCPRIM_400000_NS6detail17trampoline_kernelINS0_14default_configENS1_25partition_config_selectorILNS1_17partition_subalgoE5ElNS0_10empty_typeEbEEZZNS1_14partition_implILS5_5ELb0ES3_mN6hipcub16HIPCUB_304000_NS21CountingInputIteratorIllEEPS6_NSA_22TransformInputIteratorIb7NonZeroIaEPalEENS0_5tupleIJPlS6_EEENSJ_IJSD_SD_EEES6_SK_JS6_EEE10hipError_tPvRmT3_T4_T5_T6_T7_T9_mT8_P12ihipStream_tbDpT10_ENKUlT_T0_E_clISt17integral_constantIbLb0EES16_EEDaS11_S12_EUlS11_E_NS1_11comp_targetILNS1_3genE10ELNS1_11target_archE1200ELNS1_3gpuE4ELNS1_3repE0EEENS1_30default_config_static_selectorELNS0_4arch9wavefront6targetE1EEEvT1_
	.globl	_ZN7rocprim17ROCPRIM_400000_NS6detail17trampoline_kernelINS0_14default_configENS1_25partition_config_selectorILNS1_17partition_subalgoE5ElNS0_10empty_typeEbEEZZNS1_14partition_implILS5_5ELb0ES3_mN6hipcub16HIPCUB_304000_NS21CountingInputIteratorIllEEPS6_NSA_22TransformInputIteratorIb7NonZeroIaEPalEENS0_5tupleIJPlS6_EEENSJ_IJSD_SD_EEES6_SK_JS6_EEE10hipError_tPvRmT3_T4_T5_T6_T7_T9_mT8_P12ihipStream_tbDpT10_ENKUlT_T0_E_clISt17integral_constantIbLb0EES16_EEDaS11_S12_EUlS11_E_NS1_11comp_targetILNS1_3genE10ELNS1_11target_archE1200ELNS1_3gpuE4ELNS1_3repE0EEENS1_30default_config_static_selectorELNS0_4arch9wavefront6targetE1EEEvT1_
	.p2align	8
	.type	_ZN7rocprim17ROCPRIM_400000_NS6detail17trampoline_kernelINS0_14default_configENS1_25partition_config_selectorILNS1_17partition_subalgoE5ElNS0_10empty_typeEbEEZZNS1_14partition_implILS5_5ELb0ES3_mN6hipcub16HIPCUB_304000_NS21CountingInputIteratorIllEEPS6_NSA_22TransformInputIteratorIb7NonZeroIaEPalEENS0_5tupleIJPlS6_EEENSJ_IJSD_SD_EEES6_SK_JS6_EEE10hipError_tPvRmT3_T4_T5_T6_T7_T9_mT8_P12ihipStream_tbDpT10_ENKUlT_T0_E_clISt17integral_constantIbLb0EES16_EEDaS11_S12_EUlS11_E_NS1_11comp_targetILNS1_3genE10ELNS1_11target_archE1200ELNS1_3gpuE4ELNS1_3repE0EEENS1_30default_config_static_selectorELNS0_4arch9wavefront6targetE1EEEvT1_,@function
_ZN7rocprim17ROCPRIM_400000_NS6detail17trampoline_kernelINS0_14default_configENS1_25partition_config_selectorILNS1_17partition_subalgoE5ElNS0_10empty_typeEbEEZZNS1_14partition_implILS5_5ELb0ES3_mN6hipcub16HIPCUB_304000_NS21CountingInputIteratorIllEEPS6_NSA_22TransformInputIteratorIb7NonZeroIaEPalEENS0_5tupleIJPlS6_EEENSJ_IJSD_SD_EEES6_SK_JS6_EEE10hipError_tPvRmT3_T4_T5_T6_T7_T9_mT8_P12ihipStream_tbDpT10_ENKUlT_T0_E_clISt17integral_constantIbLb0EES16_EEDaS11_S12_EUlS11_E_NS1_11comp_targetILNS1_3genE10ELNS1_11target_archE1200ELNS1_3gpuE4ELNS1_3repE0EEENS1_30default_config_static_selectorELNS0_4arch9wavefront6targetE1EEEvT1_: ; @_ZN7rocprim17ROCPRIM_400000_NS6detail17trampoline_kernelINS0_14default_configENS1_25partition_config_selectorILNS1_17partition_subalgoE5ElNS0_10empty_typeEbEEZZNS1_14partition_implILS5_5ELb0ES3_mN6hipcub16HIPCUB_304000_NS21CountingInputIteratorIllEEPS6_NSA_22TransformInputIteratorIb7NonZeroIaEPalEENS0_5tupleIJPlS6_EEENSJ_IJSD_SD_EEES6_SK_JS6_EEE10hipError_tPvRmT3_T4_T5_T6_T7_T9_mT8_P12ihipStream_tbDpT10_ENKUlT_T0_E_clISt17integral_constantIbLb0EES16_EEDaS11_S12_EUlS11_E_NS1_11comp_targetILNS1_3genE10ELNS1_11target_archE1200ELNS1_3gpuE4ELNS1_3repE0EEENS1_30default_config_static_selectorELNS0_4arch9wavefront6targetE1EEEvT1_
; %bb.0:
	.section	.rodata,"a",@progbits
	.p2align	6, 0x0
	.amdhsa_kernel _ZN7rocprim17ROCPRIM_400000_NS6detail17trampoline_kernelINS0_14default_configENS1_25partition_config_selectorILNS1_17partition_subalgoE5ElNS0_10empty_typeEbEEZZNS1_14partition_implILS5_5ELb0ES3_mN6hipcub16HIPCUB_304000_NS21CountingInputIteratorIllEEPS6_NSA_22TransformInputIteratorIb7NonZeroIaEPalEENS0_5tupleIJPlS6_EEENSJ_IJSD_SD_EEES6_SK_JS6_EEE10hipError_tPvRmT3_T4_T5_T6_T7_T9_mT8_P12ihipStream_tbDpT10_ENKUlT_T0_E_clISt17integral_constantIbLb0EES16_EEDaS11_S12_EUlS11_E_NS1_11comp_targetILNS1_3genE10ELNS1_11target_archE1200ELNS1_3gpuE4ELNS1_3repE0EEENS1_30default_config_static_selectorELNS0_4arch9wavefront6targetE1EEEvT1_
		.amdhsa_group_segment_fixed_size 0
		.amdhsa_private_segment_fixed_size 0
		.amdhsa_kernarg_size 120
		.amdhsa_user_sgpr_count 2
		.amdhsa_user_sgpr_dispatch_ptr 0
		.amdhsa_user_sgpr_queue_ptr 0
		.amdhsa_user_sgpr_kernarg_segment_ptr 1
		.amdhsa_user_sgpr_dispatch_id 0
		.amdhsa_user_sgpr_kernarg_preload_length 0
		.amdhsa_user_sgpr_kernarg_preload_offset 0
		.amdhsa_user_sgpr_private_segment_size 0
		.amdhsa_uses_dynamic_stack 0
		.amdhsa_enable_private_segment 0
		.amdhsa_system_sgpr_workgroup_id_x 1
		.amdhsa_system_sgpr_workgroup_id_y 0
		.amdhsa_system_sgpr_workgroup_id_z 0
		.amdhsa_system_sgpr_workgroup_info 0
		.amdhsa_system_vgpr_workitem_id 0
		.amdhsa_next_free_vgpr 1
		.amdhsa_next_free_sgpr 0
		.amdhsa_accum_offset 4
		.amdhsa_reserve_vcc 0
		.amdhsa_float_round_mode_32 0
		.amdhsa_float_round_mode_16_64 0
		.amdhsa_float_denorm_mode_32 3
		.amdhsa_float_denorm_mode_16_64 3
		.amdhsa_dx10_clamp 1
		.amdhsa_ieee_mode 1
		.amdhsa_fp16_overflow 0
		.amdhsa_tg_split 0
		.amdhsa_exception_fp_ieee_invalid_op 0
		.amdhsa_exception_fp_denorm_src 0
		.amdhsa_exception_fp_ieee_div_zero 0
		.amdhsa_exception_fp_ieee_overflow 0
		.amdhsa_exception_fp_ieee_underflow 0
		.amdhsa_exception_fp_ieee_inexact 0
		.amdhsa_exception_int_div_zero 0
	.end_amdhsa_kernel
	.section	.text._ZN7rocprim17ROCPRIM_400000_NS6detail17trampoline_kernelINS0_14default_configENS1_25partition_config_selectorILNS1_17partition_subalgoE5ElNS0_10empty_typeEbEEZZNS1_14partition_implILS5_5ELb0ES3_mN6hipcub16HIPCUB_304000_NS21CountingInputIteratorIllEEPS6_NSA_22TransformInputIteratorIb7NonZeroIaEPalEENS0_5tupleIJPlS6_EEENSJ_IJSD_SD_EEES6_SK_JS6_EEE10hipError_tPvRmT3_T4_T5_T6_T7_T9_mT8_P12ihipStream_tbDpT10_ENKUlT_T0_E_clISt17integral_constantIbLb0EES16_EEDaS11_S12_EUlS11_E_NS1_11comp_targetILNS1_3genE10ELNS1_11target_archE1200ELNS1_3gpuE4ELNS1_3repE0EEENS1_30default_config_static_selectorELNS0_4arch9wavefront6targetE1EEEvT1_,"axG",@progbits,_ZN7rocprim17ROCPRIM_400000_NS6detail17trampoline_kernelINS0_14default_configENS1_25partition_config_selectorILNS1_17partition_subalgoE5ElNS0_10empty_typeEbEEZZNS1_14partition_implILS5_5ELb0ES3_mN6hipcub16HIPCUB_304000_NS21CountingInputIteratorIllEEPS6_NSA_22TransformInputIteratorIb7NonZeroIaEPalEENS0_5tupleIJPlS6_EEENSJ_IJSD_SD_EEES6_SK_JS6_EEE10hipError_tPvRmT3_T4_T5_T6_T7_T9_mT8_P12ihipStream_tbDpT10_ENKUlT_T0_E_clISt17integral_constantIbLb0EES16_EEDaS11_S12_EUlS11_E_NS1_11comp_targetILNS1_3genE10ELNS1_11target_archE1200ELNS1_3gpuE4ELNS1_3repE0EEENS1_30default_config_static_selectorELNS0_4arch9wavefront6targetE1EEEvT1_,comdat
.Lfunc_end42:
	.size	_ZN7rocprim17ROCPRIM_400000_NS6detail17trampoline_kernelINS0_14default_configENS1_25partition_config_selectorILNS1_17partition_subalgoE5ElNS0_10empty_typeEbEEZZNS1_14partition_implILS5_5ELb0ES3_mN6hipcub16HIPCUB_304000_NS21CountingInputIteratorIllEEPS6_NSA_22TransformInputIteratorIb7NonZeroIaEPalEENS0_5tupleIJPlS6_EEENSJ_IJSD_SD_EEES6_SK_JS6_EEE10hipError_tPvRmT3_T4_T5_T6_T7_T9_mT8_P12ihipStream_tbDpT10_ENKUlT_T0_E_clISt17integral_constantIbLb0EES16_EEDaS11_S12_EUlS11_E_NS1_11comp_targetILNS1_3genE10ELNS1_11target_archE1200ELNS1_3gpuE4ELNS1_3repE0EEENS1_30default_config_static_selectorELNS0_4arch9wavefront6targetE1EEEvT1_, .Lfunc_end42-_ZN7rocprim17ROCPRIM_400000_NS6detail17trampoline_kernelINS0_14default_configENS1_25partition_config_selectorILNS1_17partition_subalgoE5ElNS0_10empty_typeEbEEZZNS1_14partition_implILS5_5ELb0ES3_mN6hipcub16HIPCUB_304000_NS21CountingInputIteratorIllEEPS6_NSA_22TransformInputIteratorIb7NonZeroIaEPalEENS0_5tupleIJPlS6_EEENSJ_IJSD_SD_EEES6_SK_JS6_EEE10hipError_tPvRmT3_T4_T5_T6_T7_T9_mT8_P12ihipStream_tbDpT10_ENKUlT_T0_E_clISt17integral_constantIbLb0EES16_EEDaS11_S12_EUlS11_E_NS1_11comp_targetILNS1_3genE10ELNS1_11target_archE1200ELNS1_3gpuE4ELNS1_3repE0EEENS1_30default_config_static_selectorELNS0_4arch9wavefront6targetE1EEEvT1_
                                        ; -- End function
	.set _ZN7rocprim17ROCPRIM_400000_NS6detail17trampoline_kernelINS0_14default_configENS1_25partition_config_selectorILNS1_17partition_subalgoE5ElNS0_10empty_typeEbEEZZNS1_14partition_implILS5_5ELb0ES3_mN6hipcub16HIPCUB_304000_NS21CountingInputIteratorIllEEPS6_NSA_22TransformInputIteratorIb7NonZeroIaEPalEENS0_5tupleIJPlS6_EEENSJ_IJSD_SD_EEES6_SK_JS6_EEE10hipError_tPvRmT3_T4_T5_T6_T7_T9_mT8_P12ihipStream_tbDpT10_ENKUlT_T0_E_clISt17integral_constantIbLb0EES16_EEDaS11_S12_EUlS11_E_NS1_11comp_targetILNS1_3genE10ELNS1_11target_archE1200ELNS1_3gpuE4ELNS1_3repE0EEENS1_30default_config_static_selectorELNS0_4arch9wavefront6targetE1EEEvT1_.num_vgpr, 0
	.set _ZN7rocprim17ROCPRIM_400000_NS6detail17trampoline_kernelINS0_14default_configENS1_25partition_config_selectorILNS1_17partition_subalgoE5ElNS0_10empty_typeEbEEZZNS1_14partition_implILS5_5ELb0ES3_mN6hipcub16HIPCUB_304000_NS21CountingInputIteratorIllEEPS6_NSA_22TransformInputIteratorIb7NonZeroIaEPalEENS0_5tupleIJPlS6_EEENSJ_IJSD_SD_EEES6_SK_JS6_EEE10hipError_tPvRmT3_T4_T5_T6_T7_T9_mT8_P12ihipStream_tbDpT10_ENKUlT_T0_E_clISt17integral_constantIbLb0EES16_EEDaS11_S12_EUlS11_E_NS1_11comp_targetILNS1_3genE10ELNS1_11target_archE1200ELNS1_3gpuE4ELNS1_3repE0EEENS1_30default_config_static_selectorELNS0_4arch9wavefront6targetE1EEEvT1_.num_agpr, 0
	.set _ZN7rocprim17ROCPRIM_400000_NS6detail17trampoline_kernelINS0_14default_configENS1_25partition_config_selectorILNS1_17partition_subalgoE5ElNS0_10empty_typeEbEEZZNS1_14partition_implILS5_5ELb0ES3_mN6hipcub16HIPCUB_304000_NS21CountingInputIteratorIllEEPS6_NSA_22TransformInputIteratorIb7NonZeroIaEPalEENS0_5tupleIJPlS6_EEENSJ_IJSD_SD_EEES6_SK_JS6_EEE10hipError_tPvRmT3_T4_T5_T6_T7_T9_mT8_P12ihipStream_tbDpT10_ENKUlT_T0_E_clISt17integral_constantIbLb0EES16_EEDaS11_S12_EUlS11_E_NS1_11comp_targetILNS1_3genE10ELNS1_11target_archE1200ELNS1_3gpuE4ELNS1_3repE0EEENS1_30default_config_static_selectorELNS0_4arch9wavefront6targetE1EEEvT1_.numbered_sgpr, 0
	.set _ZN7rocprim17ROCPRIM_400000_NS6detail17trampoline_kernelINS0_14default_configENS1_25partition_config_selectorILNS1_17partition_subalgoE5ElNS0_10empty_typeEbEEZZNS1_14partition_implILS5_5ELb0ES3_mN6hipcub16HIPCUB_304000_NS21CountingInputIteratorIllEEPS6_NSA_22TransformInputIteratorIb7NonZeroIaEPalEENS0_5tupleIJPlS6_EEENSJ_IJSD_SD_EEES6_SK_JS6_EEE10hipError_tPvRmT3_T4_T5_T6_T7_T9_mT8_P12ihipStream_tbDpT10_ENKUlT_T0_E_clISt17integral_constantIbLb0EES16_EEDaS11_S12_EUlS11_E_NS1_11comp_targetILNS1_3genE10ELNS1_11target_archE1200ELNS1_3gpuE4ELNS1_3repE0EEENS1_30default_config_static_selectorELNS0_4arch9wavefront6targetE1EEEvT1_.num_named_barrier, 0
	.set _ZN7rocprim17ROCPRIM_400000_NS6detail17trampoline_kernelINS0_14default_configENS1_25partition_config_selectorILNS1_17partition_subalgoE5ElNS0_10empty_typeEbEEZZNS1_14partition_implILS5_5ELb0ES3_mN6hipcub16HIPCUB_304000_NS21CountingInputIteratorIllEEPS6_NSA_22TransformInputIteratorIb7NonZeroIaEPalEENS0_5tupleIJPlS6_EEENSJ_IJSD_SD_EEES6_SK_JS6_EEE10hipError_tPvRmT3_T4_T5_T6_T7_T9_mT8_P12ihipStream_tbDpT10_ENKUlT_T0_E_clISt17integral_constantIbLb0EES16_EEDaS11_S12_EUlS11_E_NS1_11comp_targetILNS1_3genE10ELNS1_11target_archE1200ELNS1_3gpuE4ELNS1_3repE0EEENS1_30default_config_static_selectorELNS0_4arch9wavefront6targetE1EEEvT1_.private_seg_size, 0
	.set _ZN7rocprim17ROCPRIM_400000_NS6detail17trampoline_kernelINS0_14default_configENS1_25partition_config_selectorILNS1_17partition_subalgoE5ElNS0_10empty_typeEbEEZZNS1_14partition_implILS5_5ELb0ES3_mN6hipcub16HIPCUB_304000_NS21CountingInputIteratorIllEEPS6_NSA_22TransformInputIteratorIb7NonZeroIaEPalEENS0_5tupleIJPlS6_EEENSJ_IJSD_SD_EEES6_SK_JS6_EEE10hipError_tPvRmT3_T4_T5_T6_T7_T9_mT8_P12ihipStream_tbDpT10_ENKUlT_T0_E_clISt17integral_constantIbLb0EES16_EEDaS11_S12_EUlS11_E_NS1_11comp_targetILNS1_3genE10ELNS1_11target_archE1200ELNS1_3gpuE4ELNS1_3repE0EEENS1_30default_config_static_selectorELNS0_4arch9wavefront6targetE1EEEvT1_.uses_vcc, 0
	.set _ZN7rocprim17ROCPRIM_400000_NS6detail17trampoline_kernelINS0_14default_configENS1_25partition_config_selectorILNS1_17partition_subalgoE5ElNS0_10empty_typeEbEEZZNS1_14partition_implILS5_5ELb0ES3_mN6hipcub16HIPCUB_304000_NS21CountingInputIteratorIllEEPS6_NSA_22TransformInputIteratorIb7NonZeroIaEPalEENS0_5tupleIJPlS6_EEENSJ_IJSD_SD_EEES6_SK_JS6_EEE10hipError_tPvRmT3_T4_T5_T6_T7_T9_mT8_P12ihipStream_tbDpT10_ENKUlT_T0_E_clISt17integral_constantIbLb0EES16_EEDaS11_S12_EUlS11_E_NS1_11comp_targetILNS1_3genE10ELNS1_11target_archE1200ELNS1_3gpuE4ELNS1_3repE0EEENS1_30default_config_static_selectorELNS0_4arch9wavefront6targetE1EEEvT1_.uses_flat_scratch, 0
	.set _ZN7rocprim17ROCPRIM_400000_NS6detail17trampoline_kernelINS0_14default_configENS1_25partition_config_selectorILNS1_17partition_subalgoE5ElNS0_10empty_typeEbEEZZNS1_14partition_implILS5_5ELb0ES3_mN6hipcub16HIPCUB_304000_NS21CountingInputIteratorIllEEPS6_NSA_22TransformInputIteratorIb7NonZeroIaEPalEENS0_5tupleIJPlS6_EEENSJ_IJSD_SD_EEES6_SK_JS6_EEE10hipError_tPvRmT3_T4_T5_T6_T7_T9_mT8_P12ihipStream_tbDpT10_ENKUlT_T0_E_clISt17integral_constantIbLb0EES16_EEDaS11_S12_EUlS11_E_NS1_11comp_targetILNS1_3genE10ELNS1_11target_archE1200ELNS1_3gpuE4ELNS1_3repE0EEENS1_30default_config_static_selectorELNS0_4arch9wavefront6targetE1EEEvT1_.has_dyn_sized_stack, 0
	.set _ZN7rocprim17ROCPRIM_400000_NS6detail17trampoline_kernelINS0_14default_configENS1_25partition_config_selectorILNS1_17partition_subalgoE5ElNS0_10empty_typeEbEEZZNS1_14partition_implILS5_5ELb0ES3_mN6hipcub16HIPCUB_304000_NS21CountingInputIteratorIllEEPS6_NSA_22TransformInputIteratorIb7NonZeroIaEPalEENS0_5tupleIJPlS6_EEENSJ_IJSD_SD_EEES6_SK_JS6_EEE10hipError_tPvRmT3_T4_T5_T6_T7_T9_mT8_P12ihipStream_tbDpT10_ENKUlT_T0_E_clISt17integral_constantIbLb0EES16_EEDaS11_S12_EUlS11_E_NS1_11comp_targetILNS1_3genE10ELNS1_11target_archE1200ELNS1_3gpuE4ELNS1_3repE0EEENS1_30default_config_static_selectorELNS0_4arch9wavefront6targetE1EEEvT1_.has_recursion, 0
	.set _ZN7rocprim17ROCPRIM_400000_NS6detail17trampoline_kernelINS0_14default_configENS1_25partition_config_selectorILNS1_17partition_subalgoE5ElNS0_10empty_typeEbEEZZNS1_14partition_implILS5_5ELb0ES3_mN6hipcub16HIPCUB_304000_NS21CountingInputIteratorIllEEPS6_NSA_22TransformInputIteratorIb7NonZeroIaEPalEENS0_5tupleIJPlS6_EEENSJ_IJSD_SD_EEES6_SK_JS6_EEE10hipError_tPvRmT3_T4_T5_T6_T7_T9_mT8_P12ihipStream_tbDpT10_ENKUlT_T0_E_clISt17integral_constantIbLb0EES16_EEDaS11_S12_EUlS11_E_NS1_11comp_targetILNS1_3genE10ELNS1_11target_archE1200ELNS1_3gpuE4ELNS1_3repE0EEENS1_30default_config_static_selectorELNS0_4arch9wavefront6targetE1EEEvT1_.has_indirect_call, 0
	.section	.AMDGPU.csdata,"",@progbits
; Kernel info:
; codeLenInByte = 0
; TotalNumSgprs: 6
; NumVgprs: 0
; NumAgprs: 0
; TotalNumVgprs: 0
; ScratchSize: 0
; MemoryBound: 0
; FloatMode: 240
; IeeeMode: 1
; LDSByteSize: 0 bytes/workgroup (compile time only)
; SGPRBlocks: 0
; VGPRBlocks: 0
; NumSGPRsForWavesPerEU: 6
; NumVGPRsForWavesPerEU: 1
; AccumOffset: 4
; Occupancy: 8
; WaveLimiterHint : 0
; COMPUTE_PGM_RSRC2:SCRATCH_EN: 0
; COMPUTE_PGM_RSRC2:USER_SGPR: 2
; COMPUTE_PGM_RSRC2:TRAP_HANDLER: 0
; COMPUTE_PGM_RSRC2:TGID_X_EN: 1
; COMPUTE_PGM_RSRC2:TGID_Y_EN: 0
; COMPUTE_PGM_RSRC2:TGID_Z_EN: 0
; COMPUTE_PGM_RSRC2:TIDIG_COMP_CNT: 0
; COMPUTE_PGM_RSRC3_GFX90A:ACCUM_OFFSET: 0
; COMPUTE_PGM_RSRC3_GFX90A:TG_SPLIT: 0
	.section	.text._ZN7rocprim17ROCPRIM_400000_NS6detail17trampoline_kernelINS0_14default_configENS1_25partition_config_selectorILNS1_17partition_subalgoE5ElNS0_10empty_typeEbEEZZNS1_14partition_implILS5_5ELb0ES3_mN6hipcub16HIPCUB_304000_NS21CountingInputIteratorIllEEPS6_NSA_22TransformInputIteratorIb7NonZeroIaEPalEENS0_5tupleIJPlS6_EEENSJ_IJSD_SD_EEES6_SK_JS6_EEE10hipError_tPvRmT3_T4_T5_T6_T7_T9_mT8_P12ihipStream_tbDpT10_ENKUlT_T0_E_clISt17integral_constantIbLb0EES16_EEDaS11_S12_EUlS11_E_NS1_11comp_targetILNS1_3genE9ELNS1_11target_archE1100ELNS1_3gpuE3ELNS1_3repE0EEENS1_30default_config_static_selectorELNS0_4arch9wavefront6targetE1EEEvT1_,"axG",@progbits,_ZN7rocprim17ROCPRIM_400000_NS6detail17trampoline_kernelINS0_14default_configENS1_25partition_config_selectorILNS1_17partition_subalgoE5ElNS0_10empty_typeEbEEZZNS1_14partition_implILS5_5ELb0ES3_mN6hipcub16HIPCUB_304000_NS21CountingInputIteratorIllEEPS6_NSA_22TransformInputIteratorIb7NonZeroIaEPalEENS0_5tupleIJPlS6_EEENSJ_IJSD_SD_EEES6_SK_JS6_EEE10hipError_tPvRmT3_T4_T5_T6_T7_T9_mT8_P12ihipStream_tbDpT10_ENKUlT_T0_E_clISt17integral_constantIbLb0EES16_EEDaS11_S12_EUlS11_E_NS1_11comp_targetILNS1_3genE9ELNS1_11target_archE1100ELNS1_3gpuE3ELNS1_3repE0EEENS1_30default_config_static_selectorELNS0_4arch9wavefront6targetE1EEEvT1_,comdat
	.protected	_ZN7rocprim17ROCPRIM_400000_NS6detail17trampoline_kernelINS0_14default_configENS1_25partition_config_selectorILNS1_17partition_subalgoE5ElNS0_10empty_typeEbEEZZNS1_14partition_implILS5_5ELb0ES3_mN6hipcub16HIPCUB_304000_NS21CountingInputIteratorIllEEPS6_NSA_22TransformInputIteratorIb7NonZeroIaEPalEENS0_5tupleIJPlS6_EEENSJ_IJSD_SD_EEES6_SK_JS6_EEE10hipError_tPvRmT3_T4_T5_T6_T7_T9_mT8_P12ihipStream_tbDpT10_ENKUlT_T0_E_clISt17integral_constantIbLb0EES16_EEDaS11_S12_EUlS11_E_NS1_11comp_targetILNS1_3genE9ELNS1_11target_archE1100ELNS1_3gpuE3ELNS1_3repE0EEENS1_30default_config_static_selectorELNS0_4arch9wavefront6targetE1EEEvT1_ ; -- Begin function _ZN7rocprim17ROCPRIM_400000_NS6detail17trampoline_kernelINS0_14default_configENS1_25partition_config_selectorILNS1_17partition_subalgoE5ElNS0_10empty_typeEbEEZZNS1_14partition_implILS5_5ELb0ES3_mN6hipcub16HIPCUB_304000_NS21CountingInputIteratorIllEEPS6_NSA_22TransformInputIteratorIb7NonZeroIaEPalEENS0_5tupleIJPlS6_EEENSJ_IJSD_SD_EEES6_SK_JS6_EEE10hipError_tPvRmT3_T4_T5_T6_T7_T9_mT8_P12ihipStream_tbDpT10_ENKUlT_T0_E_clISt17integral_constantIbLb0EES16_EEDaS11_S12_EUlS11_E_NS1_11comp_targetILNS1_3genE9ELNS1_11target_archE1100ELNS1_3gpuE3ELNS1_3repE0EEENS1_30default_config_static_selectorELNS0_4arch9wavefront6targetE1EEEvT1_
	.globl	_ZN7rocprim17ROCPRIM_400000_NS6detail17trampoline_kernelINS0_14default_configENS1_25partition_config_selectorILNS1_17partition_subalgoE5ElNS0_10empty_typeEbEEZZNS1_14partition_implILS5_5ELb0ES3_mN6hipcub16HIPCUB_304000_NS21CountingInputIteratorIllEEPS6_NSA_22TransformInputIteratorIb7NonZeroIaEPalEENS0_5tupleIJPlS6_EEENSJ_IJSD_SD_EEES6_SK_JS6_EEE10hipError_tPvRmT3_T4_T5_T6_T7_T9_mT8_P12ihipStream_tbDpT10_ENKUlT_T0_E_clISt17integral_constantIbLb0EES16_EEDaS11_S12_EUlS11_E_NS1_11comp_targetILNS1_3genE9ELNS1_11target_archE1100ELNS1_3gpuE3ELNS1_3repE0EEENS1_30default_config_static_selectorELNS0_4arch9wavefront6targetE1EEEvT1_
	.p2align	8
	.type	_ZN7rocprim17ROCPRIM_400000_NS6detail17trampoline_kernelINS0_14default_configENS1_25partition_config_selectorILNS1_17partition_subalgoE5ElNS0_10empty_typeEbEEZZNS1_14partition_implILS5_5ELb0ES3_mN6hipcub16HIPCUB_304000_NS21CountingInputIteratorIllEEPS6_NSA_22TransformInputIteratorIb7NonZeroIaEPalEENS0_5tupleIJPlS6_EEENSJ_IJSD_SD_EEES6_SK_JS6_EEE10hipError_tPvRmT3_T4_T5_T6_T7_T9_mT8_P12ihipStream_tbDpT10_ENKUlT_T0_E_clISt17integral_constantIbLb0EES16_EEDaS11_S12_EUlS11_E_NS1_11comp_targetILNS1_3genE9ELNS1_11target_archE1100ELNS1_3gpuE3ELNS1_3repE0EEENS1_30default_config_static_selectorELNS0_4arch9wavefront6targetE1EEEvT1_,@function
_ZN7rocprim17ROCPRIM_400000_NS6detail17trampoline_kernelINS0_14default_configENS1_25partition_config_selectorILNS1_17partition_subalgoE5ElNS0_10empty_typeEbEEZZNS1_14partition_implILS5_5ELb0ES3_mN6hipcub16HIPCUB_304000_NS21CountingInputIteratorIllEEPS6_NSA_22TransformInputIteratorIb7NonZeroIaEPalEENS0_5tupleIJPlS6_EEENSJ_IJSD_SD_EEES6_SK_JS6_EEE10hipError_tPvRmT3_T4_T5_T6_T7_T9_mT8_P12ihipStream_tbDpT10_ENKUlT_T0_E_clISt17integral_constantIbLb0EES16_EEDaS11_S12_EUlS11_E_NS1_11comp_targetILNS1_3genE9ELNS1_11target_archE1100ELNS1_3gpuE3ELNS1_3repE0EEENS1_30default_config_static_selectorELNS0_4arch9wavefront6targetE1EEEvT1_: ; @_ZN7rocprim17ROCPRIM_400000_NS6detail17trampoline_kernelINS0_14default_configENS1_25partition_config_selectorILNS1_17partition_subalgoE5ElNS0_10empty_typeEbEEZZNS1_14partition_implILS5_5ELb0ES3_mN6hipcub16HIPCUB_304000_NS21CountingInputIteratorIllEEPS6_NSA_22TransformInputIteratorIb7NonZeroIaEPalEENS0_5tupleIJPlS6_EEENSJ_IJSD_SD_EEES6_SK_JS6_EEE10hipError_tPvRmT3_T4_T5_T6_T7_T9_mT8_P12ihipStream_tbDpT10_ENKUlT_T0_E_clISt17integral_constantIbLb0EES16_EEDaS11_S12_EUlS11_E_NS1_11comp_targetILNS1_3genE9ELNS1_11target_archE1100ELNS1_3gpuE3ELNS1_3repE0EEENS1_30default_config_static_selectorELNS0_4arch9wavefront6targetE1EEEvT1_
; %bb.0:
	.section	.rodata,"a",@progbits
	.p2align	6, 0x0
	.amdhsa_kernel _ZN7rocprim17ROCPRIM_400000_NS6detail17trampoline_kernelINS0_14default_configENS1_25partition_config_selectorILNS1_17partition_subalgoE5ElNS0_10empty_typeEbEEZZNS1_14partition_implILS5_5ELb0ES3_mN6hipcub16HIPCUB_304000_NS21CountingInputIteratorIllEEPS6_NSA_22TransformInputIteratorIb7NonZeroIaEPalEENS0_5tupleIJPlS6_EEENSJ_IJSD_SD_EEES6_SK_JS6_EEE10hipError_tPvRmT3_T4_T5_T6_T7_T9_mT8_P12ihipStream_tbDpT10_ENKUlT_T0_E_clISt17integral_constantIbLb0EES16_EEDaS11_S12_EUlS11_E_NS1_11comp_targetILNS1_3genE9ELNS1_11target_archE1100ELNS1_3gpuE3ELNS1_3repE0EEENS1_30default_config_static_selectorELNS0_4arch9wavefront6targetE1EEEvT1_
		.amdhsa_group_segment_fixed_size 0
		.amdhsa_private_segment_fixed_size 0
		.amdhsa_kernarg_size 120
		.amdhsa_user_sgpr_count 2
		.amdhsa_user_sgpr_dispatch_ptr 0
		.amdhsa_user_sgpr_queue_ptr 0
		.amdhsa_user_sgpr_kernarg_segment_ptr 1
		.amdhsa_user_sgpr_dispatch_id 0
		.amdhsa_user_sgpr_kernarg_preload_length 0
		.amdhsa_user_sgpr_kernarg_preload_offset 0
		.amdhsa_user_sgpr_private_segment_size 0
		.amdhsa_uses_dynamic_stack 0
		.amdhsa_enable_private_segment 0
		.amdhsa_system_sgpr_workgroup_id_x 1
		.amdhsa_system_sgpr_workgroup_id_y 0
		.amdhsa_system_sgpr_workgroup_id_z 0
		.amdhsa_system_sgpr_workgroup_info 0
		.amdhsa_system_vgpr_workitem_id 0
		.amdhsa_next_free_vgpr 1
		.amdhsa_next_free_sgpr 0
		.amdhsa_accum_offset 4
		.amdhsa_reserve_vcc 0
		.amdhsa_float_round_mode_32 0
		.amdhsa_float_round_mode_16_64 0
		.amdhsa_float_denorm_mode_32 3
		.amdhsa_float_denorm_mode_16_64 3
		.amdhsa_dx10_clamp 1
		.amdhsa_ieee_mode 1
		.amdhsa_fp16_overflow 0
		.amdhsa_tg_split 0
		.amdhsa_exception_fp_ieee_invalid_op 0
		.amdhsa_exception_fp_denorm_src 0
		.amdhsa_exception_fp_ieee_div_zero 0
		.amdhsa_exception_fp_ieee_overflow 0
		.amdhsa_exception_fp_ieee_underflow 0
		.amdhsa_exception_fp_ieee_inexact 0
		.amdhsa_exception_int_div_zero 0
	.end_amdhsa_kernel
	.section	.text._ZN7rocprim17ROCPRIM_400000_NS6detail17trampoline_kernelINS0_14default_configENS1_25partition_config_selectorILNS1_17partition_subalgoE5ElNS0_10empty_typeEbEEZZNS1_14partition_implILS5_5ELb0ES3_mN6hipcub16HIPCUB_304000_NS21CountingInputIteratorIllEEPS6_NSA_22TransformInputIteratorIb7NonZeroIaEPalEENS0_5tupleIJPlS6_EEENSJ_IJSD_SD_EEES6_SK_JS6_EEE10hipError_tPvRmT3_T4_T5_T6_T7_T9_mT8_P12ihipStream_tbDpT10_ENKUlT_T0_E_clISt17integral_constantIbLb0EES16_EEDaS11_S12_EUlS11_E_NS1_11comp_targetILNS1_3genE9ELNS1_11target_archE1100ELNS1_3gpuE3ELNS1_3repE0EEENS1_30default_config_static_selectorELNS0_4arch9wavefront6targetE1EEEvT1_,"axG",@progbits,_ZN7rocprim17ROCPRIM_400000_NS6detail17trampoline_kernelINS0_14default_configENS1_25partition_config_selectorILNS1_17partition_subalgoE5ElNS0_10empty_typeEbEEZZNS1_14partition_implILS5_5ELb0ES3_mN6hipcub16HIPCUB_304000_NS21CountingInputIteratorIllEEPS6_NSA_22TransformInputIteratorIb7NonZeroIaEPalEENS0_5tupleIJPlS6_EEENSJ_IJSD_SD_EEES6_SK_JS6_EEE10hipError_tPvRmT3_T4_T5_T6_T7_T9_mT8_P12ihipStream_tbDpT10_ENKUlT_T0_E_clISt17integral_constantIbLb0EES16_EEDaS11_S12_EUlS11_E_NS1_11comp_targetILNS1_3genE9ELNS1_11target_archE1100ELNS1_3gpuE3ELNS1_3repE0EEENS1_30default_config_static_selectorELNS0_4arch9wavefront6targetE1EEEvT1_,comdat
.Lfunc_end43:
	.size	_ZN7rocprim17ROCPRIM_400000_NS6detail17trampoline_kernelINS0_14default_configENS1_25partition_config_selectorILNS1_17partition_subalgoE5ElNS0_10empty_typeEbEEZZNS1_14partition_implILS5_5ELb0ES3_mN6hipcub16HIPCUB_304000_NS21CountingInputIteratorIllEEPS6_NSA_22TransformInputIteratorIb7NonZeroIaEPalEENS0_5tupleIJPlS6_EEENSJ_IJSD_SD_EEES6_SK_JS6_EEE10hipError_tPvRmT3_T4_T5_T6_T7_T9_mT8_P12ihipStream_tbDpT10_ENKUlT_T0_E_clISt17integral_constantIbLb0EES16_EEDaS11_S12_EUlS11_E_NS1_11comp_targetILNS1_3genE9ELNS1_11target_archE1100ELNS1_3gpuE3ELNS1_3repE0EEENS1_30default_config_static_selectorELNS0_4arch9wavefront6targetE1EEEvT1_, .Lfunc_end43-_ZN7rocprim17ROCPRIM_400000_NS6detail17trampoline_kernelINS0_14default_configENS1_25partition_config_selectorILNS1_17partition_subalgoE5ElNS0_10empty_typeEbEEZZNS1_14partition_implILS5_5ELb0ES3_mN6hipcub16HIPCUB_304000_NS21CountingInputIteratorIllEEPS6_NSA_22TransformInputIteratorIb7NonZeroIaEPalEENS0_5tupleIJPlS6_EEENSJ_IJSD_SD_EEES6_SK_JS6_EEE10hipError_tPvRmT3_T4_T5_T6_T7_T9_mT8_P12ihipStream_tbDpT10_ENKUlT_T0_E_clISt17integral_constantIbLb0EES16_EEDaS11_S12_EUlS11_E_NS1_11comp_targetILNS1_3genE9ELNS1_11target_archE1100ELNS1_3gpuE3ELNS1_3repE0EEENS1_30default_config_static_selectorELNS0_4arch9wavefront6targetE1EEEvT1_
                                        ; -- End function
	.set _ZN7rocprim17ROCPRIM_400000_NS6detail17trampoline_kernelINS0_14default_configENS1_25partition_config_selectorILNS1_17partition_subalgoE5ElNS0_10empty_typeEbEEZZNS1_14partition_implILS5_5ELb0ES3_mN6hipcub16HIPCUB_304000_NS21CountingInputIteratorIllEEPS6_NSA_22TransformInputIteratorIb7NonZeroIaEPalEENS0_5tupleIJPlS6_EEENSJ_IJSD_SD_EEES6_SK_JS6_EEE10hipError_tPvRmT3_T4_T5_T6_T7_T9_mT8_P12ihipStream_tbDpT10_ENKUlT_T0_E_clISt17integral_constantIbLb0EES16_EEDaS11_S12_EUlS11_E_NS1_11comp_targetILNS1_3genE9ELNS1_11target_archE1100ELNS1_3gpuE3ELNS1_3repE0EEENS1_30default_config_static_selectorELNS0_4arch9wavefront6targetE1EEEvT1_.num_vgpr, 0
	.set _ZN7rocprim17ROCPRIM_400000_NS6detail17trampoline_kernelINS0_14default_configENS1_25partition_config_selectorILNS1_17partition_subalgoE5ElNS0_10empty_typeEbEEZZNS1_14partition_implILS5_5ELb0ES3_mN6hipcub16HIPCUB_304000_NS21CountingInputIteratorIllEEPS6_NSA_22TransformInputIteratorIb7NonZeroIaEPalEENS0_5tupleIJPlS6_EEENSJ_IJSD_SD_EEES6_SK_JS6_EEE10hipError_tPvRmT3_T4_T5_T6_T7_T9_mT8_P12ihipStream_tbDpT10_ENKUlT_T0_E_clISt17integral_constantIbLb0EES16_EEDaS11_S12_EUlS11_E_NS1_11comp_targetILNS1_3genE9ELNS1_11target_archE1100ELNS1_3gpuE3ELNS1_3repE0EEENS1_30default_config_static_selectorELNS0_4arch9wavefront6targetE1EEEvT1_.num_agpr, 0
	.set _ZN7rocprim17ROCPRIM_400000_NS6detail17trampoline_kernelINS0_14default_configENS1_25partition_config_selectorILNS1_17partition_subalgoE5ElNS0_10empty_typeEbEEZZNS1_14partition_implILS5_5ELb0ES3_mN6hipcub16HIPCUB_304000_NS21CountingInputIteratorIllEEPS6_NSA_22TransformInputIteratorIb7NonZeroIaEPalEENS0_5tupleIJPlS6_EEENSJ_IJSD_SD_EEES6_SK_JS6_EEE10hipError_tPvRmT3_T4_T5_T6_T7_T9_mT8_P12ihipStream_tbDpT10_ENKUlT_T0_E_clISt17integral_constantIbLb0EES16_EEDaS11_S12_EUlS11_E_NS1_11comp_targetILNS1_3genE9ELNS1_11target_archE1100ELNS1_3gpuE3ELNS1_3repE0EEENS1_30default_config_static_selectorELNS0_4arch9wavefront6targetE1EEEvT1_.numbered_sgpr, 0
	.set _ZN7rocprim17ROCPRIM_400000_NS6detail17trampoline_kernelINS0_14default_configENS1_25partition_config_selectorILNS1_17partition_subalgoE5ElNS0_10empty_typeEbEEZZNS1_14partition_implILS5_5ELb0ES3_mN6hipcub16HIPCUB_304000_NS21CountingInputIteratorIllEEPS6_NSA_22TransformInputIteratorIb7NonZeroIaEPalEENS0_5tupleIJPlS6_EEENSJ_IJSD_SD_EEES6_SK_JS6_EEE10hipError_tPvRmT3_T4_T5_T6_T7_T9_mT8_P12ihipStream_tbDpT10_ENKUlT_T0_E_clISt17integral_constantIbLb0EES16_EEDaS11_S12_EUlS11_E_NS1_11comp_targetILNS1_3genE9ELNS1_11target_archE1100ELNS1_3gpuE3ELNS1_3repE0EEENS1_30default_config_static_selectorELNS0_4arch9wavefront6targetE1EEEvT1_.num_named_barrier, 0
	.set _ZN7rocprim17ROCPRIM_400000_NS6detail17trampoline_kernelINS0_14default_configENS1_25partition_config_selectorILNS1_17partition_subalgoE5ElNS0_10empty_typeEbEEZZNS1_14partition_implILS5_5ELb0ES3_mN6hipcub16HIPCUB_304000_NS21CountingInputIteratorIllEEPS6_NSA_22TransformInputIteratorIb7NonZeroIaEPalEENS0_5tupleIJPlS6_EEENSJ_IJSD_SD_EEES6_SK_JS6_EEE10hipError_tPvRmT3_T4_T5_T6_T7_T9_mT8_P12ihipStream_tbDpT10_ENKUlT_T0_E_clISt17integral_constantIbLb0EES16_EEDaS11_S12_EUlS11_E_NS1_11comp_targetILNS1_3genE9ELNS1_11target_archE1100ELNS1_3gpuE3ELNS1_3repE0EEENS1_30default_config_static_selectorELNS0_4arch9wavefront6targetE1EEEvT1_.private_seg_size, 0
	.set _ZN7rocprim17ROCPRIM_400000_NS6detail17trampoline_kernelINS0_14default_configENS1_25partition_config_selectorILNS1_17partition_subalgoE5ElNS0_10empty_typeEbEEZZNS1_14partition_implILS5_5ELb0ES3_mN6hipcub16HIPCUB_304000_NS21CountingInputIteratorIllEEPS6_NSA_22TransformInputIteratorIb7NonZeroIaEPalEENS0_5tupleIJPlS6_EEENSJ_IJSD_SD_EEES6_SK_JS6_EEE10hipError_tPvRmT3_T4_T5_T6_T7_T9_mT8_P12ihipStream_tbDpT10_ENKUlT_T0_E_clISt17integral_constantIbLb0EES16_EEDaS11_S12_EUlS11_E_NS1_11comp_targetILNS1_3genE9ELNS1_11target_archE1100ELNS1_3gpuE3ELNS1_3repE0EEENS1_30default_config_static_selectorELNS0_4arch9wavefront6targetE1EEEvT1_.uses_vcc, 0
	.set _ZN7rocprim17ROCPRIM_400000_NS6detail17trampoline_kernelINS0_14default_configENS1_25partition_config_selectorILNS1_17partition_subalgoE5ElNS0_10empty_typeEbEEZZNS1_14partition_implILS5_5ELb0ES3_mN6hipcub16HIPCUB_304000_NS21CountingInputIteratorIllEEPS6_NSA_22TransformInputIteratorIb7NonZeroIaEPalEENS0_5tupleIJPlS6_EEENSJ_IJSD_SD_EEES6_SK_JS6_EEE10hipError_tPvRmT3_T4_T5_T6_T7_T9_mT8_P12ihipStream_tbDpT10_ENKUlT_T0_E_clISt17integral_constantIbLb0EES16_EEDaS11_S12_EUlS11_E_NS1_11comp_targetILNS1_3genE9ELNS1_11target_archE1100ELNS1_3gpuE3ELNS1_3repE0EEENS1_30default_config_static_selectorELNS0_4arch9wavefront6targetE1EEEvT1_.uses_flat_scratch, 0
	.set _ZN7rocprim17ROCPRIM_400000_NS6detail17trampoline_kernelINS0_14default_configENS1_25partition_config_selectorILNS1_17partition_subalgoE5ElNS0_10empty_typeEbEEZZNS1_14partition_implILS5_5ELb0ES3_mN6hipcub16HIPCUB_304000_NS21CountingInputIteratorIllEEPS6_NSA_22TransformInputIteratorIb7NonZeroIaEPalEENS0_5tupleIJPlS6_EEENSJ_IJSD_SD_EEES6_SK_JS6_EEE10hipError_tPvRmT3_T4_T5_T6_T7_T9_mT8_P12ihipStream_tbDpT10_ENKUlT_T0_E_clISt17integral_constantIbLb0EES16_EEDaS11_S12_EUlS11_E_NS1_11comp_targetILNS1_3genE9ELNS1_11target_archE1100ELNS1_3gpuE3ELNS1_3repE0EEENS1_30default_config_static_selectorELNS0_4arch9wavefront6targetE1EEEvT1_.has_dyn_sized_stack, 0
	.set _ZN7rocprim17ROCPRIM_400000_NS6detail17trampoline_kernelINS0_14default_configENS1_25partition_config_selectorILNS1_17partition_subalgoE5ElNS0_10empty_typeEbEEZZNS1_14partition_implILS5_5ELb0ES3_mN6hipcub16HIPCUB_304000_NS21CountingInputIteratorIllEEPS6_NSA_22TransformInputIteratorIb7NonZeroIaEPalEENS0_5tupleIJPlS6_EEENSJ_IJSD_SD_EEES6_SK_JS6_EEE10hipError_tPvRmT3_T4_T5_T6_T7_T9_mT8_P12ihipStream_tbDpT10_ENKUlT_T0_E_clISt17integral_constantIbLb0EES16_EEDaS11_S12_EUlS11_E_NS1_11comp_targetILNS1_3genE9ELNS1_11target_archE1100ELNS1_3gpuE3ELNS1_3repE0EEENS1_30default_config_static_selectorELNS0_4arch9wavefront6targetE1EEEvT1_.has_recursion, 0
	.set _ZN7rocprim17ROCPRIM_400000_NS6detail17trampoline_kernelINS0_14default_configENS1_25partition_config_selectorILNS1_17partition_subalgoE5ElNS0_10empty_typeEbEEZZNS1_14partition_implILS5_5ELb0ES3_mN6hipcub16HIPCUB_304000_NS21CountingInputIteratorIllEEPS6_NSA_22TransformInputIteratorIb7NonZeroIaEPalEENS0_5tupleIJPlS6_EEENSJ_IJSD_SD_EEES6_SK_JS6_EEE10hipError_tPvRmT3_T4_T5_T6_T7_T9_mT8_P12ihipStream_tbDpT10_ENKUlT_T0_E_clISt17integral_constantIbLb0EES16_EEDaS11_S12_EUlS11_E_NS1_11comp_targetILNS1_3genE9ELNS1_11target_archE1100ELNS1_3gpuE3ELNS1_3repE0EEENS1_30default_config_static_selectorELNS0_4arch9wavefront6targetE1EEEvT1_.has_indirect_call, 0
	.section	.AMDGPU.csdata,"",@progbits
; Kernel info:
; codeLenInByte = 0
; TotalNumSgprs: 6
; NumVgprs: 0
; NumAgprs: 0
; TotalNumVgprs: 0
; ScratchSize: 0
; MemoryBound: 0
; FloatMode: 240
; IeeeMode: 1
; LDSByteSize: 0 bytes/workgroup (compile time only)
; SGPRBlocks: 0
; VGPRBlocks: 0
; NumSGPRsForWavesPerEU: 6
; NumVGPRsForWavesPerEU: 1
; AccumOffset: 4
; Occupancy: 8
; WaveLimiterHint : 0
; COMPUTE_PGM_RSRC2:SCRATCH_EN: 0
; COMPUTE_PGM_RSRC2:USER_SGPR: 2
; COMPUTE_PGM_RSRC2:TRAP_HANDLER: 0
; COMPUTE_PGM_RSRC2:TGID_X_EN: 1
; COMPUTE_PGM_RSRC2:TGID_Y_EN: 0
; COMPUTE_PGM_RSRC2:TGID_Z_EN: 0
; COMPUTE_PGM_RSRC2:TIDIG_COMP_CNT: 0
; COMPUTE_PGM_RSRC3_GFX90A:ACCUM_OFFSET: 0
; COMPUTE_PGM_RSRC3_GFX90A:TG_SPLIT: 0
	.section	.text._ZN7rocprim17ROCPRIM_400000_NS6detail17trampoline_kernelINS0_14default_configENS1_25partition_config_selectorILNS1_17partition_subalgoE5ElNS0_10empty_typeEbEEZZNS1_14partition_implILS5_5ELb0ES3_mN6hipcub16HIPCUB_304000_NS21CountingInputIteratorIllEEPS6_NSA_22TransformInputIteratorIb7NonZeroIaEPalEENS0_5tupleIJPlS6_EEENSJ_IJSD_SD_EEES6_SK_JS6_EEE10hipError_tPvRmT3_T4_T5_T6_T7_T9_mT8_P12ihipStream_tbDpT10_ENKUlT_T0_E_clISt17integral_constantIbLb0EES16_EEDaS11_S12_EUlS11_E_NS1_11comp_targetILNS1_3genE8ELNS1_11target_archE1030ELNS1_3gpuE2ELNS1_3repE0EEENS1_30default_config_static_selectorELNS0_4arch9wavefront6targetE1EEEvT1_,"axG",@progbits,_ZN7rocprim17ROCPRIM_400000_NS6detail17trampoline_kernelINS0_14default_configENS1_25partition_config_selectorILNS1_17partition_subalgoE5ElNS0_10empty_typeEbEEZZNS1_14partition_implILS5_5ELb0ES3_mN6hipcub16HIPCUB_304000_NS21CountingInputIteratorIllEEPS6_NSA_22TransformInputIteratorIb7NonZeroIaEPalEENS0_5tupleIJPlS6_EEENSJ_IJSD_SD_EEES6_SK_JS6_EEE10hipError_tPvRmT3_T4_T5_T6_T7_T9_mT8_P12ihipStream_tbDpT10_ENKUlT_T0_E_clISt17integral_constantIbLb0EES16_EEDaS11_S12_EUlS11_E_NS1_11comp_targetILNS1_3genE8ELNS1_11target_archE1030ELNS1_3gpuE2ELNS1_3repE0EEENS1_30default_config_static_selectorELNS0_4arch9wavefront6targetE1EEEvT1_,comdat
	.protected	_ZN7rocprim17ROCPRIM_400000_NS6detail17trampoline_kernelINS0_14default_configENS1_25partition_config_selectorILNS1_17partition_subalgoE5ElNS0_10empty_typeEbEEZZNS1_14partition_implILS5_5ELb0ES3_mN6hipcub16HIPCUB_304000_NS21CountingInputIteratorIllEEPS6_NSA_22TransformInputIteratorIb7NonZeroIaEPalEENS0_5tupleIJPlS6_EEENSJ_IJSD_SD_EEES6_SK_JS6_EEE10hipError_tPvRmT3_T4_T5_T6_T7_T9_mT8_P12ihipStream_tbDpT10_ENKUlT_T0_E_clISt17integral_constantIbLb0EES16_EEDaS11_S12_EUlS11_E_NS1_11comp_targetILNS1_3genE8ELNS1_11target_archE1030ELNS1_3gpuE2ELNS1_3repE0EEENS1_30default_config_static_selectorELNS0_4arch9wavefront6targetE1EEEvT1_ ; -- Begin function _ZN7rocprim17ROCPRIM_400000_NS6detail17trampoline_kernelINS0_14default_configENS1_25partition_config_selectorILNS1_17partition_subalgoE5ElNS0_10empty_typeEbEEZZNS1_14partition_implILS5_5ELb0ES3_mN6hipcub16HIPCUB_304000_NS21CountingInputIteratorIllEEPS6_NSA_22TransformInputIteratorIb7NonZeroIaEPalEENS0_5tupleIJPlS6_EEENSJ_IJSD_SD_EEES6_SK_JS6_EEE10hipError_tPvRmT3_T4_T5_T6_T7_T9_mT8_P12ihipStream_tbDpT10_ENKUlT_T0_E_clISt17integral_constantIbLb0EES16_EEDaS11_S12_EUlS11_E_NS1_11comp_targetILNS1_3genE8ELNS1_11target_archE1030ELNS1_3gpuE2ELNS1_3repE0EEENS1_30default_config_static_selectorELNS0_4arch9wavefront6targetE1EEEvT1_
	.globl	_ZN7rocprim17ROCPRIM_400000_NS6detail17trampoline_kernelINS0_14default_configENS1_25partition_config_selectorILNS1_17partition_subalgoE5ElNS0_10empty_typeEbEEZZNS1_14partition_implILS5_5ELb0ES3_mN6hipcub16HIPCUB_304000_NS21CountingInputIteratorIllEEPS6_NSA_22TransformInputIteratorIb7NonZeroIaEPalEENS0_5tupleIJPlS6_EEENSJ_IJSD_SD_EEES6_SK_JS6_EEE10hipError_tPvRmT3_T4_T5_T6_T7_T9_mT8_P12ihipStream_tbDpT10_ENKUlT_T0_E_clISt17integral_constantIbLb0EES16_EEDaS11_S12_EUlS11_E_NS1_11comp_targetILNS1_3genE8ELNS1_11target_archE1030ELNS1_3gpuE2ELNS1_3repE0EEENS1_30default_config_static_selectorELNS0_4arch9wavefront6targetE1EEEvT1_
	.p2align	8
	.type	_ZN7rocprim17ROCPRIM_400000_NS6detail17trampoline_kernelINS0_14default_configENS1_25partition_config_selectorILNS1_17partition_subalgoE5ElNS0_10empty_typeEbEEZZNS1_14partition_implILS5_5ELb0ES3_mN6hipcub16HIPCUB_304000_NS21CountingInputIteratorIllEEPS6_NSA_22TransformInputIteratorIb7NonZeroIaEPalEENS0_5tupleIJPlS6_EEENSJ_IJSD_SD_EEES6_SK_JS6_EEE10hipError_tPvRmT3_T4_T5_T6_T7_T9_mT8_P12ihipStream_tbDpT10_ENKUlT_T0_E_clISt17integral_constantIbLb0EES16_EEDaS11_S12_EUlS11_E_NS1_11comp_targetILNS1_3genE8ELNS1_11target_archE1030ELNS1_3gpuE2ELNS1_3repE0EEENS1_30default_config_static_selectorELNS0_4arch9wavefront6targetE1EEEvT1_,@function
_ZN7rocprim17ROCPRIM_400000_NS6detail17trampoline_kernelINS0_14default_configENS1_25partition_config_selectorILNS1_17partition_subalgoE5ElNS0_10empty_typeEbEEZZNS1_14partition_implILS5_5ELb0ES3_mN6hipcub16HIPCUB_304000_NS21CountingInputIteratorIllEEPS6_NSA_22TransformInputIteratorIb7NonZeroIaEPalEENS0_5tupleIJPlS6_EEENSJ_IJSD_SD_EEES6_SK_JS6_EEE10hipError_tPvRmT3_T4_T5_T6_T7_T9_mT8_P12ihipStream_tbDpT10_ENKUlT_T0_E_clISt17integral_constantIbLb0EES16_EEDaS11_S12_EUlS11_E_NS1_11comp_targetILNS1_3genE8ELNS1_11target_archE1030ELNS1_3gpuE2ELNS1_3repE0EEENS1_30default_config_static_selectorELNS0_4arch9wavefront6targetE1EEEvT1_: ; @_ZN7rocprim17ROCPRIM_400000_NS6detail17trampoline_kernelINS0_14default_configENS1_25partition_config_selectorILNS1_17partition_subalgoE5ElNS0_10empty_typeEbEEZZNS1_14partition_implILS5_5ELb0ES3_mN6hipcub16HIPCUB_304000_NS21CountingInputIteratorIllEEPS6_NSA_22TransformInputIteratorIb7NonZeroIaEPalEENS0_5tupleIJPlS6_EEENSJ_IJSD_SD_EEES6_SK_JS6_EEE10hipError_tPvRmT3_T4_T5_T6_T7_T9_mT8_P12ihipStream_tbDpT10_ENKUlT_T0_E_clISt17integral_constantIbLb0EES16_EEDaS11_S12_EUlS11_E_NS1_11comp_targetILNS1_3genE8ELNS1_11target_archE1030ELNS1_3gpuE2ELNS1_3repE0EEENS1_30default_config_static_selectorELNS0_4arch9wavefront6targetE1EEEvT1_
; %bb.0:
	.section	.rodata,"a",@progbits
	.p2align	6, 0x0
	.amdhsa_kernel _ZN7rocprim17ROCPRIM_400000_NS6detail17trampoline_kernelINS0_14default_configENS1_25partition_config_selectorILNS1_17partition_subalgoE5ElNS0_10empty_typeEbEEZZNS1_14partition_implILS5_5ELb0ES3_mN6hipcub16HIPCUB_304000_NS21CountingInputIteratorIllEEPS6_NSA_22TransformInputIteratorIb7NonZeroIaEPalEENS0_5tupleIJPlS6_EEENSJ_IJSD_SD_EEES6_SK_JS6_EEE10hipError_tPvRmT3_T4_T5_T6_T7_T9_mT8_P12ihipStream_tbDpT10_ENKUlT_T0_E_clISt17integral_constantIbLb0EES16_EEDaS11_S12_EUlS11_E_NS1_11comp_targetILNS1_3genE8ELNS1_11target_archE1030ELNS1_3gpuE2ELNS1_3repE0EEENS1_30default_config_static_selectorELNS0_4arch9wavefront6targetE1EEEvT1_
		.amdhsa_group_segment_fixed_size 0
		.amdhsa_private_segment_fixed_size 0
		.amdhsa_kernarg_size 120
		.amdhsa_user_sgpr_count 2
		.amdhsa_user_sgpr_dispatch_ptr 0
		.amdhsa_user_sgpr_queue_ptr 0
		.amdhsa_user_sgpr_kernarg_segment_ptr 1
		.amdhsa_user_sgpr_dispatch_id 0
		.amdhsa_user_sgpr_kernarg_preload_length 0
		.amdhsa_user_sgpr_kernarg_preload_offset 0
		.amdhsa_user_sgpr_private_segment_size 0
		.amdhsa_uses_dynamic_stack 0
		.amdhsa_enable_private_segment 0
		.amdhsa_system_sgpr_workgroup_id_x 1
		.amdhsa_system_sgpr_workgroup_id_y 0
		.amdhsa_system_sgpr_workgroup_id_z 0
		.amdhsa_system_sgpr_workgroup_info 0
		.amdhsa_system_vgpr_workitem_id 0
		.amdhsa_next_free_vgpr 1
		.amdhsa_next_free_sgpr 0
		.amdhsa_accum_offset 4
		.amdhsa_reserve_vcc 0
		.amdhsa_float_round_mode_32 0
		.amdhsa_float_round_mode_16_64 0
		.amdhsa_float_denorm_mode_32 3
		.amdhsa_float_denorm_mode_16_64 3
		.amdhsa_dx10_clamp 1
		.amdhsa_ieee_mode 1
		.amdhsa_fp16_overflow 0
		.amdhsa_tg_split 0
		.amdhsa_exception_fp_ieee_invalid_op 0
		.amdhsa_exception_fp_denorm_src 0
		.amdhsa_exception_fp_ieee_div_zero 0
		.amdhsa_exception_fp_ieee_overflow 0
		.amdhsa_exception_fp_ieee_underflow 0
		.amdhsa_exception_fp_ieee_inexact 0
		.amdhsa_exception_int_div_zero 0
	.end_amdhsa_kernel
	.section	.text._ZN7rocprim17ROCPRIM_400000_NS6detail17trampoline_kernelINS0_14default_configENS1_25partition_config_selectorILNS1_17partition_subalgoE5ElNS0_10empty_typeEbEEZZNS1_14partition_implILS5_5ELb0ES3_mN6hipcub16HIPCUB_304000_NS21CountingInputIteratorIllEEPS6_NSA_22TransformInputIteratorIb7NonZeroIaEPalEENS0_5tupleIJPlS6_EEENSJ_IJSD_SD_EEES6_SK_JS6_EEE10hipError_tPvRmT3_T4_T5_T6_T7_T9_mT8_P12ihipStream_tbDpT10_ENKUlT_T0_E_clISt17integral_constantIbLb0EES16_EEDaS11_S12_EUlS11_E_NS1_11comp_targetILNS1_3genE8ELNS1_11target_archE1030ELNS1_3gpuE2ELNS1_3repE0EEENS1_30default_config_static_selectorELNS0_4arch9wavefront6targetE1EEEvT1_,"axG",@progbits,_ZN7rocprim17ROCPRIM_400000_NS6detail17trampoline_kernelINS0_14default_configENS1_25partition_config_selectorILNS1_17partition_subalgoE5ElNS0_10empty_typeEbEEZZNS1_14partition_implILS5_5ELb0ES3_mN6hipcub16HIPCUB_304000_NS21CountingInputIteratorIllEEPS6_NSA_22TransformInputIteratorIb7NonZeroIaEPalEENS0_5tupleIJPlS6_EEENSJ_IJSD_SD_EEES6_SK_JS6_EEE10hipError_tPvRmT3_T4_T5_T6_T7_T9_mT8_P12ihipStream_tbDpT10_ENKUlT_T0_E_clISt17integral_constantIbLb0EES16_EEDaS11_S12_EUlS11_E_NS1_11comp_targetILNS1_3genE8ELNS1_11target_archE1030ELNS1_3gpuE2ELNS1_3repE0EEENS1_30default_config_static_selectorELNS0_4arch9wavefront6targetE1EEEvT1_,comdat
.Lfunc_end44:
	.size	_ZN7rocprim17ROCPRIM_400000_NS6detail17trampoline_kernelINS0_14default_configENS1_25partition_config_selectorILNS1_17partition_subalgoE5ElNS0_10empty_typeEbEEZZNS1_14partition_implILS5_5ELb0ES3_mN6hipcub16HIPCUB_304000_NS21CountingInputIteratorIllEEPS6_NSA_22TransformInputIteratorIb7NonZeroIaEPalEENS0_5tupleIJPlS6_EEENSJ_IJSD_SD_EEES6_SK_JS6_EEE10hipError_tPvRmT3_T4_T5_T6_T7_T9_mT8_P12ihipStream_tbDpT10_ENKUlT_T0_E_clISt17integral_constantIbLb0EES16_EEDaS11_S12_EUlS11_E_NS1_11comp_targetILNS1_3genE8ELNS1_11target_archE1030ELNS1_3gpuE2ELNS1_3repE0EEENS1_30default_config_static_selectorELNS0_4arch9wavefront6targetE1EEEvT1_, .Lfunc_end44-_ZN7rocprim17ROCPRIM_400000_NS6detail17trampoline_kernelINS0_14default_configENS1_25partition_config_selectorILNS1_17partition_subalgoE5ElNS0_10empty_typeEbEEZZNS1_14partition_implILS5_5ELb0ES3_mN6hipcub16HIPCUB_304000_NS21CountingInputIteratorIllEEPS6_NSA_22TransformInputIteratorIb7NonZeroIaEPalEENS0_5tupleIJPlS6_EEENSJ_IJSD_SD_EEES6_SK_JS6_EEE10hipError_tPvRmT3_T4_T5_T6_T7_T9_mT8_P12ihipStream_tbDpT10_ENKUlT_T0_E_clISt17integral_constantIbLb0EES16_EEDaS11_S12_EUlS11_E_NS1_11comp_targetILNS1_3genE8ELNS1_11target_archE1030ELNS1_3gpuE2ELNS1_3repE0EEENS1_30default_config_static_selectorELNS0_4arch9wavefront6targetE1EEEvT1_
                                        ; -- End function
	.set _ZN7rocprim17ROCPRIM_400000_NS6detail17trampoline_kernelINS0_14default_configENS1_25partition_config_selectorILNS1_17partition_subalgoE5ElNS0_10empty_typeEbEEZZNS1_14partition_implILS5_5ELb0ES3_mN6hipcub16HIPCUB_304000_NS21CountingInputIteratorIllEEPS6_NSA_22TransformInputIteratorIb7NonZeroIaEPalEENS0_5tupleIJPlS6_EEENSJ_IJSD_SD_EEES6_SK_JS6_EEE10hipError_tPvRmT3_T4_T5_T6_T7_T9_mT8_P12ihipStream_tbDpT10_ENKUlT_T0_E_clISt17integral_constantIbLb0EES16_EEDaS11_S12_EUlS11_E_NS1_11comp_targetILNS1_3genE8ELNS1_11target_archE1030ELNS1_3gpuE2ELNS1_3repE0EEENS1_30default_config_static_selectorELNS0_4arch9wavefront6targetE1EEEvT1_.num_vgpr, 0
	.set _ZN7rocprim17ROCPRIM_400000_NS6detail17trampoline_kernelINS0_14default_configENS1_25partition_config_selectorILNS1_17partition_subalgoE5ElNS0_10empty_typeEbEEZZNS1_14partition_implILS5_5ELb0ES3_mN6hipcub16HIPCUB_304000_NS21CountingInputIteratorIllEEPS6_NSA_22TransformInputIteratorIb7NonZeroIaEPalEENS0_5tupleIJPlS6_EEENSJ_IJSD_SD_EEES6_SK_JS6_EEE10hipError_tPvRmT3_T4_T5_T6_T7_T9_mT8_P12ihipStream_tbDpT10_ENKUlT_T0_E_clISt17integral_constantIbLb0EES16_EEDaS11_S12_EUlS11_E_NS1_11comp_targetILNS1_3genE8ELNS1_11target_archE1030ELNS1_3gpuE2ELNS1_3repE0EEENS1_30default_config_static_selectorELNS0_4arch9wavefront6targetE1EEEvT1_.num_agpr, 0
	.set _ZN7rocprim17ROCPRIM_400000_NS6detail17trampoline_kernelINS0_14default_configENS1_25partition_config_selectorILNS1_17partition_subalgoE5ElNS0_10empty_typeEbEEZZNS1_14partition_implILS5_5ELb0ES3_mN6hipcub16HIPCUB_304000_NS21CountingInputIteratorIllEEPS6_NSA_22TransformInputIteratorIb7NonZeroIaEPalEENS0_5tupleIJPlS6_EEENSJ_IJSD_SD_EEES6_SK_JS6_EEE10hipError_tPvRmT3_T4_T5_T6_T7_T9_mT8_P12ihipStream_tbDpT10_ENKUlT_T0_E_clISt17integral_constantIbLb0EES16_EEDaS11_S12_EUlS11_E_NS1_11comp_targetILNS1_3genE8ELNS1_11target_archE1030ELNS1_3gpuE2ELNS1_3repE0EEENS1_30default_config_static_selectorELNS0_4arch9wavefront6targetE1EEEvT1_.numbered_sgpr, 0
	.set _ZN7rocprim17ROCPRIM_400000_NS6detail17trampoline_kernelINS0_14default_configENS1_25partition_config_selectorILNS1_17partition_subalgoE5ElNS0_10empty_typeEbEEZZNS1_14partition_implILS5_5ELb0ES3_mN6hipcub16HIPCUB_304000_NS21CountingInputIteratorIllEEPS6_NSA_22TransformInputIteratorIb7NonZeroIaEPalEENS0_5tupleIJPlS6_EEENSJ_IJSD_SD_EEES6_SK_JS6_EEE10hipError_tPvRmT3_T4_T5_T6_T7_T9_mT8_P12ihipStream_tbDpT10_ENKUlT_T0_E_clISt17integral_constantIbLb0EES16_EEDaS11_S12_EUlS11_E_NS1_11comp_targetILNS1_3genE8ELNS1_11target_archE1030ELNS1_3gpuE2ELNS1_3repE0EEENS1_30default_config_static_selectorELNS0_4arch9wavefront6targetE1EEEvT1_.num_named_barrier, 0
	.set _ZN7rocprim17ROCPRIM_400000_NS6detail17trampoline_kernelINS0_14default_configENS1_25partition_config_selectorILNS1_17partition_subalgoE5ElNS0_10empty_typeEbEEZZNS1_14partition_implILS5_5ELb0ES3_mN6hipcub16HIPCUB_304000_NS21CountingInputIteratorIllEEPS6_NSA_22TransformInputIteratorIb7NonZeroIaEPalEENS0_5tupleIJPlS6_EEENSJ_IJSD_SD_EEES6_SK_JS6_EEE10hipError_tPvRmT3_T4_T5_T6_T7_T9_mT8_P12ihipStream_tbDpT10_ENKUlT_T0_E_clISt17integral_constantIbLb0EES16_EEDaS11_S12_EUlS11_E_NS1_11comp_targetILNS1_3genE8ELNS1_11target_archE1030ELNS1_3gpuE2ELNS1_3repE0EEENS1_30default_config_static_selectorELNS0_4arch9wavefront6targetE1EEEvT1_.private_seg_size, 0
	.set _ZN7rocprim17ROCPRIM_400000_NS6detail17trampoline_kernelINS0_14default_configENS1_25partition_config_selectorILNS1_17partition_subalgoE5ElNS0_10empty_typeEbEEZZNS1_14partition_implILS5_5ELb0ES3_mN6hipcub16HIPCUB_304000_NS21CountingInputIteratorIllEEPS6_NSA_22TransformInputIteratorIb7NonZeroIaEPalEENS0_5tupleIJPlS6_EEENSJ_IJSD_SD_EEES6_SK_JS6_EEE10hipError_tPvRmT3_T4_T5_T6_T7_T9_mT8_P12ihipStream_tbDpT10_ENKUlT_T0_E_clISt17integral_constantIbLb0EES16_EEDaS11_S12_EUlS11_E_NS1_11comp_targetILNS1_3genE8ELNS1_11target_archE1030ELNS1_3gpuE2ELNS1_3repE0EEENS1_30default_config_static_selectorELNS0_4arch9wavefront6targetE1EEEvT1_.uses_vcc, 0
	.set _ZN7rocprim17ROCPRIM_400000_NS6detail17trampoline_kernelINS0_14default_configENS1_25partition_config_selectorILNS1_17partition_subalgoE5ElNS0_10empty_typeEbEEZZNS1_14partition_implILS5_5ELb0ES3_mN6hipcub16HIPCUB_304000_NS21CountingInputIteratorIllEEPS6_NSA_22TransformInputIteratorIb7NonZeroIaEPalEENS0_5tupleIJPlS6_EEENSJ_IJSD_SD_EEES6_SK_JS6_EEE10hipError_tPvRmT3_T4_T5_T6_T7_T9_mT8_P12ihipStream_tbDpT10_ENKUlT_T0_E_clISt17integral_constantIbLb0EES16_EEDaS11_S12_EUlS11_E_NS1_11comp_targetILNS1_3genE8ELNS1_11target_archE1030ELNS1_3gpuE2ELNS1_3repE0EEENS1_30default_config_static_selectorELNS0_4arch9wavefront6targetE1EEEvT1_.uses_flat_scratch, 0
	.set _ZN7rocprim17ROCPRIM_400000_NS6detail17trampoline_kernelINS0_14default_configENS1_25partition_config_selectorILNS1_17partition_subalgoE5ElNS0_10empty_typeEbEEZZNS1_14partition_implILS5_5ELb0ES3_mN6hipcub16HIPCUB_304000_NS21CountingInputIteratorIllEEPS6_NSA_22TransformInputIteratorIb7NonZeroIaEPalEENS0_5tupleIJPlS6_EEENSJ_IJSD_SD_EEES6_SK_JS6_EEE10hipError_tPvRmT3_T4_T5_T6_T7_T9_mT8_P12ihipStream_tbDpT10_ENKUlT_T0_E_clISt17integral_constantIbLb0EES16_EEDaS11_S12_EUlS11_E_NS1_11comp_targetILNS1_3genE8ELNS1_11target_archE1030ELNS1_3gpuE2ELNS1_3repE0EEENS1_30default_config_static_selectorELNS0_4arch9wavefront6targetE1EEEvT1_.has_dyn_sized_stack, 0
	.set _ZN7rocprim17ROCPRIM_400000_NS6detail17trampoline_kernelINS0_14default_configENS1_25partition_config_selectorILNS1_17partition_subalgoE5ElNS0_10empty_typeEbEEZZNS1_14partition_implILS5_5ELb0ES3_mN6hipcub16HIPCUB_304000_NS21CountingInputIteratorIllEEPS6_NSA_22TransformInputIteratorIb7NonZeroIaEPalEENS0_5tupleIJPlS6_EEENSJ_IJSD_SD_EEES6_SK_JS6_EEE10hipError_tPvRmT3_T4_T5_T6_T7_T9_mT8_P12ihipStream_tbDpT10_ENKUlT_T0_E_clISt17integral_constantIbLb0EES16_EEDaS11_S12_EUlS11_E_NS1_11comp_targetILNS1_3genE8ELNS1_11target_archE1030ELNS1_3gpuE2ELNS1_3repE0EEENS1_30default_config_static_selectorELNS0_4arch9wavefront6targetE1EEEvT1_.has_recursion, 0
	.set _ZN7rocprim17ROCPRIM_400000_NS6detail17trampoline_kernelINS0_14default_configENS1_25partition_config_selectorILNS1_17partition_subalgoE5ElNS0_10empty_typeEbEEZZNS1_14partition_implILS5_5ELb0ES3_mN6hipcub16HIPCUB_304000_NS21CountingInputIteratorIllEEPS6_NSA_22TransformInputIteratorIb7NonZeroIaEPalEENS0_5tupleIJPlS6_EEENSJ_IJSD_SD_EEES6_SK_JS6_EEE10hipError_tPvRmT3_T4_T5_T6_T7_T9_mT8_P12ihipStream_tbDpT10_ENKUlT_T0_E_clISt17integral_constantIbLb0EES16_EEDaS11_S12_EUlS11_E_NS1_11comp_targetILNS1_3genE8ELNS1_11target_archE1030ELNS1_3gpuE2ELNS1_3repE0EEENS1_30default_config_static_selectorELNS0_4arch9wavefront6targetE1EEEvT1_.has_indirect_call, 0
	.section	.AMDGPU.csdata,"",@progbits
; Kernel info:
; codeLenInByte = 0
; TotalNumSgprs: 6
; NumVgprs: 0
; NumAgprs: 0
; TotalNumVgprs: 0
; ScratchSize: 0
; MemoryBound: 0
; FloatMode: 240
; IeeeMode: 1
; LDSByteSize: 0 bytes/workgroup (compile time only)
; SGPRBlocks: 0
; VGPRBlocks: 0
; NumSGPRsForWavesPerEU: 6
; NumVGPRsForWavesPerEU: 1
; AccumOffset: 4
; Occupancy: 8
; WaveLimiterHint : 0
; COMPUTE_PGM_RSRC2:SCRATCH_EN: 0
; COMPUTE_PGM_RSRC2:USER_SGPR: 2
; COMPUTE_PGM_RSRC2:TRAP_HANDLER: 0
; COMPUTE_PGM_RSRC2:TGID_X_EN: 1
; COMPUTE_PGM_RSRC2:TGID_Y_EN: 0
; COMPUTE_PGM_RSRC2:TGID_Z_EN: 0
; COMPUTE_PGM_RSRC2:TIDIG_COMP_CNT: 0
; COMPUTE_PGM_RSRC3_GFX90A:ACCUM_OFFSET: 0
; COMPUTE_PGM_RSRC3_GFX90A:TG_SPLIT: 0
	.section	.text._ZN7rocprim17ROCPRIM_400000_NS6detail17trampoline_kernelINS0_14default_configENS1_25transform_config_selectorImLb1EEEZNS1_14transform_implILb1ES3_S5_PmPlNS0_8identityIvEEEE10hipError_tT2_T3_mT4_P12ihipStream_tbEUlT_E_NS1_11comp_targetILNS1_3genE0ELNS1_11target_archE4294967295ELNS1_3gpuE0ELNS1_3repE0EEENS1_30default_config_static_selectorELNS0_4arch9wavefront6targetE1EEEvT1_,"axG",@progbits,_ZN7rocprim17ROCPRIM_400000_NS6detail17trampoline_kernelINS0_14default_configENS1_25transform_config_selectorImLb1EEEZNS1_14transform_implILb1ES3_S5_PmPlNS0_8identityIvEEEE10hipError_tT2_T3_mT4_P12ihipStream_tbEUlT_E_NS1_11comp_targetILNS1_3genE0ELNS1_11target_archE4294967295ELNS1_3gpuE0ELNS1_3repE0EEENS1_30default_config_static_selectorELNS0_4arch9wavefront6targetE1EEEvT1_,comdat
	.protected	_ZN7rocprim17ROCPRIM_400000_NS6detail17trampoline_kernelINS0_14default_configENS1_25transform_config_selectorImLb1EEEZNS1_14transform_implILb1ES3_S5_PmPlNS0_8identityIvEEEE10hipError_tT2_T3_mT4_P12ihipStream_tbEUlT_E_NS1_11comp_targetILNS1_3genE0ELNS1_11target_archE4294967295ELNS1_3gpuE0ELNS1_3repE0EEENS1_30default_config_static_selectorELNS0_4arch9wavefront6targetE1EEEvT1_ ; -- Begin function _ZN7rocprim17ROCPRIM_400000_NS6detail17trampoline_kernelINS0_14default_configENS1_25transform_config_selectorImLb1EEEZNS1_14transform_implILb1ES3_S5_PmPlNS0_8identityIvEEEE10hipError_tT2_T3_mT4_P12ihipStream_tbEUlT_E_NS1_11comp_targetILNS1_3genE0ELNS1_11target_archE4294967295ELNS1_3gpuE0ELNS1_3repE0EEENS1_30default_config_static_selectorELNS0_4arch9wavefront6targetE1EEEvT1_
	.globl	_ZN7rocprim17ROCPRIM_400000_NS6detail17trampoline_kernelINS0_14default_configENS1_25transform_config_selectorImLb1EEEZNS1_14transform_implILb1ES3_S5_PmPlNS0_8identityIvEEEE10hipError_tT2_T3_mT4_P12ihipStream_tbEUlT_E_NS1_11comp_targetILNS1_3genE0ELNS1_11target_archE4294967295ELNS1_3gpuE0ELNS1_3repE0EEENS1_30default_config_static_selectorELNS0_4arch9wavefront6targetE1EEEvT1_
	.p2align	8
	.type	_ZN7rocprim17ROCPRIM_400000_NS6detail17trampoline_kernelINS0_14default_configENS1_25transform_config_selectorImLb1EEEZNS1_14transform_implILb1ES3_S5_PmPlNS0_8identityIvEEEE10hipError_tT2_T3_mT4_P12ihipStream_tbEUlT_E_NS1_11comp_targetILNS1_3genE0ELNS1_11target_archE4294967295ELNS1_3gpuE0ELNS1_3repE0EEENS1_30default_config_static_selectorELNS0_4arch9wavefront6targetE1EEEvT1_,@function
_ZN7rocprim17ROCPRIM_400000_NS6detail17trampoline_kernelINS0_14default_configENS1_25transform_config_selectorImLb1EEEZNS1_14transform_implILb1ES3_S5_PmPlNS0_8identityIvEEEE10hipError_tT2_T3_mT4_P12ihipStream_tbEUlT_E_NS1_11comp_targetILNS1_3genE0ELNS1_11target_archE4294967295ELNS1_3gpuE0ELNS1_3repE0EEENS1_30default_config_static_selectorELNS0_4arch9wavefront6targetE1EEEvT1_: ; @_ZN7rocprim17ROCPRIM_400000_NS6detail17trampoline_kernelINS0_14default_configENS1_25transform_config_selectorImLb1EEEZNS1_14transform_implILb1ES3_S5_PmPlNS0_8identityIvEEEE10hipError_tT2_T3_mT4_P12ihipStream_tbEUlT_E_NS1_11comp_targetILNS1_3genE0ELNS1_11target_archE4294967295ELNS1_3gpuE0ELNS1_3repE0EEENS1_30default_config_static_selectorELNS0_4arch9wavefront6targetE1EEEvT1_
; %bb.0:
	s_load_dword s3, s[0:1], 0x28
	s_load_dword s5, s[0:1], 0x10
	s_lshl_b32 s4, s2, 7
	s_waitcnt lgkmcnt(0)
	s_add_i32 s3, s3, -1
	s_cmp_lg_u32 s2, s3
	s_cselect_b64 s[2:3], -1, 0
	s_sub_i32 s5, s5, s4
	v_cmp_gt_u32_e32 vcc, s5, v0
	s_or_b64 s[2:3], vcc, s[2:3]
	s_and_saveexec_b64 s[6:7], s[2:3]
	s_cbranch_execz .LBB45_2
; %bb.1:
	s_load_dwordx4 s[8:11], s[0:1], 0x0
	s_load_dwordx2 s[2:3], s[0:1], 0x18
	s_mov_b32 s5, 0
	v_lshlrev_b32_e32 v2, 3, v0
	s_waitcnt lgkmcnt(0)
	s_lshl_b64 s[0:1], s[10:11], 3
	s_add_u32 s6, s8, s0
	s_addc_u32 s7, s9, s1
	s_lshl_b64 s[4:5], s[4:5], 3
	s_add_u32 s6, s6, s4
	s_addc_u32 s7, s7, s5
	global_load_dwordx2 v[0:1], v2, s[6:7]
	s_add_u32 s0, s2, s0
	s_addc_u32 s1, s3, s1
	s_add_u32 s0, s0, s4
	s_addc_u32 s1, s1, s5
	s_waitcnt vmcnt(0)
	global_store_dwordx2 v2, v[0:1], s[0:1]
.LBB45_2:
	s_endpgm
	.section	.rodata,"a",@progbits
	.p2align	6, 0x0
	.amdhsa_kernel _ZN7rocprim17ROCPRIM_400000_NS6detail17trampoline_kernelINS0_14default_configENS1_25transform_config_selectorImLb1EEEZNS1_14transform_implILb1ES3_S5_PmPlNS0_8identityIvEEEE10hipError_tT2_T3_mT4_P12ihipStream_tbEUlT_E_NS1_11comp_targetILNS1_3genE0ELNS1_11target_archE4294967295ELNS1_3gpuE0ELNS1_3repE0EEENS1_30default_config_static_selectorELNS0_4arch9wavefront6targetE1EEEvT1_
		.amdhsa_group_segment_fixed_size 0
		.amdhsa_private_segment_fixed_size 0
		.amdhsa_kernarg_size 296
		.amdhsa_user_sgpr_count 2
		.amdhsa_user_sgpr_dispatch_ptr 0
		.amdhsa_user_sgpr_queue_ptr 0
		.amdhsa_user_sgpr_kernarg_segment_ptr 1
		.amdhsa_user_sgpr_dispatch_id 0
		.amdhsa_user_sgpr_kernarg_preload_length 0
		.amdhsa_user_sgpr_kernarg_preload_offset 0
		.amdhsa_user_sgpr_private_segment_size 0
		.amdhsa_uses_dynamic_stack 0
		.amdhsa_enable_private_segment 0
		.amdhsa_system_sgpr_workgroup_id_x 1
		.amdhsa_system_sgpr_workgroup_id_y 0
		.amdhsa_system_sgpr_workgroup_id_z 0
		.amdhsa_system_sgpr_workgroup_info 0
		.amdhsa_system_vgpr_workitem_id 0
		.amdhsa_next_free_vgpr 3
		.amdhsa_next_free_sgpr 12
		.amdhsa_accum_offset 4
		.amdhsa_reserve_vcc 1
		.amdhsa_float_round_mode_32 0
		.amdhsa_float_round_mode_16_64 0
		.amdhsa_float_denorm_mode_32 3
		.amdhsa_float_denorm_mode_16_64 3
		.amdhsa_dx10_clamp 1
		.amdhsa_ieee_mode 1
		.amdhsa_fp16_overflow 0
		.amdhsa_tg_split 0
		.amdhsa_exception_fp_ieee_invalid_op 0
		.amdhsa_exception_fp_denorm_src 0
		.amdhsa_exception_fp_ieee_div_zero 0
		.amdhsa_exception_fp_ieee_overflow 0
		.amdhsa_exception_fp_ieee_underflow 0
		.amdhsa_exception_fp_ieee_inexact 0
		.amdhsa_exception_int_div_zero 0
	.end_amdhsa_kernel
	.section	.text._ZN7rocprim17ROCPRIM_400000_NS6detail17trampoline_kernelINS0_14default_configENS1_25transform_config_selectorImLb1EEEZNS1_14transform_implILb1ES3_S5_PmPlNS0_8identityIvEEEE10hipError_tT2_T3_mT4_P12ihipStream_tbEUlT_E_NS1_11comp_targetILNS1_3genE0ELNS1_11target_archE4294967295ELNS1_3gpuE0ELNS1_3repE0EEENS1_30default_config_static_selectorELNS0_4arch9wavefront6targetE1EEEvT1_,"axG",@progbits,_ZN7rocprim17ROCPRIM_400000_NS6detail17trampoline_kernelINS0_14default_configENS1_25transform_config_selectorImLb1EEEZNS1_14transform_implILb1ES3_S5_PmPlNS0_8identityIvEEEE10hipError_tT2_T3_mT4_P12ihipStream_tbEUlT_E_NS1_11comp_targetILNS1_3genE0ELNS1_11target_archE4294967295ELNS1_3gpuE0ELNS1_3repE0EEENS1_30default_config_static_selectorELNS0_4arch9wavefront6targetE1EEEvT1_,comdat
.Lfunc_end45:
	.size	_ZN7rocprim17ROCPRIM_400000_NS6detail17trampoline_kernelINS0_14default_configENS1_25transform_config_selectorImLb1EEEZNS1_14transform_implILb1ES3_S5_PmPlNS0_8identityIvEEEE10hipError_tT2_T3_mT4_P12ihipStream_tbEUlT_E_NS1_11comp_targetILNS1_3genE0ELNS1_11target_archE4294967295ELNS1_3gpuE0ELNS1_3repE0EEENS1_30default_config_static_selectorELNS0_4arch9wavefront6targetE1EEEvT1_, .Lfunc_end45-_ZN7rocprim17ROCPRIM_400000_NS6detail17trampoline_kernelINS0_14default_configENS1_25transform_config_selectorImLb1EEEZNS1_14transform_implILb1ES3_S5_PmPlNS0_8identityIvEEEE10hipError_tT2_T3_mT4_P12ihipStream_tbEUlT_E_NS1_11comp_targetILNS1_3genE0ELNS1_11target_archE4294967295ELNS1_3gpuE0ELNS1_3repE0EEENS1_30default_config_static_selectorELNS0_4arch9wavefront6targetE1EEEvT1_
                                        ; -- End function
	.set _ZN7rocprim17ROCPRIM_400000_NS6detail17trampoline_kernelINS0_14default_configENS1_25transform_config_selectorImLb1EEEZNS1_14transform_implILb1ES3_S5_PmPlNS0_8identityIvEEEE10hipError_tT2_T3_mT4_P12ihipStream_tbEUlT_E_NS1_11comp_targetILNS1_3genE0ELNS1_11target_archE4294967295ELNS1_3gpuE0ELNS1_3repE0EEENS1_30default_config_static_selectorELNS0_4arch9wavefront6targetE1EEEvT1_.num_vgpr, 3
	.set _ZN7rocprim17ROCPRIM_400000_NS6detail17trampoline_kernelINS0_14default_configENS1_25transform_config_selectorImLb1EEEZNS1_14transform_implILb1ES3_S5_PmPlNS0_8identityIvEEEE10hipError_tT2_T3_mT4_P12ihipStream_tbEUlT_E_NS1_11comp_targetILNS1_3genE0ELNS1_11target_archE4294967295ELNS1_3gpuE0ELNS1_3repE0EEENS1_30default_config_static_selectorELNS0_4arch9wavefront6targetE1EEEvT1_.num_agpr, 0
	.set _ZN7rocprim17ROCPRIM_400000_NS6detail17trampoline_kernelINS0_14default_configENS1_25transform_config_selectorImLb1EEEZNS1_14transform_implILb1ES3_S5_PmPlNS0_8identityIvEEEE10hipError_tT2_T3_mT4_P12ihipStream_tbEUlT_E_NS1_11comp_targetILNS1_3genE0ELNS1_11target_archE4294967295ELNS1_3gpuE0ELNS1_3repE0EEENS1_30default_config_static_selectorELNS0_4arch9wavefront6targetE1EEEvT1_.numbered_sgpr, 12
	.set _ZN7rocprim17ROCPRIM_400000_NS6detail17trampoline_kernelINS0_14default_configENS1_25transform_config_selectorImLb1EEEZNS1_14transform_implILb1ES3_S5_PmPlNS0_8identityIvEEEE10hipError_tT2_T3_mT4_P12ihipStream_tbEUlT_E_NS1_11comp_targetILNS1_3genE0ELNS1_11target_archE4294967295ELNS1_3gpuE0ELNS1_3repE0EEENS1_30default_config_static_selectorELNS0_4arch9wavefront6targetE1EEEvT1_.num_named_barrier, 0
	.set _ZN7rocprim17ROCPRIM_400000_NS6detail17trampoline_kernelINS0_14default_configENS1_25transform_config_selectorImLb1EEEZNS1_14transform_implILb1ES3_S5_PmPlNS0_8identityIvEEEE10hipError_tT2_T3_mT4_P12ihipStream_tbEUlT_E_NS1_11comp_targetILNS1_3genE0ELNS1_11target_archE4294967295ELNS1_3gpuE0ELNS1_3repE0EEENS1_30default_config_static_selectorELNS0_4arch9wavefront6targetE1EEEvT1_.private_seg_size, 0
	.set _ZN7rocprim17ROCPRIM_400000_NS6detail17trampoline_kernelINS0_14default_configENS1_25transform_config_selectorImLb1EEEZNS1_14transform_implILb1ES3_S5_PmPlNS0_8identityIvEEEE10hipError_tT2_T3_mT4_P12ihipStream_tbEUlT_E_NS1_11comp_targetILNS1_3genE0ELNS1_11target_archE4294967295ELNS1_3gpuE0ELNS1_3repE0EEENS1_30default_config_static_selectorELNS0_4arch9wavefront6targetE1EEEvT1_.uses_vcc, 1
	.set _ZN7rocprim17ROCPRIM_400000_NS6detail17trampoline_kernelINS0_14default_configENS1_25transform_config_selectorImLb1EEEZNS1_14transform_implILb1ES3_S5_PmPlNS0_8identityIvEEEE10hipError_tT2_T3_mT4_P12ihipStream_tbEUlT_E_NS1_11comp_targetILNS1_3genE0ELNS1_11target_archE4294967295ELNS1_3gpuE0ELNS1_3repE0EEENS1_30default_config_static_selectorELNS0_4arch9wavefront6targetE1EEEvT1_.uses_flat_scratch, 0
	.set _ZN7rocprim17ROCPRIM_400000_NS6detail17trampoline_kernelINS0_14default_configENS1_25transform_config_selectorImLb1EEEZNS1_14transform_implILb1ES3_S5_PmPlNS0_8identityIvEEEE10hipError_tT2_T3_mT4_P12ihipStream_tbEUlT_E_NS1_11comp_targetILNS1_3genE0ELNS1_11target_archE4294967295ELNS1_3gpuE0ELNS1_3repE0EEENS1_30default_config_static_selectorELNS0_4arch9wavefront6targetE1EEEvT1_.has_dyn_sized_stack, 0
	.set _ZN7rocprim17ROCPRIM_400000_NS6detail17trampoline_kernelINS0_14default_configENS1_25transform_config_selectorImLb1EEEZNS1_14transform_implILb1ES3_S5_PmPlNS0_8identityIvEEEE10hipError_tT2_T3_mT4_P12ihipStream_tbEUlT_E_NS1_11comp_targetILNS1_3genE0ELNS1_11target_archE4294967295ELNS1_3gpuE0ELNS1_3repE0EEENS1_30default_config_static_selectorELNS0_4arch9wavefront6targetE1EEEvT1_.has_recursion, 0
	.set _ZN7rocprim17ROCPRIM_400000_NS6detail17trampoline_kernelINS0_14default_configENS1_25transform_config_selectorImLb1EEEZNS1_14transform_implILb1ES3_S5_PmPlNS0_8identityIvEEEE10hipError_tT2_T3_mT4_P12ihipStream_tbEUlT_E_NS1_11comp_targetILNS1_3genE0ELNS1_11target_archE4294967295ELNS1_3gpuE0ELNS1_3repE0EEENS1_30default_config_static_selectorELNS0_4arch9wavefront6targetE1EEEvT1_.has_indirect_call, 0
	.section	.AMDGPU.csdata,"",@progbits
; Kernel info:
; codeLenInByte = 148
; TotalNumSgprs: 18
; NumVgprs: 3
; NumAgprs: 0
; TotalNumVgprs: 3
; ScratchSize: 0
; MemoryBound: 0
; FloatMode: 240
; IeeeMode: 1
; LDSByteSize: 0 bytes/workgroup (compile time only)
; SGPRBlocks: 2
; VGPRBlocks: 0
; NumSGPRsForWavesPerEU: 18
; NumVGPRsForWavesPerEU: 3
; AccumOffset: 4
; Occupancy: 8
; WaveLimiterHint : 0
; COMPUTE_PGM_RSRC2:SCRATCH_EN: 0
; COMPUTE_PGM_RSRC2:USER_SGPR: 2
; COMPUTE_PGM_RSRC2:TRAP_HANDLER: 0
; COMPUTE_PGM_RSRC2:TGID_X_EN: 1
; COMPUTE_PGM_RSRC2:TGID_Y_EN: 0
; COMPUTE_PGM_RSRC2:TGID_Z_EN: 0
; COMPUTE_PGM_RSRC2:TIDIG_COMP_CNT: 0
; COMPUTE_PGM_RSRC3_GFX90A:ACCUM_OFFSET: 0
; COMPUTE_PGM_RSRC3_GFX90A:TG_SPLIT: 0
	.section	.text._ZN7rocprim17ROCPRIM_400000_NS6detail17trampoline_kernelINS0_14default_configENS1_25transform_config_selectorImLb1EEEZNS1_14transform_implILb1ES3_S5_PmPlNS0_8identityIvEEEE10hipError_tT2_T3_mT4_P12ihipStream_tbEUlT_E_NS1_11comp_targetILNS1_3genE10ELNS1_11target_archE1201ELNS1_3gpuE5ELNS1_3repE0EEENS1_30default_config_static_selectorELNS0_4arch9wavefront6targetE1EEEvT1_,"axG",@progbits,_ZN7rocprim17ROCPRIM_400000_NS6detail17trampoline_kernelINS0_14default_configENS1_25transform_config_selectorImLb1EEEZNS1_14transform_implILb1ES3_S5_PmPlNS0_8identityIvEEEE10hipError_tT2_T3_mT4_P12ihipStream_tbEUlT_E_NS1_11comp_targetILNS1_3genE10ELNS1_11target_archE1201ELNS1_3gpuE5ELNS1_3repE0EEENS1_30default_config_static_selectorELNS0_4arch9wavefront6targetE1EEEvT1_,comdat
	.protected	_ZN7rocprim17ROCPRIM_400000_NS6detail17trampoline_kernelINS0_14default_configENS1_25transform_config_selectorImLb1EEEZNS1_14transform_implILb1ES3_S5_PmPlNS0_8identityIvEEEE10hipError_tT2_T3_mT4_P12ihipStream_tbEUlT_E_NS1_11comp_targetILNS1_3genE10ELNS1_11target_archE1201ELNS1_3gpuE5ELNS1_3repE0EEENS1_30default_config_static_selectorELNS0_4arch9wavefront6targetE1EEEvT1_ ; -- Begin function _ZN7rocprim17ROCPRIM_400000_NS6detail17trampoline_kernelINS0_14default_configENS1_25transform_config_selectorImLb1EEEZNS1_14transform_implILb1ES3_S5_PmPlNS0_8identityIvEEEE10hipError_tT2_T3_mT4_P12ihipStream_tbEUlT_E_NS1_11comp_targetILNS1_3genE10ELNS1_11target_archE1201ELNS1_3gpuE5ELNS1_3repE0EEENS1_30default_config_static_selectorELNS0_4arch9wavefront6targetE1EEEvT1_
	.globl	_ZN7rocprim17ROCPRIM_400000_NS6detail17trampoline_kernelINS0_14default_configENS1_25transform_config_selectorImLb1EEEZNS1_14transform_implILb1ES3_S5_PmPlNS0_8identityIvEEEE10hipError_tT2_T3_mT4_P12ihipStream_tbEUlT_E_NS1_11comp_targetILNS1_3genE10ELNS1_11target_archE1201ELNS1_3gpuE5ELNS1_3repE0EEENS1_30default_config_static_selectorELNS0_4arch9wavefront6targetE1EEEvT1_
	.p2align	8
	.type	_ZN7rocprim17ROCPRIM_400000_NS6detail17trampoline_kernelINS0_14default_configENS1_25transform_config_selectorImLb1EEEZNS1_14transform_implILb1ES3_S5_PmPlNS0_8identityIvEEEE10hipError_tT2_T3_mT4_P12ihipStream_tbEUlT_E_NS1_11comp_targetILNS1_3genE10ELNS1_11target_archE1201ELNS1_3gpuE5ELNS1_3repE0EEENS1_30default_config_static_selectorELNS0_4arch9wavefront6targetE1EEEvT1_,@function
_ZN7rocprim17ROCPRIM_400000_NS6detail17trampoline_kernelINS0_14default_configENS1_25transform_config_selectorImLb1EEEZNS1_14transform_implILb1ES3_S5_PmPlNS0_8identityIvEEEE10hipError_tT2_T3_mT4_P12ihipStream_tbEUlT_E_NS1_11comp_targetILNS1_3genE10ELNS1_11target_archE1201ELNS1_3gpuE5ELNS1_3repE0EEENS1_30default_config_static_selectorELNS0_4arch9wavefront6targetE1EEEvT1_: ; @_ZN7rocprim17ROCPRIM_400000_NS6detail17trampoline_kernelINS0_14default_configENS1_25transform_config_selectorImLb1EEEZNS1_14transform_implILb1ES3_S5_PmPlNS0_8identityIvEEEE10hipError_tT2_T3_mT4_P12ihipStream_tbEUlT_E_NS1_11comp_targetILNS1_3genE10ELNS1_11target_archE1201ELNS1_3gpuE5ELNS1_3repE0EEENS1_30default_config_static_selectorELNS0_4arch9wavefront6targetE1EEEvT1_
; %bb.0:
	.section	.rodata,"a",@progbits
	.p2align	6, 0x0
	.amdhsa_kernel _ZN7rocprim17ROCPRIM_400000_NS6detail17trampoline_kernelINS0_14default_configENS1_25transform_config_selectorImLb1EEEZNS1_14transform_implILb1ES3_S5_PmPlNS0_8identityIvEEEE10hipError_tT2_T3_mT4_P12ihipStream_tbEUlT_E_NS1_11comp_targetILNS1_3genE10ELNS1_11target_archE1201ELNS1_3gpuE5ELNS1_3repE0EEENS1_30default_config_static_selectorELNS0_4arch9wavefront6targetE1EEEvT1_
		.amdhsa_group_segment_fixed_size 0
		.amdhsa_private_segment_fixed_size 0
		.amdhsa_kernarg_size 40
		.amdhsa_user_sgpr_count 2
		.amdhsa_user_sgpr_dispatch_ptr 0
		.amdhsa_user_sgpr_queue_ptr 0
		.amdhsa_user_sgpr_kernarg_segment_ptr 1
		.amdhsa_user_sgpr_dispatch_id 0
		.amdhsa_user_sgpr_kernarg_preload_length 0
		.amdhsa_user_sgpr_kernarg_preload_offset 0
		.amdhsa_user_sgpr_private_segment_size 0
		.amdhsa_uses_dynamic_stack 0
		.amdhsa_enable_private_segment 0
		.amdhsa_system_sgpr_workgroup_id_x 1
		.amdhsa_system_sgpr_workgroup_id_y 0
		.amdhsa_system_sgpr_workgroup_id_z 0
		.amdhsa_system_sgpr_workgroup_info 0
		.amdhsa_system_vgpr_workitem_id 0
		.amdhsa_next_free_vgpr 1
		.amdhsa_next_free_sgpr 0
		.amdhsa_accum_offset 4
		.amdhsa_reserve_vcc 0
		.amdhsa_float_round_mode_32 0
		.amdhsa_float_round_mode_16_64 0
		.amdhsa_float_denorm_mode_32 3
		.amdhsa_float_denorm_mode_16_64 3
		.amdhsa_dx10_clamp 1
		.amdhsa_ieee_mode 1
		.amdhsa_fp16_overflow 0
		.amdhsa_tg_split 0
		.amdhsa_exception_fp_ieee_invalid_op 0
		.amdhsa_exception_fp_denorm_src 0
		.amdhsa_exception_fp_ieee_div_zero 0
		.amdhsa_exception_fp_ieee_overflow 0
		.amdhsa_exception_fp_ieee_underflow 0
		.amdhsa_exception_fp_ieee_inexact 0
		.amdhsa_exception_int_div_zero 0
	.end_amdhsa_kernel
	.section	.text._ZN7rocprim17ROCPRIM_400000_NS6detail17trampoline_kernelINS0_14default_configENS1_25transform_config_selectorImLb1EEEZNS1_14transform_implILb1ES3_S5_PmPlNS0_8identityIvEEEE10hipError_tT2_T3_mT4_P12ihipStream_tbEUlT_E_NS1_11comp_targetILNS1_3genE10ELNS1_11target_archE1201ELNS1_3gpuE5ELNS1_3repE0EEENS1_30default_config_static_selectorELNS0_4arch9wavefront6targetE1EEEvT1_,"axG",@progbits,_ZN7rocprim17ROCPRIM_400000_NS6detail17trampoline_kernelINS0_14default_configENS1_25transform_config_selectorImLb1EEEZNS1_14transform_implILb1ES3_S5_PmPlNS0_8identityIvEEEE10hipError_tT2_T3_mT4_P12ihipStream_tbEUlT_E_NS1_11comp_targetILNS1_3genE10ELNS1_11target_archE1201ELNS1_3gpuE5ELNS1_3repE0EEENS1_30default_config_static_selectorELNS0_4arch9wavefront6targetE1EEEvT1_,comdat
.Lfunc_end46:
	.size	_ZN7rocprim17ROCPRIM_400000_NS6detail17trampoline_kernelINS0_14default_configENS1_25transform_config_selectorImLb1EEEZNS1_14transform_implILb1ES3_S5_PmPlNS0_8identityIvEEEE10hipError_tT2_T3_mT4_P12ihipStream_tbEUlT_E_NS1_11comp_targetILNS1_3genE10ELNS1_11target_archE1201ELNS1_3gpuE5ELNS1_3repE0EEENS1_30default_config_static_selectorELNS0_4arch9wavefront6targetE1EEEvT1_, .Lfunc_end46-_ZN7rocprim17ROCPRIM_400000_NS6detail17trampoline_kernelINS0_14default_configENS1_25transform_config_selectorImLb1EEEZNS1_14transform_implILb1ES3_S5_PmPlNS0_8identityIvEEEE10hipError_tT2_T3_mT4_P12ihipStream_tbEUlT_E_NS1_11comp_targetILNS1_3genE10ELNS1_11target_archE1201ELNS1_3gpuE5ELNS1_3repE0EEENS1_30default_config_static_selectorELNS0_4arch9wavefront6targetE1EEEvT1_
                                        ; -- End function
	.set _ZN7rocprim17ROCPRIM_400000_NS6detail17trampoline_kernelINS0_14default_configENS1_25transform_config_selectorImLb1EEEZNS1_14transform_implILb1ES3_S5_PmPlNS0_8identityIvEEEE10hipError_tT2_T3_mT4_P12ihipStream_tbEUlT_E_NS1_11comp_targetILNS1_3genE10ELNS1_11target_archE1201ELNS1_3gpuE5ELNS1_3repE0EEENS1_30default_config_static_selectorELNS0_4arch9wavefront6targetE1EEEvT1_.num_vgpr, 0
	.set _ZN7rocprim17ROCPRIM_400000_NS6detail17trampoline_kernelINS0_14default_configENS1_25transform_config_selectorImLb1EEEZNS1_14transform_implILb1ES3_S5_PmPlNS0_8identityIvEEEE10hipError_tT2_T3_mT4_P12ihipStream_tbEUlT_E_NS1_11comp_targetILNS1_3genE10ELNS1_11target_archE1201ELNS1_3gpuE5ELNS1_3repE0EEENS1_30default_config_static_selectorELNS0_4arch9wavefront6targetE1EEEvT1_.num_agpr, 0
	.set _ZN7rocprim17ROCPRIM_400000_NS6detail17trampoline_kernelINS0_14default_configENS1_25transform_config_selectorImLb1EEEZNS1_14transform_implILb1ES3_S5_PmPlNS0_8identityIvEEEE10hipError_tT2_T3_mT4_P12ihipStream_tbEUlT_E_NS1_11comp_targetILNS1_3genE10ELNS1_11target_archE1201ELNS1_3gpuE5ELNS1_3repE0EEENS1_30default_config_static_selectorELNS0_4arch9wavefront6targetE1EEEvT1_.numbered_sgpr, 0
	.set _ZN7rocprim17ROCPRIM_400000_NS6detail17trampoline_kernelINS0_14default_configENS1_25transform_config_selectorImLb1EEEZNS1_14transform_implILb1ES3_S5_PmPlNS0_8identityIvEEEE10hipError_tT2_T3_mT4_P12ihipStream_tbEUlT_E_NS1_11comp_targetILNS1_3genE10ELNS1_11target_archE1201ELNS1_3gpuE5ELNS1_3repE0EEENS1_30default_config_static_selectorELNS0_4arch9wavefront6targetE1EEEvT1_.num_named_barrier, 0
	.set _ZN7rocprim17ROCPRIM_400000_NS6detail17trampoline_kernelINS0_14default_configENS1_25transform_config_selectorImLb1EEEZNS1_14transform_implILb1ES3_S5_PmPlNS0_8identityIvEEEE10hipError_tT2_T3_mT4_P12ihipStream_tbEUlT_E_NS1_11comp_targetILNS1_3genE10ELNS1_11target_archE1201ELNS1_3gpuE5ELNS1_3repE0EEENS1_30default_config_static_selectorELNS0_4arch9wavefront6targetE1EEEvT1_.private_seg_size, 0
	.set _ZN7rocprim17ROCPRIM_400000_NS6detail17trampoline_kernelINS0_14default_configENS1_25transform_config_selectorImLb1EEEZNS1_14transform_implILb1ES3_S5_PmPlNS0_8identityIvEEEE10hipError_tT2_T3_mT4_P12ihipStream_tbEUlT_E_NS1_11comp_targetILNS1_3genE10ELNS1_11target_archE1201ELNS1_3gpuE5ELNS1_3repE0EEENS1_30default_config_static_selectorELNS0_4arch9wavefront6targetE1EEEvT1_.uses_vcc, 0
	.set _ZN7rocprim17ROCPRIM_400000_NS6detail17trampoline_kernelINS0_14default_configENS1_25transform_config_selectorImLb1EEEZNS1_14transform_implILb1ES3_S5_PmPlNS0_8identityIvEEEE10hipError_tT2_T3_mT4_P12ihipStream_tbEUlT_E_NS1_11comp_targetILNS1_3genE10ELNS1_11target_archE1201ELNS1_3gpuE5ELNS1_3repE0EEENS1_30default_config_static_selectorELNS0_4arch9wavefront6targetE1EEEvT1_.uses_flat_scratch, 0
	.set _ZN7rocprim17ROCPRIM_400000_NS6detail17trampoline_kernelINS0_14default_configENS1_25transform_config_selectorImLb1EEEZNS1_14transform_implILb1ES3_S5_PmPlNS0_8identityIvEEEE10hipError_tT2_T3_mT4_P12ihipStream_tbEUlT_E_NS1_11comp_targetILNS1_3genE10ELNS1_11target_archE1201ELNS1_3gpuE5ELNS1_3repE0EEENS1_30default_config_static_selectorELNS0_4arch9wavefront6targetE1EEEvT1_.has_dyn_sized_stack, 0
	.set _ZN7rocprim17ROCPRIM_400000_NS6detail17trampoline_kernelINS0_14default_configENS1_25transform_config_selectorImLb1EEEZNS1_14transform_implILb1ES3_S5_PmPlNS0_8identityIvEEEE10hipError_tT2_T3_mT4_P12ihipStream_tbEUlT_E_NS1_11comp_targetILNS1_3genE10ELNS1_11target_archE1201ELNS1_3gpuE5ELNS1_3repE0EEENS1_30default_config_static_selectorELNS0_4arch9wavefront6targetE1EEEvT1_.has_recursion, 0
	.set _ZN7rocprim17ROCPRIM_400000_NS6detail17trampoline_kernelINS0_14default_configENS1_25transform_config_selectorImLb1EEEZNS1_14transform_implILb1ES3_S5_PmPlNS0_8identityIvEEEE10hipError_tT2_T3_mT4_P12ihipStream_tbEUlT_E_NS1_11comp_targetILNS1_3genE10ELNS1_11target_archE1201ELNS1_3gpuE5ELNS1_3repE0EEENS1_30default_config_static_selectorELNS0_4arch9wavefront6targetE1EEEvT1_.has_indirect_call, 0
	.section	.AMDGPU.csdata,"",@progbits
; Kernel info:
; codeLenInByte = 0
; TotalNumSgprs: 6
; NumVgprs: 0
; NumAgprs: 0
; TotalNumVgprs: 0
; ScratchSize: 0
; MemoryBound: 0
; FloatMode: 240
; IeeeMode: 1
; LDSByteSize: 0 bytes/workgroup (compile time only)
; SGPRBlocks: 0
; VGPRBlocks: 0
; NumSGPRsForWavesPerEU: 6
; NumVGPRsForWavesPerEU: 1
; AccumOffset: 4
; Occupancy: 8
; WaveLimiterHint : 0
; COMPUTE_PGM_RSRC2:SCRATCH_EN: 0
; COMPUTE_PGM_RSRC2:USER_SGPR: 2
; COMPUTE_PGM_RSRC2:TRAP_HANDLER: 0
; COMPUTE_PGM_RSRC2:TGID_X_EN: 1
; COMPUTE_PGM_RSRC2:TGID_Y_EN: 0
; COMPUTE_PGM_RSRC2:TGID_Z_EN: 0
; COMPUTE_PGM_RSRC2:TIDIG_COMP_CNT: 0
; COMPUTE_PGM_RSRC3_GFX90A:ACCUM_OFFSET: 0
; COMPUTE_PGM_RSRC3_GFX90A:TG_SPLIT: 0
	.section	.text._ZN7rocprim17ROCPRIM_400000_NS6detail17trampoline_kernelINS0_14default_configENS1_25transform_config_selectorImLb1EEEZNS1_14transform_implILb1ES3_S5_PmPlNS0_8identityIvEEEE10hipError_tT2_T3_mT4_P12ihipStream_tbEUlT_E_NS1_11comp_targetILNS1_3genE5ELNS1_11target_archE942ELNS1_3gpuE9ELNS1_3repE0EEENS1_30default_config_static_selectorELNS0_4arch9wavefront6targetE1EEEvT1_,"axG",@progbits,_ZN7rocprim17ROCPRIM_400000_NS6detail17trampoline_kernelINS0_14default_configENS1_25transform_config_selectorImLb1EEEZNS1_14transform_implILb1ES3_S5_PmPlNS0_8identityIvEEEE10hipError_tT2_T3_mT4_P12ihipStream_tbEUlT_E_NS1_11comp_targetILNS1_3genE5ELNS1_11target_archE942ELNS1_3gpuE9ELNS1_3repE0EEENS1_30default_config_static_selectorELNS0_4arch9wavefront6targetE1EEEvT1_,comdat
	.protected	_ZN7rocprim17ROCPRIM_400000_NS6detail17trampoline_kernelINS0_14default_configENS1_25transform_config_selectorImLb1EEEZNS1_14transform_implILb1ES3_S5_PmPlNS0_8identityIvEEEE10hipError_tT2_T3_mT4_P12ihipStream_tbEUlT_E_NS1_11comp_targetILNS1_3genE5ELNS1_11target_archE942ELNS1_3gpuE9ELNS1_3repE0EEENS1_30default_config_static_selectorELNS0_4arch9wavefront6targetE1EEEvT1_ ; -- Begin function _ZN7rocprim17ROCPRIM_400000_NS6detail17trampoline_kernelINS0_14default_configENS1_25transform_config_selectorImLb1EEEZNS1_14transform_implILb1ES3_S5_PmPlNS0_8identityIvEEEE10hipError_tT2_T3_mT4_P12ihipStream_tbEUlT_E_NS1_11comp_targetILNS1_3genE5ELNS1_11target_archE942ELNS1_3gpuE9ELNS1_3repE0EEENS1_30default_config_static_selectorELNS0_4arch9wavefront6targetE1EEEvT1_
	.globl	_ZN7rocprim17ROCPRIM_400000_NS6detail17trampoline_kernelINS0_14default_configENS1_25transform_config_selectorImLb1EEEZNS1_14transform_implILb1ES3_S5_PmPlNS0_8identityIvEEEE10hipError_tT2_T3_mT4_P12ihipStream_tbEUlT_E_NS1_11comp_targetILNS1_3genE5ELNS1_11target_archE942ELNS1_3gpuE9ELNS1_3repE0EEENS1_30default_config_static_selectorELNS0_4arch9wavefront6targetE1EEEvT1_
	.p2align	8
	.type	_ZN7rocprim17ROCPRIM_400000_NS6detail17trampoline_kernelINS0_14default_configENS1_25transform_config_selectorImLb1EEEZNS1_14transform_implILb1ES3_S5_PmPlNS0_8identityIvEEEE10hipError_tT2_T3_mT4_P12ihipStream_tbEUlT_E_NS1_11comp_targetILNS1_3genE5ELNS1_11target_archE942ELNS1_3gpuE9ELNS1_3repE0EEENS1_30default_config_static_selectorELNS0_4arch9wavefront6targetE1EEEvT1_,@function
_ZN7rocprim17ROCPRIM_400000_NS6detail17trampoline_kernelINS0_14default_configENS1_25transform_config_selectorImLb1EEEZNS1_14transform_implILb1ES3_S5_PmPlNS0_8identityIvEEEE10hipError_tT2_T3_mT4_P12ihipStream_tbEUlT_E_NS1_11comp_targetILNS1_3genE5ELNS1_11target_archE942ELNS1_3gpuE9ELNS1_3repE0EEENS1_30default_config_static_selectorELNS0_4arch9wavefront6targetE1EEEvT1_: ; @_ZN7rocprim17ROCPRIM_400000_NS6detail17trampoline_kernelINS0_14default_configENS1_25transform_config_selectorImLb1EEEZNS1_14transform_implILb1ES3_S5_PmPlNS0_8identityIvEEEE10hipError_tT2_T3_mT4_P12ihipStream_tbEUlT_E_NS1_11comp_targetILNS1_3genE5ELNS1_11target_archE942ELNS1_3gpuE9ELNS1_3repE0EEENS1_30default_config_static_selectorELNS0_4arch9wavefront6targetE1EEEvT1_
; %bb.0:
	.section	.rodata,"a",@progbits
	.p2align	6, 0x0
	.amdhsa_kernel _ZN7rocprim17ROCPRIM_400000_NS6detail17trampoline_kernelINS0_14default_configENS1_25transform_config_selectorImLb1EEEZNS1_14transform_implILb1ES3_S5_PmPlNS0_8identityIvEEEE10hipError_tT2_T3_mT4_P12ihipStream_tbEUlT_E_NS1_11comp_targetILNS1_3genE5ELNS1_11target_archE942ELNS1_3gpuE9ELNS1_3repE0EEENS1_30default_config_static_selectorELNS0_4arch9wavefront6targetE1EEEvT1_
		.amdhsa_group_segment_fixed_size 0
		.amdhsa_private_segment_fixed_size 0
		.amdhsa_kernarg_size 40
		.amdhsa_user_sgpr_count 2
		.amdhsa_user_sgpr_dispatch_ptr 0
		.amdhsa_user_sgpr_queue_ptr 0
		.amdhsa_user_sgpr_kernarg_segment_ptr 1
		.amdhsa_user_sgpr_dispatch_id 0
		.amdhsa_user_sgpr_kernarg_preload_length 0
		.amdhsa_user_sgpr_kernarg_preload_offset 0
		.amdhsa_user_sgpr_private_segment_size 0
		.amdhsa_uses_dynamic_stack 0
		.amdhsa_enable_private_segment 0
		.amdhsa_system_sgpr_workgroup_id_x 1
		.amdhsa_system_sgpr_workgroup_id_y 0
		.amdhsa_system_sgpr_workgroup_id_z 0
		.amdhsa_system_sgpr_workgroup_info 0
		.amdhsa_system_vgpr_workitem_id 0
		.amdhsa_next_free_vgpr 1
		.amdhsa_next_free_sgpr 0
		.amdhsa_accum_offset 4
		.amdhsa_reserve_vcc 0
		.amdhsa_float_round_mode_32 0
		.amdhsa_float_round_mode_16_64 0
		.amdhsa_float_denorm_mode_32 3
		.amdhsa_float_denorm_mode_16_64 3
		.amdhsa_dx10_clamp 1
		.amdhsa_ieee_mode 1
		.amdhsa_fp16_overflow 0
		.amdhsa_tg_split 0
		.amdhsa_exception_fp_ieee_invalid_op 0
		.amdhsa_exception_fp_denorm_src 0
		.amdhsa_exception_fp_ieee_div_zero 0
		.amdhsa_exception_fp_ieee_overflow 0
		.amdhsa_exception_fp_ieee_underflow 0
		.amdhsa_exception_fp_ieee_inexact 0
		.amdhsa_exception_int_div_zero 0
	.end_amdhsa_kernel
	.section	.text._ZN7rocprim17ROCPRIM_400000_NS6detail17trampoline_kernelINS0_14default_configENS1_25transform_config_selectorImLb1EEEZNS1_14transform_implILb1ES3_S5_PmPlNS0_8identityIvEEEE10hipError_tT2_T3_mT4_P12ihipStream_tbEUlT_E_NS1_11comp_targetILNS1_3genE5ELNS1_11target_archE942ELNS1_3gpuE9ELNS1_3repE0EEENS1_30default_config_static_selectorELNS0_4arch9wavefront6targetE1EEEvT1_,"axG",@progbits,_ZN7rocprim17ROCPRIM_400000_NS6detail17trampoline_kernelINS0_14default_configENS1_25transform_config_selectorImLb1EEEZNS1_14transform_implILb1ES3_S5_PmPlNS0_8identityIvEEEE10hipError_tT2_T3_mT4_P12ihipStream_tbEUlT_E_NS1_11comp_targetILNS1_3genE5ELNS1_11target_archE942ELNS1_3gpuE9ELNS1_3repE0EEENS1_30default_config_static_selectorELNS0_4arch9wavefront6targetE1EEEvT1_,comdat
.Lfunc_end47:
	.size	_ZN7rocprim17ROCPRIM_400000_NS6detail17trampoline_kernelINS0_14default_configENS1_25transform_config_selectorImLb1EEEZNS1_14transform_implILb1ES3_S5_PmPlNS0_8identityIvEEEE10hipError_tT2_T3_mT4_P12ihipStream_tbEUlT_E_NS1_11comp_targetILNS1_3genE5ELNS1_11target_archE942ELNS1_3gpuE9ELNS1_3repE0EEENS1_30default_config_static_selectorELNS0_4arch9wavefront6targetE1EEEvT1_, .Lfunc_end47-_ZN7rocprim17ROCPRIM_400000_NS6detail17trampoline_kernelINS0_14default_configENS1_25transform_config_selectorImLb1EEEZNS1_14transform_implILb1ES3_S5_PmPlNS0_8identityIvEEEE10hipError_tT2_T3_mT4_P12ihipStream_tbEUlT_E_NS1_11comp_targetILNS1_3genE5ELNS1_11target_archE942ELNS1_3gpuE9ELNS1_3repE0EEENS1_30default_config_static_selectorELNS0_4arch9wavefront6targetE1EEEvT1_
                                        ; -- End function
	.set _ZN7rocprim17ROCPRIM_400000_NS6detail17trampoline_kernelINS0_14default_configENS1_25transform_config_selectorImLb1EEEZNS1_14transform_implILb1ES3_S5_PmPlNS0_8identityIvEEEE10hipError_tT2_T3_mT4_P12ihipStream_tbEUlT_E_NS1_11comp_targetILNS1_3genE5ELNS1_11target_archE942ELNS1_3gpuE9ELNS1_3repE0EEENS1_30default_config_static_selectorELNS0_4arch9wavefront6targetE1EEEvT1_.num_vgpr, 0
	.set _ZN7rocprim17ROCPRIM_400000_NS6detail17trampoline_kernelINS0_14default_configENS1_25transform_config_selectorImLb1EEEZNS1_14transform_implILb1ES3_S5_PmPlNS0_8identityIvEEEE10hipError_tT2_T3_mT4_P12ihipStream_tbEUlT_E_NS1_11comp_targetILNS1_3genE5ELNS1_11target_archE942ELNS1_3gpuE9ELNS1_3repE0EEENS1_30default_config_static_selectorELNS0_4arch9wavefront6targetE1EEEvT1_.num_agpr, 0
	.set _ZN7rocprim17ROCPRIM_400000_NS6detail17trampoline_kernelINS0_14default_configENS1_25transform_config_selectorImLb1EEEZNS1_14transform_implILb1ES3_S5_PmPlNS0_8identityIvEEEE10hipError_tT2_T3_mT4_P12ihipStream_tbEUlT_E_NS1_11comp_targetILNS1_3genE5ELNS1_11target_archE942ELNS1_3gpuE9ELNS1_3repE0EEENS1_30default_config_static_selectorELNS0_4arch9wavefront6targetE1EEEvT1_.numbered_sgpr, 0
	.set _ZN7rocprim17ROCPRIM_400000_NS6detail17trampoline_kernelINS0_14default_configENS1_25transform_config_selectorImLb1EEEZNS1_14transform_implILb1ES3_S5_PmPlNS0_8identityIvEEEE10hipError_tT2_T3_mT4_P12ihipStream_tbEUlT_E_NS1_11comp_targetILNS1_3genE5ELNS1_11target_archE942ELNS1_3gpuE9ELNS1_3repE0EEENS1_30default_config_static_selectorELNS0_4arch9wavefront6targetE1EEEvT1_.num_named_barrier, 0
	.set _ZN7rocprim17ROCPRIM_400000_NS6detail17trampoline_kernelINS0_14default_configENS1_25transform_config_selectorImLb1EEEZNS1_14transform_implILb1ES3_S5_PmPlNS0_8identityIvEEEE10hipError_tT2_T3_mT4_P12ihipStream_tbEUlT_E_NS1_11comp_targetILNS1_3genE5ELNS1_11target_archE942ELNS1_3gpuE9ELNS1_3repE0EEENS1_30default_config_static_selectorELNS0_4arch9wavefront6targetE1EEEvT1_.private_seg_size, 0
	.set _ZN7rocprim17ROCPRIM_400000_NS6detail17trampoline_kernelINS0_14default_configENS1_25transform_config_selectorImLb1EEEZNS1_14transform_implILb1ES3_S5_PmPlNS0_8identityIvEEEE10hipError_tT2_T3_mT4_P12ihipStream_tbEUlT_E_NS1_11comp_targetILNS1_3genE5ELNS1_11target_archE942ELNS1_3gpuE9ELNS1_3repE0EEENS1_30default_config_static_selectorELNS0_4arch9wavefront6targetE1EEEvT1_.uses_vcc, 0
	.set _ZN7rocprim17ROCPRIM_400000_NS6detail17trampoline_kernelINS0_14default_configENS1_25transform_config_selectorImLb1EEEZNS1_14transform_implILb1ES3_S5_PmPlNS0_8identityIvEEEE10hipError_tT2_T3_mT4_P12ihipStream_tbEUlT_E_NS1_11comp_targetILNS1_3genE5ELNS1_11target_archE942ELNS1_3gpuE9ELNS1_3repE0EEENS1_30default_config_static_selectorELNS0_4arch9wavefront6targetE1EEEvT1_.uses_flat_scratch, 0
	.set _ZN7rocprim17ROCPRIM_400000_NS6detail17trampoline_kernelINS0_14default_configENS1_25transform_config_selectorImLb1EEEZNS1_14transform_implILb1ES3_S5_PmPlNS0_8identityIvEEEE10hipError_tT2_T3_mT4_P12ihipStream_tbEUlT_E_NS1_11comp_targetILNS1_3genE5ELNS1_11target_archE942ELNS1_3gpuE9ELNS1_3repE0EEENS1_30default_config_static_selectorELNS0_4arch9wavefront6targetE1EEEvT1_.has_dyn_sized_stack, 0
	.set _ZN7rocprim17ROCPRIM_400000_NS6detail17trampoline_kernelINS0_14default_configENS1_25transform_config_selectorImLb1EEEZNS1_14transform_implILb1ES3_S5_PmPlNS0_8identityIvEEEE10hipError_tT2_T3_mT4_P12ihipStream_tbEUlT_E_NS1_11comp_targetILNS1_3genE5ELNS1_11target_archE942ELNS1_3gpuE9ELNS1_3repE0EEENS1_30default_config_static_selectorELNS0_4arch9wavefront6targetE1EEEvT1_.has_recursion, 0
	.set _ZN7rocprim17ROCPRIM_400000_NS6detail17trampoline_kernelINS0_14default_configENS1_25transform_config_selectorImLb1EEEZNS1_14transform_implILb1ES3_S5_PmPlNS0_8identityIvEEEE10hipError_tT2_T3_mT4_P12ihipStream_tbEUlT_E_NS1_11comp_targetILNS1_3genE5ELNS1_11target_archE942ELNS1_3gpuE9ELNS1_3repE0EEENS1_30default_config_static_selectorELNS0_4arch9wavefront6targetE1EEEvT1_.has_indirect_call, 0
	.section	.AMDGPU.csdata,"",@progbits
; Kernel info:
; codeLenInByte = 0
; TotalNumSgprs: 6
; NumVgprs: 0
; NumAgprs: 0
; TotalNumVgprs: 0
; ScratchSize: 0
; MemoryBound: 0
; FloatMode: 240
; IeeeMode: 1
; LDSByteSize: 0 bytes/workgroup (compile time only)
; SGPRBlocks: 0
; VGPRBlocks: 0
; NumSGPRsForWavesPerEU: 6
; NumVGPRsForWavesPerEU: 1
; AccumOffset: 4
; Occupancy: 8
; WaveLimiterHint : 0
; COMPUTE_PGM_RSRC2:SCRATCH_EN: 0
; COMPUTE_PGM_RSRC2:USER_SGPR: 2
; COMPUTE_PGM_RSRC2:TRAP_HANDLER: 0
; COMPUTE_PGM_RSRC2:TGID_X_EN: 1
; COMPUTE_PGM_RSRC2:TGID_Y_EN: 0
; COMPUTE_PGM_RSRC2:TGID_Z_EN: 0
; COMPUTE_PGM_RSRC2:TIDIG_COMP_CNT: 0
; COMPUTE_PGM_RSRC3_GFX90A:ACCUM_OFFSET: 0
; COMPUTE_PGM_RSRC3_GFX90A:TG_SPLIT: 0
	.section	.text._ZN7rocprim17ROCPRIM_400000_NS6detail17trampoline_kernelINS0_14default_configENS1_25transform_config_selectorImLb1EEEZNS1_14transform_implILb1ES3_S5_PmPlNS0_8identityIvEEEE10hipError_tT2_T3_mT4_P12ihipStream_tbEUlT_E_NS1_11comp_targetILNS1_3genE4ELNS1_11target_archE910ELNS1_3gpuE8ELNS1_3repE0EEENS1_30default_config_static_selectorELNS0_4arch9wavefront6targetE1EEEvT1_,"axG",@progbits,_ZN7rocprim17ROCPRIM_400000_NS6detail17trampoline_kernelINS0_14default_configENS1_25transform_config_selectorImLb1EEEZNS1_14transform_implILb1ES3_S5_PmPlNS0_8identityIvEEEE10hipError_tT2_T3_mT4_P12ihipStream_tbEUlT_E_NS1_11comp_targetILNS1_3genE4ELNS1_11target_archE910ELNS1_3gpuE8ELNS1_3repE0EEENS1_30default_config_static_selectorELNS0_4arch9wavefront6targetE1EEEvT1_,comdat
	.protected	_ZN7rocprim17ROCPRIM_400000_NS6detail17trampoline_kernelINS0_14default_configENS1_25transform_config_selectorImLb1EEEZNS1_14transform_implILb1ES3_S5_PmPlNS0_8identityIvEEEE10hipError_tT2_T3_mT4_P12ihipStream_tbEUlT_E_NS1_11comp_targetILNS1_3genE4ELNS1_11target_archE910ELNS1_3gpuE8ELNS1_3repE0EEENS1_30default_config_static_selectorELNS0_4arch9wavefront6targetE1EEEvT1_ ; -- Begin function _ZN7rocprim17ROCPRIM_400000_NS6detail17trampoline_kernelINS0_14default_configENS1_25transform_config_selectorImLb1EEEZNS1_14transform_implILb1ES3_S5_PmPlNS0_8identityIvEEEE10hipError_tT2_T3_mT4_P12ihipStream_tbEUlT_E_NS1_11comp_targetILNS1_3genE4ELNS1_11target_archE910ELNS1_3gpuE8ELNS1_3repE0EEENS1_30default_config_static_selectorELNS0_4arch9wavefront6targetE1EEEvT1_
	.globl	_ZN7rocprim17ROCPRIM_400000_NS6detail17trampoline_kernelINS0_14default_configENS1_25transform_config_selectorImLb1EEEZNS1_14transform_implILb1ES3_S5_PmPlNS0_8identityIvEEEE10hipError_tT2_T3_mT4_P12ihipStream_tbEUlT_E_NS1_11comp_targetILNS1_3genE4ELNS1_11target_archE910ELNS1_3gpuE8ELNS1_3repE0EEENS1_30default_config_static_selectorELNS0_4arch9wavefront6targetE1EEEvT1_
	.p2align	8
	.type	_ZN7rocprim17ROCPRIM_400000_NS6detail17trampoline_kernelINS0_14default_configENS1_25transform_config_selectorImLb1EEEZNS1_14transform_implILb1ES3_S5_PmPlNS0_8identityIvEEEE10hipError_tT2_T3_mT4_P12ihipStream_tbEUlT_E_NS1_11comp_targetILNS1_3genE4ELNS1_11target_archE910ELNS1_3gpuE8ELNS1_3repE0EEENS1_30default_config_static_selectorELNS0_4arch9wavefront6targetE1EEEvT1_,@function
_ZN7rocprim17ROCPRIM_400000_NS6detail17trampoline_kernelINS0_14default_configENS1_25transform_config_selectorImLb1EEEZNS1_14transform_implILb1ES3_S5_PmPlNS0_8identityIvEEEE10hipError_tT2_T3_mT4_P12ihipStream_tbEUlT_E_NS1_11comp_targetILNS1_3genE4ELNS1_11target_archE910ELNS1_3gpuE8ELNS1_3repE0EEENS1_30default_config_static_selectorELNS0_4arch9wavefront6targetE1EEEvT1_: ; @_ZN7rocprim17ROCPRIM_400000_NS6detail17trampoline_kernelINS0_14default_configENS1_25transform_config_selectorImLb1EEEZNS1_14transform_implILb1ES3_S5_PmPlNS0_8identityIvEEEE10hipError_tT2_T3_mT4_P12ihipStream_tbEUlT_E_NS1_11comp_targetILNS1_3genE4ELNS1_11target_archE910ELNS1_3gpuE8ELNS1_3repE0EEENS1_30default_config_static_selectorELNS0_4arch9wavefront6targetE1EEEvT1_
; %bb.0:
	.section	.rodata,"a",@progbits
	.p2align	6, 0x0
	.amdhsa_kernel _ZN7rocprim17ROCPRIM_400000_NS6detail17trampoline_kernelINS0_14default_configENS1_25transform_config_selectorImLb1EEEZNS1_14transform_implILb1ES3_S5_PmPlNS0_8identityIvEEEE10hipError_tT2_T3_mT4_P12ihipStream_tbEUlT_E_NS1_11comp_targetILNS1_3genE4ELNS1_11target_archE910ELNS1_3gpuE8ELNS1_3repE0EEENS1_30default_config_static_selectorELNS0_4arch9wavefront6targetE1EEEvT1_
		.amdhsa_group_segment_fixed_size 0
		.amdhsa_private_segment_fixed_size 0
		.amdhsa_kernarg_size 40
		.amdhsa_user_sgpr_count 2
		.amdhsa_user_sgpr_dispatch_ptr 0
		.amdhsa_user_sgpr_queue_ptr 0
		.amdhsa_user_sgpr_kernarg_segment_ptr 1
		.amdhsa_user_sgpr_dispatch_id 0
		.amdhsa_user_sgpr_kernarg_preload_length 0
		.amdhsa_user_sgpr_kernarg_preload_offset 0
		.amdhsa_user_sgpr_private_segment_size 0
		.amdhsa_uses_dynamic_stack 0
		.amdhsa_enable_private_segment 0
		.amdhsa_system_sgpr_workgroup_id_x 1
		.amdhsa_system_sgpr_workgroup_id_y 0
		.amdhsa_system_sgpr_workgroup_id_z 0
		.amdhsa_system_sgpr_workgroup_info 0
		.amdhsa_system_vgpr_workitem_id 0
		.amdhsa_next_free_vgpr 1
		.amdhsa_next_free_sgpr 0
		.amdhsa_accum_offset 4
		.amdhsa_reserve_vcc 0
		.amdhsa_float_round_mode_32 0
		.amdhsa_float_round_mode_16_64 0
		.amdhsa_float_denorm_mode_32 3
		.amdhsa_float_denorm_mode_16_64 3
		.amdhsa_dx10_clamp 1
		.amdhsa_ieee_mode 1
		.amdhsa_fp16_overflow 0
		.amdhsa_tg_split 0
		.amdhsa_exception_fp_ieee_invalid_op 0
		.amdhsa_exception_fp_denorm_src 0
		.amdhsa_exception_fp_ieee_div_zero 0
		.amdhsa_exception_fp_ieee_overflow 0
		.amdhsa_exception_fp_ieee_underflow 0
		.amdhsa_exception_fp_ieee_inexact 0
		.amdhsa_exception_int_div_zero 0
	.end_amdhsa_kernel
	.section	.text._ZN7rocprim17ROCPRIM_400000_NS6detail17trampoline_kernelINS0_14default_configENS1_25transform_config_selectorImLb1EEEZNS1_14transform_implILb1ES3_S5_PmPlNS0_8identityIvEEEE10hipError_tT2_T3_mT4_P12ihipStream_tbEUlT_E_NS1_11comp_targetILNS1_3genE4ELNS1_11target_archE910ELNS1_3gpuE8ELNS1_3repE0EEENS1_30default_config_static_selectorELNS0_4arch9wavefront6targetE1EEEvT1_,"axG",@progbits,_ZN7rocprim17ROCPRIM_400000_NS6detail17trampoline_kernelINS0_14default_configENS1_25transform_config_selectorImLb1EEEZNS1_14transform_implILb1ES3_S5_PmPlNS0_8identityIvEEEE10hipError_tT2_T3_mT4_P12ihipStream_tbEUlT_E_NS1_11comp_targetILNS1_3genE4ELNS1_11target_archE910ELNS1_3gpuE8ELNS1_3repE0EEENS1_30default_config_static_selectorELNS0_4arch9wavefront6targetE1EEEvT1_,comdat
.Lfunc_end48:
	.size	_ZN7rocprim17ROCPRIM_400000_NS6detail17trampoline_kernelINS0_14default_configENS1_25transform_config_selectorImLb1EEEZNS1_14transform_implILb1ES3_S5_PmPlNS0_8identityIvEEEE10hipError_tT2_T3_mT4_P12ihipStream_tbEUlT_E_NS1_11comp_targetILNS1_3genE4ELNS1_11target_archE910ELNS1_3gpuE8ELNS1_3repE0EEENS1_30default_config_static_selectorELNS0_4arch9wavefront6targetE1EEEvT1_, .Lfunc_end48-_ZN7rocprim17ROCPRIM_400000_NS6detail17trampoline_kernelINS0_14default_configENS1_25transform_config_selectorImLb1EEEZNS1_14transform_implILb1ES3_S5_PmPlNS0_8identityIvEEEE10hipError_tT2_T3_mT4_P12ihipStream_tbEUlT_E_NS1_11comp_targetILNS1_3genE4ELNS1_11target_archE910ELNS1_3gpuE8ELNS1_3repE0EEENS1_30default_config_static_selectorELNS0_4arch9wavefront6targetE1EEEvT1_
                                        ; -- End function
	.set _ZN7rocprim17ROCPRIM_400000_NS6detail17trampoline_kernelINS0_14default_configENS1_25transform_config_selectorImLb1EEEZNS1_14transform_implILb1ES3_S5_PmPlNS0_8identityIvEEEE10hipError_tT2_T3_mT4_P12ihipStream_tbEUlT_E_NS1_11comp_targetILNS1_3genE4ELNS1_11target_archE910ELNS1_3gpuE8ELNS1_3repE0EEENS1_30default_config_static_selectorELNS0_4arch9wavefront6targetE1EEEvT1_.num_vgpr, 0
	.set _ZN7rocprim17ROCPRIM_400000_NS6detail17trampoline_kernelINS0_14default_configENS1_25transform_config_selectorImLb1EEEZNS1_14transform_implILb1ES3_S5_PmPlNS0_8identityIvEEEE10hipError_tT2_T3_mT4_P12ihipStream_tbEUlT_E_NS1_11comp_targetILNS1_3genE4ELNS1_11target_archE910ELNS1_3gpuE8ELNS1_3repE0EEENS1_30default_config_static_selectorELNS0_4arch9wavefront6targetE1EEEvT1_.num_agpr, 0
	.set _ZN7rocprim17ROCPRIM_400000_NS6detail17trampoline_kernelINS0_14default_configENS1_25transform_config_selectorImLb1EEEZNS1_14transform_implILb1ES3_S5_PmPlNS0_8identityIvEEEE10hipError_tT2_T3_mT4_P12ihipStream_tbEUlT_E_NS1_11comp_targetILNS1_3genE4ELNS1_11target_archE910ELNS1_3gpuE8ELNS1_3repE0EEENS1_30default_config_static_selectorELNS0_4arch9wavefront6targetE1EEEvT1_.numbered_sgpr, 0
	.set _ZN7rocprim17ROCPRIM_400000_NS6detail17trampoline_kernelINS0_14default_configENS1_25transform_config_selectorImLb1EEEZNS1_14transform_implILb1ES3_S5_PmPlNS0_8identityIvEEEE10hipError_tT2_T3_mT4_P12ihipStream_tbEUlT_E_NS1_11comp_targetILNS1_3genE4ELNS1_11target_archE910ELNS1_3gpuE8ELNS1_3repE0EEENS1_30default_config_static_selectorELNS0_4arch9wavefront6targetE1EEEvT1_.num_named_barrier, 0
	.set _ZN7rocprim17ROCPRIM_400000_NS6detail17trampoline_kernelINS0_14default_configENS1_25transform_config_selectorImLb1EEEZNS1_14transform_implILb1ES3_S5_PmPlNS0_8identityIvEEEE10hipError_tT2_T3_mT4_P12ihipStream_tbEUlT_E_NS1_11comp_targetILNS1_3genE4ELNS1_11target_archE910ELNS1_3gpuE8ELNS1_3repE0EEENS1_30default_config_static_selectorELNS0_4arch9wavefront6targetE1EEEvT1_.private_seg_size, 0
	.set _ZN7rocprim17ROCPRIM_400000_NS6detail17trampoline_kernelINS0_14default_configENS1_25transform_config_selectorImLb1EEEZNS1_14transform_implILb1ES3_S5_PmPlNS0_8identityIvEEEE10hipError_tT2_T3_mT4_P12ihipStream_tbEUlT_E_NS1_11comp_targetILNS1_3genE4ELNS1_11target_archE910ELNS1_3gpuE8ELNS1_3repE0EEENS1_30default_config_static_selectorELNS0_4arch9wavefront6targetE1EEEvT1_.uses_vcc, 0
	.set _ZN7rocprim17ROCPRIM_400000_NS6detail17trampoline_kernelINS0_14default_configENS1_25transform_config_selectorImLb1EEEZNS1_14transform_implILb1ES3_S5_PmPlNS0_8identityIvEEEE10hipError_tT2_T3_mT4_P12ihipStream_tbEUlT_E_NS1_11comp_targetILNS1_3genE4ELNS1_11target_archE910ELNS1_3gpuE8ELNS1_3repE0EEENS1_30default_config_static_selectorELNS0_4arch9wavefront6targetE1EEEvT1_.uses_flat_scratch, 0
	.set _ZN7rocprim17ROCPRIM_400000_NS6detail17trampoline_kernelINS0_14default_configENS1_25transform_config_selectorImLb1EEEZNS1_14transform_implILb1ES3_S5_PmPlNS0_8identityIvEEEE10hipError_tT2_T3_mT4_P12ihipStream_tbEUlT_E_NS1_11comp_targetILNS1_3genE4ELNS1_11target_archE910ELNS1_3gpuE8ELNS1_3repE0EEENS1_30default_config_static_selectorELNS0_4arch9wavefront6targetE1EEEvT1_.has_dyn_sized_stack, 0
	.set _ZN7rocprim17ROCPRIM_400000_NS6detail17trampoline_kernelINS0_14default_configENS1_25transform_config_selectorImLb1EEEZNS1_14transform_implILb1ES3_S5_PmPlNS0_8identityIvEEEE10hipError_tT2_T3_mT4_P12ihipStream_tbEUlT_E_NS1_11comp_targetILNS1_3genE4ELNS1_11target_archE910ELNS1_3gpuE8ELNS1_3repE0EEENS1_30default_config_static_selectorELNS0_4arch9wavefront6targetE1EEEvT1_.has_recursion, 0
	.set _ZN7rocprim17ROCPRIM_400000_NS6detail17trampoline_kernelINS0_14default_configENS1_25transform_config_selectorImLb1EEEZNS1_14transform_implILb1ES3_S5_PmPlNS0_8identityIvEEEE10hipError_tT2_T3_mT4_P12ihipStream_tbEUlT_E_NS1_11comp_targetILNS1_3genE4ELNS1_11target_archE910ELNS1_3gpuE8ELNS1_3repE0EEENS1_30default_config_static_selectorELNS0_4arch9wavefront6targetE1EEEvT1_.has_indirect_call, 0
	.section	.AMDGPU.csdata,"",@progbits
; Kernel info:
; codeLenInByte = 0
; TotalNumSgprs: 6
; NumVgprs: 0
; NumAgprs: 0
; TotalNumVgprs: 0
; ScratchSize: 0
; MemoryBound: 0
; FloatMode: 240
; IeeeMode: 1
; LDSByteSize: 0 bytes/workgroup (compile time only)
; SGPRBlocks: 0
; VGPRBlocks: 0
; NumSGPRsForWavesPerEU: 6
; NumVGPRsForWavesPerEU: 1
; AccumOffset: 4
; Occupancy: 8
; WaveLimiterHint : 0
; COMPUTE_PGM_RSRC2:SCRATCH_EN: 0
; COMPUTE_PGM_RSRC2:USER_SGPR: 2
; COMPUTE_PGM_RSRC2:TRAP_HANDLER: 0
; COMPUTE_PGM_RSRC2:TGID_X_EN: 1
; COMPUTE_PGM_RSRC2:TGID_Y_EN: 0
; COMPUTE_PGM_RSRC2:TGID_Z_EN: 0
; COMPUTE_PGM_RSRC2:TIDIG_COMP_CNT: 0
; COMPUTE_PGM_RSRC3_GFX90A:ACCUM_OFFSET: 0
; COMPUTE_PGM_RSRC3_GFX90A:TG_SPLIT: 0
	.section	.text._ZN7rocprim17ROCPRIM_400000_NS6detail17trampoline_kernelINS0_14default_configENS1_25transform_config_selectorImLb1EEEZNS1_14transform_implILb1ES3_S5_PmPlNS0_8identityIvEEEE10hipError_tT2_T3_mT4_P12ihipStream_tbEUlT_E_NS1_11comp_targetILNS1_3genE3ELNS1_11target_archE908ELNS1_3gpuE7ELNS1_3repE0EEENS1_30default_config_static_selectorELNS0_4arch9wavefront6targetE1EEEvT1_,"axG",@progbits,_ZN7rocprim17ROCPRIM_400000_NS6detail17trampoline_kernelINS0_14default_configENS1_25transform_config_selectorImLb1EEEZNS1_14transform_implILb1ES3_S5_PmPlNS0_8identityIvEEEE10hipError_tT2_T3_mT4_P12ihipStream_tbEUlT_E_NS1_11comp_targetILNS1_3genE3ELNS1_11target_archE908ELNS1_3gpuE7ELNS1_3repE0EEENS1_30default_config_static_selectorELNS0_4arch9wavefront6targetE1EEEvT1_,comdat
	.protected	_ZN7rocprim17ROCPRIM_400000_NS6detail17trampoline_kernelINS0_14default_configENS1_25transform_config_selectorImLb1EEEZNS1_14transform_implILb1ES3_S5_PmPlNS0_8identityIvEEEE10hipError_tT2_T3_mT4_P12ihipStream_tbEUlT_E_NS1_11comp_targetILNS1_3genE3ELNS1_11target_archE908ELNS1_3gpuE7ELNS1_3repE0EEENS1_30default_config_static_selectorELNS0_4arch9wavefront6targetE1EEEvT1_ ; -- Begin function _ZN7rocprim17ROCPRIM_400000_NS6detail17trampoline_kernelINS0_14default_configENS1_25transform_config_selectorImLb1EEEZNS1_14transform_implILb1ES3_S5_PmPlNS0_8identityIvEEEE10hipError_tT2_T3_mT4_P12ihipStream_tbEUlT_E_NS1_11comp_targetILNS1_3genE3ELNS1_11target_archE908ELNS1_3gpuE7ELNS1_3repE0EEENS1_30default_config_static_selectorELNS0_4arch9wavefront6targetE1EEEvT1_
	.globl	_ZN7rocprim17ROCPRIM_400000_NS6detail17trampoline_kernelINS0_14default_configENS1_25transform_config_selectorImLb1EEEZNS1_14transform_implILb1ES3_S5_PmPlNS0_8identityIvEEEE10hipError_tT2_T3_mT4_P12ihipStream_tbEUlT_E_NS1_11comp_targetILNS1_3genE3ELNS1_11target_archE908ELNS1_3gpuE7ELNS1_3repE0EEENS1_30default_config_static_selectorELNS0_4arch9wavefront6targetE1EEEvT1_
	.p2align	8
	.type	_ZN7rocprim17ROCPRIM_400000_NS6detail17trampoline_kernelINS0_14default_configENS1_25transform_config_selectorImLb1EEEZNS1_14transform_implILb1ES3_S5_PmPlNS0_8identityIvEEEE10hipError_tT2_T3_mT4_P12ihipStream_tbEUlT_E_NS1_11comp_targetILNS1_3genE3ELNS1_11target_archE908ELNS1_3gpuE7ELNS1_3repE0EEENS1_30default_config_static_selectorELNS0_4arch9wavefront6targetE1EEEvT1_,@function
_ZN7rocprim17ROCPRIM_400000_NS6detail17trampoline_kernelINS0_14default_configENS1_25transform_config_selectorImLb1EEEZNS1_14transform_implILb1ES3_S5_PmPlNS0_8identityIvEEEE10hipError_tT2_T3_mT4_P12ihipStream_tbEUlT_E_NS1_11comp_targetILNS1_3genE3ELNS1_11target_archE908ELNS1_3gpuE7ELNS1_3repE0EEENS1_30default_config_static_selectorELNS0_4arch9wavefront6targetE1EEEvT1_: ; @_ZN7rocprim17ROCPRIM_400000_NS6detail17trampoline_kernelINS0_14default_configENS1_25transform_config_selectorImLb1EEEZNS1_14transform_implILb1ES3_S5_PmPlNS0_8identityIvEEEE10hipError_tT2_T3_mT4_P12ihipStream_tbEUlT_E_NS1_11comp_targetILNS1_3genE3ELNS1_11target_archE908ELNS1_3gpuE7ELNS1_3repE0EEENS1_30default_config_static_selectorELNS0_4arch9wavefront6targetE1EEEvT1_
; %bb.0:
	.section	.rodata,"a",@progbits
	.p2align	6, 0x0
	.amdhsa_kernel _ZN7rocprim17ROCPRIM_400000_NS6detail17trampoline_kernelINS0_14default_configENS1_25transform_config_selectorImLb1EEEZNS1_14transform_implILb1ES3_S5_PmPlNS0_8identityIvEEEE10hipError_tT2_T3_mT4_P12ihipStream_tbEUlT_E_NS1_11comp_targetILNS1_3genE3ELNS1_11target_archE908ELNS1_3gpuE7ELNS1_3repE0EEENS1_30default_config_static_selectorELNS0_4arch9wavefront6targetE1EEEvT1_
		.amdhsa_group_segment_fixed_size 0
		.amdhsa_private_segment_fixed_size 0
		.amdhsa_kernarg_size 40
		.amdhsa_user_sgpr_count 2
		.amdhsa_user_sgpr_dispatch_ptr 0
		.amdhsa_user_sgpr_queue_ptr 0
		.amdhsa_user_sgpr_kernarg_segment_ptr 1
		.amdhsa_user_sgpr_dispatch_id 0
		.amdhsa_user_sgpr_kernarg_preload_length 0
		.amdhsa_user_sgpr_kernarg_preload_offset 0
		.amdhsa_user_sgpr_private_segment_size 0
		.amdhsa_uses_dynamic_stack 0
		.amdhsa_enable_private_segment 0
		.amdhsa_system_sgpr_workgroup_id_x 1
		.amdhsa_system_sgpr_workgroup_id_y 0
		.amdhsa_system_sgpr_workgroup_id_z 0
		.amdhsa_system_sgpr_workgroup_info 0
		.amdhsa_system_vgpr_workitem_id 0
		.amdhsa_next_free_vgpr 1
		.amdhsa_next_free_sgpr 0
		.amdhsa_accum_offset 4
		.amdhsa_reserve_vcc 0
		.amdhsa_float_round_mode_32 0
		.amdhsa_float_round_mode_16_64 0
		.amdhsa_float_denorm_mode_32 3
		.amdhsa_float_denorm_mode_16_64 3
		.amdhsa_dx10_clamp 1
		.amdhsa_ieee_mode 1
		.amdhsa_fp16_overflow 0
		.amdhsa_tg_split 0
		.amdhsa_exception_fp_ieee_invalid_op 0
		.amdhsa_exception_fp_denorm_src 0
		.amdhsa_exception_fp_ieee_div_zero 0
		.amdhsa_exception_fp_ieee_overflow 0
		.amdhsa_exception_fp_ieee_underflow 0
		.amdhsa_exception_fp_ieee_inexact 0
		.amdhsa_exception_int_div_zero 0
	.end_amdhsa_kernel
	.section	.text._ZN7rocprim17ROCPRIM_400000_NS6detail17trampoline_kernelINS0_14default_configENS1_25transform_config_selectorImLb1EEEZNS1_14transform_implILb1ES3_S5_PmPlNS0_8identityIvEEEE10hipError_tT2_T3_mT4_P12ihipStream_tbEUlT_E_NS1_11comp_targetILNS1_3genE3ELNS1_11target_archE908ELNS1_3gpuE7ELNS1_3repE0EEENS1_30default_config_static_selectorELNS0_4arch9wavefront6targetE1EEEvT1_,"axG",@progbits,_ZN7rocprim17ROCPRIM_400000_NS6detail17trampoline_kernelINS0_14default_configENS1_25transform_config_selectorImLb1EEEZNS1_14transform_implILb1ES3_S5_PmPlNS0_8identityIvEEEE10hipError_tT2_T3_mT4_P12ihipStream_tbEUlT_E_NS1_11comp_targetILNS1_3genE3ELNS1_11target_archE908ELNS1_3gpuE7ELNS1_3repE0EEENS1_30default_config_static_selectorELNS0_4arch9wavefront6targetE1EEEvT1_,comdat
.Lfunc_end49:
	.size	_ZN7rocprim17ROCPRIM_400000_NS6detail17trampoline_kernelINS0_14default_configENS1_25transform_config_selectorImLb1EEEZNS1_14transform_implILb1ES3_S5_PmPlNS0_8identityIvEEEE10hipError_tT2_T3_mT4_P12ihipStream_tbEUlT_E_NS1_11comp_targetILNS1_3genE3ELNS1_11target_archE908ELNS1_3gpuE7ELNS1_3repE0EEENS1_30default_config_static_selectorELNS0_4arch9wavefront6targetE1EEEvT1_, .Lfunc_end49-_ZN7rocprim17ROCPRIM_400000_NS6detail17trampoline_kernelINS0_14default_configENS1_25transform_config_selectorImLb1EEEZNS1_14transform_implILb1ES3_S5_PmPlNS0_8identityIvEEEE10hipError_tT2_T3_mT4_P12ihipStream_tbEUlT_E_NS1_11comp_targetILNS1_3genE3ELNS1_11target_archE908ELNS1_3gpuE7ELNS1_3repE0EEENS1_30default_config_static_selectorELNS0_4arch9wavefront6targetE1EEEvT1_
                                        ; -- End function
	.set _ZN7rocprim17ROCPRIM_400000_NS6detail17trampoline_kernelINS0_14default_configENS1_25transform_config_selectorImLb1EEEZNS1_14transform_implILb1ES3_S5_PmPlNS0_8identityIvEEEE10hipError_tT2_T3_mT4_P12ihipStream_tbEUlT_E_NS1_11comp_targetILNS1_3genE3ELNS1_11target_archE908ELNS1_3gpuE7ELNS1_3repE0EEENS1_30default_config_static_selectorELNS0_4arch9wavefront6targetE1EEEvT1_.num_vgpr, 0
	.set _ZN7rocprim17ROCPRIM_400000_NS6detail17trampoline_kernelINS0_14default_configENS1_25transform_config_selectorImLb1EEEZNS1_14transform_implILb1ES3_S5_PmPlNS0_8identityIvEEEE10hipError_tT2_T3_mT4_P12ihipStream_tbEUlT_E_NS1_11comp_targetILNS1_3genE3ELNS1_11target_archE908ELNS1_3gpuE7ELNS1_3repE0EEENS1_30default_config_static_selectorELNS0_4arch9wavefront6targetE1EEEvT1_.num_agpr, 0
	.set _ZN7rocprim17ROCPRIM_400000_NS6detail17trampoline_kernelINS0_14default_configENS1_25transform_config_selectorImLb1EEEZNS1_14transform_implILb1ES3_S5_PmPlNS0_8identityIvEEEE10hipError_tT2_T3_mT4_P12ihipStream_tbEUlT_E_NS1_11comp_targetILNS1_3genE3ELNS1_11target_archE908ELNS1_3gpuE7ELNS1_3repE0EEENS1_30default_config_static_selectorELNS0_4arch9wavefront6targetE1EEEvT1_.numbered_sgpr, 0
	.set _ZN7rocprim17ROCPRIM_400000_NS6detail17trampoline_kernelINS0_14default_configENS1_25transform_config_selectorImLb1EEEZNS1_14transform_implILb1ES3_S5_PmPlNS0_8identityIvEEEE10hipError_tT2_T3_mT4_P12ihipStream_tbEUlT_E_NS1_11comp_targetILNS1_3genE3ELNS1_11target_archE908ELNS1_3gpuE7ELNS1_3repE0EEENS1_30default_config_static_selectorELNS0_4arch9wavefront6targetE1EEEvT1_.num_named_barrier, 0
	.set _ZN7rocprim17ROCPRIM_400000_NS6detail17trampoline_kernelINS0_14default_configENS1_25transform_config_selectorImLb1EEEZNS1_14transform_implILb1ES3_S5_PmPlNS0_8identityIvEEEE10hipError_tT2_T3_mT4_P12ihipStream_tbEUlT_E_NS1_11comp_targetILNS1_3genE3ELNS1_11target_archE908ELNS1_3gpuE7ELNS1_3repE0EEENS1_30default_config_static_selectorELNS0_4arch9wavefront6targetE1EEEvT1_.private_seg_size, 0
	.set _ZN7rocprim17ROCPRIM_400000_NS6detail17trampoline_kernelINS0_14default_configENS1_25transform_config_selectorImLb1EEEZNS1_14transform_implILb1ES3_S5_PmPlNS0_8identityIvEEEE10hipError_tT2_T3_mT4_P12ihipStream_tbEUlT_E_NS1_11comp_targetILNS1_3genE3ELNS1_11target_archE908ELNS1_3gpuE7ELNS1_3repE0EEENS1_30default_config_static_selectorELNS0_4arch9wavefront6targetE1EEEvT1_.uses_vcc, 0
	.set _ZN7rocprim17ROCPRIM_400000_NS6detail17trampoline_kernelINS0_14default_configENS1_25transform_config_selectorImLb1EEEZNS1_14transform_implILb1ES3_S5_PmPlNS0_8identityIvEEEE10hipError_tT2_T3_mT4_P12ihipStream_tbEUlT_E_NS1_11comp_targetILNS1_3genE3ELNS1_11target_archE908ELNS1_3gpuE7ELNS1_3repE0EEENS1_30default_config_static_selectorELNS0_4arch9wavefront6targetE1EEEvT1_.uses_flat_scratch, 0
	.set _ZN7rocprim17ROCPRIM_400000_NS6detail17trampoline_kernelINS0_14default_configENS1_25transform_config_selectorImLb1EEEZNS1_14transform_implILb1ES3_S5_PmPlNS0_8identityIvEEEE10hipError_tT2_T3_mT4_P12ihipStream_tbEUlT_E_NS1_11comp_targetILNS1_3genE3ELNS1_11target_archE908ELNS1_3gpuE7ELNS1_3repE0EEENS1_30default_config_static_selectorELNS0_4arch9wavefront6targetE1EEEvT1_.has_dyn_sized_stack, 0
	.set _ZN7rocprim17ROCPRIM_400000_NS6detail17trampoline_kernelINS0_14default_configENS1_25transform_config_selectorImLb1EEEZNS1_14transform_implILb1ES3_S5_PmPlNS0_8identityIvEEEE10hipError_tT2_T3_mT4_P12ihipStream_tbEUlT_E_NS1_11comp_targetILNS1_3genE3ELNS1_11target_archE908ELNS1_3gpuE7ELNS1_3repE0EEENS1_30default_config_static_selectorELNS0_4arch9wavefront6targetE1EEEvT1_.has_recursion, 0
	.set _ZN7rocprim17ROCPRIM_400000_NS6detail17trampoline_kernelINS0_14default_configENS1_25transform_config_selectorImLb1EEEZNS1_14transform_implILb1ES3_S5_PmPlNS0_8identityIvEEEE10hipError_tT2_T3_mT4_P12ihipStream_tbEUlT_E_NS1_11comp_targetILNS1_3genE3ELNS1_11target_archE908ELNS1_3gpuE7ELNS1_3repE0EEENS1_30default_config_static_selectorELNS0_4arch9wavefront6targetE1EEEvT1_.has_indirect_call, 0
	.section	.AMDGPU.csdata,"",@progbits
; Kernel info:
; codeLenInByte = 0
; TotalNumSgprs: 6
; NumVgprs: 0
; NumAgprs: 0
; TotalNumVgprs: 0
; ScratchSize: 0
; MemoryBound: 0
; FloatMode: 240
; IeeeMode: 1
; LDSByteSize: 0 bytes/workgroup (compile time only)
; SGPRBlocks: 0
; VGPRBlocks: 0
; NumSGPRsForWavesPerEU: 6
; NumVGPRsForWavesPerEU: 1
; AccumOffset: 4
; Occupancy: 8
; WaveLimiterHint : 0
; COMPUTE_PGM_RSRC2:SCRATCH_EN: 0
; COMPUTE_PGM_RSRC2:USER_SGPR: 2
; COMPUTE_PGM_RSRC2:TRAP_HANDLER: 0
; COMPUTE_PGM_RSRC2:TGID_X_EN: 1
; COMPUTE_PGM_RSRC2:TGID_Y_EN: 0
; COMPUTE_PGM_RSRC2:TGID_Z_EN: 0
; COMPUTE_PGM_RSRC2:TIDIG_COMP_CNT: 0
; COMPUTE_PGM_RSRC3_GFX90A:ACCUM_OFFSET: 0
; COMPUTE_PGM_RSRC3_GFX90A:TG_SPLIT: 0
	.section	.text._ZN7rocprim17ROCPRIM_400000_NS6detail17trampoline_kernelINS0_14default_configENS1_25transform_config_selectorImLb1EEEZNS1_14transform_implILb1ES3_S5_PmPlNS0_8identityIvEEEE10hipError_tT2_T3_mT4_P12ihipStream_tbEUlT_E_NS1_11comp_targetILNS1_3genE2ELNS1_11target_archE906ELNS1_3gpuE6ELNS1_3repE0EEENS1_30default_config_static_selectorELNS0_4arch9wavefront6targetE1EEEvT1_,"axG",@progbits,_ZN7rocprim17ROCPRIM_400000_NS6detail17trampoline_kernelINS0_14default_configENS1_25transform_config_selectorImLb1EEEZNS1_14transform_implILb1ES3_S5_PmPlNS0_8identityIvEEEE10hipError_tT2_T3_mT4_P12ihipStream_tbEUlT_E_NS1_11comp_targetILNS1_3genE2ELNS1_11target_archE906ELNS1_3gpuE6ELNS1_3repE0EEENS1_30default_config_static_selectorELNS0_4arch9wavefront6targetE1EEEvT1_,comdat
	.protected	_ZN7rocprim17ROCPRIM_400000_NS6detail17trampoline_kernelINS0_14default_configENS1_25transform_config_selectorImLb1EEEZNS1_14transform_implILb1ES3_S5_PmPlNS0_8identityIvEEEE10hipError_tT2_T3_mT4_P12ihipStream_tbEUlT_E_NS1_11comp_targetILNS1_3genE2ELNS1_11target_archE906ELNS1_3gpuE6ELNS1_3repE0EEENS1_30default_config_static_selectorELNS0_4arch9wavefront6targetE1EEEvT1_ ; -- Begin function _ZN7rocprim17ROCPRIM_400000_NS6detail17trampoline_kernelINS0_14default_configENS1_25transform_config_selectorImLb1EEEZNS1_14transform_implILb1ES3_S5_PmPlNS0_8identityIvEEEE10hipError_tT2_T3_mT4_P12ihipStream_tbEUlT_E_NS1_11comp_targetILNS1_3genE2ELNS1_11target_archE906ELNS1_3gpuE6ELNS1_3repE0EEENS1_30default_config_static_selectorELNS0_4arch9wavefront6targetE1EEEvT1_
	.globl	_ZN7rocprim17ROCPRIM_400000_NS6detail17trampoline_kernelINS0_14default_configENS1_25transform_config_selectorImLb1EEEZNS1_14transform_implILb1ES3_S5_PmPlNS0_8identityIvEEEE10hipError_tT2_T3_mT4_P12ihipStream_tbEUlT_E_NS1_11comp_targetILNS1_3genE2ELNS1_11target_archE906ELNS1_3gpuE6ELNS1_3repE0EEENS1_30default_config_static_selectorELNS0_4arch9wavefront6targetE1EEEvT1_
	.p2align	8
	.type	_ZN7rocprim17ROCPRIM_400000_NS6detail17trampoline_kernelINS0_14default_configENS1_25transform_config_selectorImLb1EEEZNS1_14transform_implILb1ES3_S5_PmPlNS0_8identityIvEEEE10hipError_tT2_T3_mT4_P12ihipStream_tbEUlT_E_NS1_11comp_targetILNS1_3genE2ELNS1_11target_archE906ELNS1_3gpuE6ELNS1_3repE0EEENS1_30default_config_static_selectorELNS0_4arch9wavefront6targetE1EEEvT1_,@function
_ZN7rocprim17ROCPRIM_400000_NS6detail17trampoline_kernelINS0_14default_configENS1_25transform_config_selectorImLb1EEEZNS1_14transform_implILb1ES3_S5_PmPlNS0_8identityIvEEEE10hipError_tT2_T3_mT4_P12ihipStream_tbEUlT_E_NS1_11comp_targetILNS1_3genE2ELNS1_11target_archE906ELNS1_3gpuE6ELNS1_3repE0EEENS1_30default_config_static_selectorELNS0_4arch9wavefront6targetE1EEEvT1_: ; @_ZN7rocprim17ROCPRIM_400000_NS6detail17trampoline_kernelINS0_14default_configENS1_25transform_config_selectorImLb1EEEZNS1_14transform_implILb1ES3_S5_PmPlNS0_8identityIvEEEE10hipError_tT2_T3_mT4_P12ihipStream_tbEUlT_E_NS1_11comp_targetILNS1_3genE2ELNS1_11target_archE906ELNS1_3gpuE6ELNS1_3repE0EEENS1_30default_config_static_selectorELNS0_4arch9wavefront6targetE1EEEvT1_
; %bb.0:
	.section	.rodata,"a",@progbits
	.p2align	6, 0x0
	.amdhsa_kernel _ZN7rocprim17ROCPRIM_400000_NS6detail17trampoline_kernelINS0_14default_configENS1_25transform_config_selectorImLb1EEEZNS1_14transform_implILb1ES3_S5_PmPlNS0_8identityIvEEEE10hipError_tT2_T3_mT4_P12ihipStream_tbEUlT_E_NS1_11comp_targetILNS1_3genE2ELNS1_11target_archE906ELNS1_3gpuE6ELNS1_3repE0EEENS1_30default_config_static_selectorELNS0_4arch9wavefront6targetE1EEEvT1_
		.amdhsa_group_segment_fixed_size 0
		.amdhsa_private_segment_fixed_size 0
		.amdhsa_kernarg_size 40
		.amdhsa_user_sgpr_count 2
		.amdhsa_user_sgpr_dispatch_ptr 0
		.amdhsa_user_sgpr_queue_ptr 0
		.amdhsa_user_sgpr_kernarg_segment_ptr 1
		.amdhsa_user_sgpr_dispatch_id 0
		.amdhsa_user_sgpr_kernarg_preload_length 0
		.amdhsa_user_sgpr_kernarg_preload_offset 0
		.amdhsa_user_sgpr_private_segment_size 0
		.amdhsa_uses_dynamic_stack 0
		.amdhsa_enable_private_segment 0
		.amdhsa_system_sgpr_workgroup_id_x 1
		.amdhsa_system_sgpr_workgroup_id_y 0
		.amdhsa_system_sgpr_workgroup_id_z 0
		.amdhsa_system_sgpr_workgroup_info 0
		.amdhsa_system_vgpr_workitem_id 0
		.amdhsa_next_free_vgpr 1
		.amdhsa_next_free_sgpr 0
		.amdhsa_accum_offset 4
		.amdhsa_reserve_vcc 0
		.amdhsa_float_round_mode_32 0
		.amdhsa_float_round_mode_16_64 0
		.amdhsa_float_denorm_mode_32 3
		.amdhsa_float_denorm_mode_16_64 3
		.amdhsa_dx10_clamp 1
		.amdhsa_ieee_mode 1
		.amdhsa_fp16_overflow 0
		.amdhsa_tg_split 0
		.amdhsa_exception_fp_ieee_invalid_op 0
		.amdhsa_exception_fp_denorm_src 0
		.amdhsa_exception_fp_ieee_div_zero 0
		.amdhsa_exception_fp_ieee_overflow 0
		.amdhsa_exception_fp_ieee_underflow 0
		.amdhsa_exception_fp_ieee_inexact 0
		.amdhsa_exception_int_div_zero 0
	.end_amdhsa_kernel
	.section	.text._ZN7rocprim17ROCPRIM_400000_NS6detail17trampoline_kernelINS0_14default_configENS1_25transform_config_selectorImLb1EEEZNS1_14transform_implILb1ES3_S5_PmPlNS0_8identityIvEEEE10hipError_tT2_T3_mT4_P12ihipStream_tbEUlT_E_NS1_11comp_targetILNS1_3genE2ELNS1_11target_archE906ELNS1_3gpuE6ELNS1_3repE0EEENS1_30default_config_static_selectorELNS0_4arch9wavefront6targetE1EEEvT1_,"axG",@progbits,_ZN7rocprim17ROCPRIM_400000_NS6detail17trampoline_kernelINS0_14default_configENS1_25transform_config_selectorImLb1EEEZNS1_14transform_implILb1ES3_S5_PmPlNS0_8identityIvEEEE10hipError_tT2_T3_mT4_P12ihipStream_tbEUlT_E_NS1_11comp_targetILNS1_3genE2ELNS1_11target_archE906ELNS1_3gpuE6ELNS1_3repE0EEENS1_30default_config_static_selectorELNS0_4arch9wavefront6targetE1EEEvT1_,comdat
.Lfunc_end50:
	.size	_ZN7rocprim17ROCPRIM_400000_NS6detail17trampoline_kernelINS0_14default_configENS1_25transform_config_selectorImLb1EEEZNS1_14transform_implILb1ES3_S5_PmPlNS0_8identityIvEEEE10hipError_tT2_T3_mT4_P12ihipStream_tbEUlT_E_NS1_11comp_targetILNS1_3genE2ELNS1_11target_archE906ELNS1_3gpuE6ELNS1_3repE0EEENS1_30default_config_static_selectorELNS0_4arch9wavefront6targetE1EEEvT1_, .Lfunc_end50-_ZN7rocprim17ROCPRIM_400000_NS6detail17trampoline_kernelINS0_14default_configENS1_25transform_config_selectorImLb1EEEZNS1_14transform_implILb1ES3_S5_PmPlNS0_8identityIvEEEE10hipError_tT2_T3_mT4_P12ihipStream_tbEUlT_E_NS1_11comp_targetILNS1_3genE2ELNS1_11target_archE906ELNS1_3gpuE6ELNS1_3repE0EEENS1_30default_config_static_selectorELNS0_4arch9wavefront6targetE1EEEvT1_
                                        ; -- End function
	.set _ZN7rocprim17ROCPRIM_400000_NS6detail17trampoline_kernelINS0_14default_configENS1_25transform_config_selectorImLb1EEEZNS1_14transform_implILb1ES3_S5_PmPlNS0_8identityIvEEEE10hipError_tT2_T3_mT4_P12ihipStream_tbEUlT_E_NS1_11comp_targetILNS1_3genE2ELNS1_11target_archE906ELNS1_3gpuE6ELNS1_3repE0EEENS1_30default_config_static_selectorELNS0_4arch9wavefront6targetE1EEEvT1_.num_vgpr, 0
	.set _ZN7rocprim17ROCPRIM_400000_NS6detail17trampoline_kernelINS0_14default_configENS1_25transform_config_selectorImLb1EEEZNS1_14transform_implILb1ES3_S5_PmPlNS0_8identityIvEEEE10hipError_tT2_T3_mT4_P12ihipStream_tbEUlT_E_NS1_11comp_targetILNS1_3genE2ELNS1_11target_archE906ELNS1_3gpuE6ELNS1_3repE0EEENS1_30default_config_static_selectorELNS0_4arch9wavefront6targetE1EEEvT1_.num_agpr, 0
	.set _ZN7rocprim17ROCPRIM_400000_NS6detail17trampoline_kernelINS0_14default_configENS1_25transform_config_selectorImLb1EEEZNS1_14transform_implILb1ES3_S5_PmPlNS0_8identityIvEEEE10hipError_tT2_T3_mT4_P12ihipStream_tbEUlT_E_NS1_11comp_targetILNS1_3genE2ELNS1_11target_archE906ELNS1_3gpuE6ELNS1_3repE0EEENS1_30default_config_static_selectorELNS0_4arch9wavefront6targetE1EEEvT1_.numbered_sgpr, 0
	.set _ZN7rocprim17ROCPRIM_400000_NS6detail17trampoline_kernelINS0_14default_configENS1_25transform_config_selectorImLb1EEEZNS1_14transform_implILb1ES3_S5_PmPlNS0_8identityIvEEEE10hipError_tT2_T3_mT4_P12ihipStream_tbEUlT_E_NS1_11comp_targetILNS1_3genE2ELNS1_11target_archE906ELNS1_3gpuE6ELNS1_3repE0EEENS1_30default_config_static_selectorELNS0_4arch9wavefront6targetE1EEEvT1_.num_named_barrier, 0
	.set _ZN7rocprim17ROCPRIM_400000_NS6detail17trampoline_kernelINS0_14default_configENS1_25transform_config_selectorImLb1EEEZNS1_14transform_implILb1ES3_S5_PmPlNS0_8identityIvEEEE10hipError_tT2_T3_mT4_P12ihipStream_tbEUlT_E_NS1_11comp_targetILNS1_3genE2ELNS1_11target_archE906ELNS1_3gpuE6ELNS1_3repE0EEENS1_30default_config_static_selectorELNS0_4arch9wavefront6targetE1EEEvT1_.private_seg_size, 0
	.set _ZN7rocprim17ROCPRIM_400000_NS6detail17trampoline_kernelINS0_14default_configENS1_25transform_config_selectorImLb1EEEZNS1_14transform_implILb1ES3_S5_PmPlNS0_8identityIvEEEE10hipError_tT2_T3_mT4_P12ihipStream_tbEUlT_E_NS1_11comp_targetILNS1_3genE2ELNS1_11target_archE906ELNS1_3gpuE6ELNS1_3repE0EEENS1_30default_config_static_selectorELNS0_4arch9wavefront6targetE1EEEvT1_.uses_vcc, 0
	.set _ZN7rocprim17ROCPRIM_400000_NS6detail17trampoline_kernelINS0_14default_configENS1_25transform_config_selectorImLb1EEEZNS1_14transform_implILb1ES3_S5_PmPlNS0_8identityIvEEEE10hipError_tT2_T3_mT4_P12ihipStream_tbEUlT_E_NS1_11comp_targetILNS1_3genE2ELNS1_11target_archE906ELNS1_3gpuE6ELNS1_3repE0EEENS1_30default_config_static_selectorELNS0_4arch9wavefront6targetE1EEEvT1_.uses_flat_scratch, 0
	.set _ZN7rocprim17ROCPRIM_400000_NS6detail17trampoline_kernelINS0_14default_configENS1_25transform_config_selectorImLb1EEEZNS1_14transform_implILb1ES3_S5_PmPlNS0_8identityIvEEEE10hipError_tT2_T3_mT4_P12ihipStream_tbEUlT_E_NS1_11comp_targetILNS1_3genE2ELNS1_11target_archE906ELNS1_3gpuE6ELNS1_3repE0EEENS1_30default_config_static_selectorELNS0_4arch9wavefront6targetE1EEEvT1_.has_dyn_sized_stack, 0
	.set _ZN7rocprim17ROCPRIM_400000_NS6detail17trampoline_kernelINS0_14default_configENS1_25transform_config_selectorImLb1EEEZNS1_14transform_implILb1ES3_S5_PmPlNS0_8identityIvEEEE10hipError_tT2_T3_mT4_P12ihipStream_tbEUlT_E_NS1_11comp_targetILNS1_3genE2ELNS1_11target_archE906ELNS1_3gpuE6ELNS1_3repE0EEENS1_30default_config_static_selectorELNS0_4arch9wavefront6targetE1EEEvT1_.has_recursion, 0
	.set _ZN7rocprim17ROCPRIM_400000_NS6detail17trampoline_kernelINS0_14default_configENS1_25transform_config_selectorImLb1EEEZNS1_14transform_implILb1ES3_S5_PmPlNS0_8identityIvEEEE10hipError_tT2_T3_mT4_P12ihipStream_tbEUlT_E_NS1_11comp_targetILNS1_3genE2ELNS1_11target_archE906ELNS1_3gpuE6ELNS1_3repE0EEENS1_30default_config_static_selectorELNS0_4arch9wavefront6targetE1EEEvT1_.has_indirect_call, 0
	.section	.AMDGPU.csdata,"",@progbits
; Kernel info:
; codeLenInByte = 0
; TotalNumSgprs: 6
; NumVgprs: 0
; NumAgprs: 0
; TotalNumVgprs: 0
; ScratchSize: 0
; MemoryBound: 0
; FloatMode: 240
; IeeeMode: 1
; LDSByteSize: 0 bytes/workgroup (compile time only)
; SGPRBlocks: 0
; VGPRBlocks: 0
; NumSGPRsForWavesPerEU: 6
; NumVGPRsForWavesPerEU: 1
; AccumOffset: 4
; Occupancy: 8
; WaveLimiterHint : 0
; COMPUTE_PGM_RSRC2:SCRATCH_EN: 0
; COMPUTE_PGM_RSRC2:USER_SGPR: 2
; COMPUTE_PGM_RSRC2:TRAP_HANDLER: 0
; COMPUTE_PGM_RSRC2:TGID_X_EN: 1
; COMPUTE_PGM_RSRC2:TGID_Y_EN: 0
; COMPUTE_PGM_RSRC2:TGID_Z_EN: 0
; COMPUTE_PGM_RSRC2:TIDIG_COMP_CNT: 0
; COMPUTE_PGM_RSRC3_GFX90A:ACCUM_OFFSET: 0
; COMPUTE_PGM_RSRC3_GFX90A:TG_SPLIT: 0
	.section	.text._ZN7rocprim17ROCPRIM_400000_NS6detail17trampoline_kernelINS0_14default_configENS1_25transform_config_selectorImLb1EEEZNS1_14transform_implILb1ES3_S5_PmPlNS0_8identityIvEEEE10hipError_tT2_T3_mT4_P12ihipStream_tbEUlT_E_NS1_11comp_targetILNS1_3genE9ELNS1_11target_archE1100ELNS1_3gpuE3ELNS1_3repE0EEENS1_30default_config_static_selectorELNS0_4arch9wavefront6targetE1EEEvT1_,"axG",@progbits,_ZN7rocprim17ROCPRIM_400000_NS6detail17trampoline_kernelINS0_14default_configENS1_25transform_config_selectorImLb1EEEZNS1_14transform_implILb1ES3_S5_PmPlNS0_8identityIvEEEE10hipError_tT2_T3_mT4_P12ihipStream_tbEUlT_E_NS1_11comp_targetILNS1_3genE9ELNS1_11target_archE1100ELNS1_3gpuE3ELNS1_3repE0EEENS1_30default_config_static_selectorELNS0_4arch9wavefront6targetE1EEEvT1_,comdat
	.protected	_ZN7rocprim17ROCPRIM_400000_NS6detail17trampoline_kernelINS0_14default_configENS1_25transform_config_selectorImLb1EEEZNS1_14transform_implILb1ES3_S5_PmPlNS0_8identityIvEEEE10hipError_tT2_T3_mT4_P12ihipStream_tbEUlT_E_NS1_11comp_targetILNS1_3genE9ELNS1_11target_archE1100ELNS1_3gpuE3ELNS1_3repE0EEENS1_30default_config_static_selectorELNS0_4arch9wavefront6targetE1EEEvT1_ ; -- Begin function _ZN7rocprim17ROCPRIM_400000_NS6detail17trampoline_kernelINS0_14default_configENS1_25transform_config_selectorImLb1EEEZNS1_14transform_implILb1ES3_S5_PmPlNS0_8identityIvEEEE10hipError_tT2_T3_mT4_P12ihipStream_tbEUlT_E_NS1_11comp_targetILNS1_3genE9ELNS1_11target_archE1100ELNS1_3gpuE3ELNS1_3repE0EEENS1_30default_config_static_selectorELNS0_4arch9wavefront6targetE1EEEvT1_
	.globl	_ZN7rocprim17ROCPRIM_400000_NS6detail17trampoline_kernelINS0_14default_configENS1_25transform_config_selectorImLb1EEEZNS1_14transform_implILb1ES3_S5_PmPlNS0_8identityIvEEEE10hipError_tT2_T3_mT4_P12ihipStream_tbEUlT_E_NS1_11comp_targetILNS1_3genE9ELNS1_11target_archE1100ELNS1_3gpuE3ELNS1_3repE0EEENS1_30default_config_static_selectorELNS0_4arch9wavefront6targetE1EEEvT1_
	.p2align	8
	.type	_ZN7rocprim17ROCPRIM_400000_NS6detail17trampoline_kernelINS0_14default_configENS1_25transform_config_selectorImLb1EEEZNS1_14transform_implILb1ES3_S5_PmPlNS0_8identityIvEEEE10hipError_tT2_T3_mT4_P12ihipStream_tbEUlT_E_NS1_11comp_targetILNS1_3genE9ELNS1_11target_archE1100ELNS1_3gpuE3ELNS1_3repE0EEENS1_30default_config_static_selectorELNS0_4arch9wavefront6targetE1EEEvT1_,@function
_ZN7rocprim17ROCPRIM_400000_NS6detail17trampoline_kernelINS0_14default_configENS1_25transform_config_selectorImLb1EEEZNS1_14transform_implILb1ES3_S5_PmPlNS0_8identityIvEEEE10hipError_tT2_T3_mT4_P12ihipStream_tbEUlT_E_NS1_11comp_targetILNS1_3genE9ELNS1_11target_archE1100ELNS1_3gpuE3ELNS1_3repE0EEENS1_30default_config_static_selectorELNS0_4arch9wavefront6targetE1EEEvT1_: ; @_ZN7rocprim17ROCPRIM_400000_NS6detail17trampoline_kernelINS0_14default_configENS1_25transform_config_selectorImLb1EEEZNS1_14transform_implILb1ES3_S5_PmPlNS0_8identityIvEEEE10hipError_tT2_T3_mT4_P12ihipStream_tbEUlT_E_NS1_11comp_targetILNS1_3genE9ELNS1_11target_archE1100ELNS1_3gpuE3ELNS1_3repE0EEENS1_30default_config_static_selectorELNS0_4arch9wavefront6targetE1EEEvT1_
; %bb.0:
	.section	.rodata,"a",@progbits
	.p2align	6, 0x0
	.amdhsa_kernel _ZN7rocprim17ROCPRIM_400000_NS6detail17trampoline_kernelINS0_14default_configENS1_25transform_config_selectorImLb1EEEZNS1_14transform_implILb1ES3_S5_PmPlNS0_8identityIvEEEE10hipError_tT2_T3_mT4_P12ihipStream_tbEUlT_E_NS1_11comp_targetILNS1_3genE9ELNS1_11target_archE1100ELNS1_3gpuE3ELNS1_3repE0EEENS1_30default_config_static_selectorELNS0_4arch9wavefront6targetE1EEEvT1_
		.amdhsa_group_segment_fixed_size 0
		.amdhsa_private_segment_fixed_size 0
		.amdhsa_kernarg_size 40
		.amdhsa_user_sgpr_count 2
		.amdhsa_user_sgpr_dispatch_ptr 0
		.amdhsa_user_sgpr_queue_ptr 0
		.amdhsa_user_sgpr_kernarg_segment_ptr 1
		.amdhsa_user_sgpr_dispatch_id 0
		.amdhsa_user_sgpr_kernarg_preload_length 0
		.amdhsa_user_sgpr_kernarg_preload_offset 0
		.amdhsa_user_sgpr_private_segment_size 0
		.amdhsa_uses_dynamic_stack 0
		.amdhsa_enable_private_segment 0
		.amdhsa_system_sgpr_workgroup_id_x 1
		.amdhsa_system_sgpr_workgroup_id_y 0
		.amdhsa_system_sgpr_workgroup_id_z 0
		.amdhsa_system_sgpr_workgroup_info 0
		.amdhsa_system_vgpr_workitem_id 0
		.amdhsa_next_free_vgpr 1
		.amdhsa_next_free_sgpr 0
		.amdhsa_accum_offset 4
		.amdhsa_reserve_vcc 0
		.amdhsa_float_round_mode_32 0
		.amdhsa_float_round_mode_16_64 0
		.amdhsa_float_denorm_mode_32 3
		.amdhsa_float_denorm_mode_16_64 3
		.amdhsa_dx10_clamp 1
		.amdhsa_ieee_mode 1
		.amdhsa_fp16_overflow 0
		.amdhsa_tg_split 0
		.amdhsa_exception_fp_ieee_invalid_op 0
		.amdhsa_exception_fp_denorm_src 0
		.amdhsa_exception_fp_ieee_div_zero 0
		.amdhsa_exception_fp_ieee_overflow 0
		.amdhsa_exception_fp_ieee_underflow 0
		.amdhsa_exception_fp_ieee_inexact 0
		.amdhsa_exception_int_div_zero 0
	.end_amdhsa_kernel
	.section	.text._ZN7rocprim17ROCPRIM_400000_NS6detail17trampoline_kernelINS0_14default_configENS1_25transform_config_selectorImLb1EEEZNS1_14transform_implILb1ES3_S5_PmPlNS0_8identityIvEEEE10hipError_tT2_T3_mT4_P12ihipStream_tbEUlT_E_NS1_11comp_targetILNS1_3genE9ELNS1_11target_archE1100ELNS1_3gpuE3ELNS1_3repE0EEENS1_30default_config_static_selectorELNS0_4arch9wavefront6targetE1EEEvT1_,"axG",@progbits,_ZN7rocprim17ROCPRIM_400000_NS6detail17trampoline_kernelINS0_14default_configENS1_25transform_config_selectorImLb1EEEZNS1_14transform_implILb1ES3_S5_PmPlNS0_8identityIvEEEE10hipError_tT2_T3_mT4_P12ihipStream_tbEUlT_E_NS1_11comp_targetILNS1_3genE9ELNS1_11target_archE1100ELNS1_3gpuE3ELNS1_3repE0EEENS1_30default_config_static_selectorELNS0_4arch9wavefront6targetE1EEEvT1_,comdat
.Lfunc_end51:
	.size	_ZN7rocprim17ROCPRIM_400000_NS6detail17trampoline_kernelINS0_14default_configENS1_25transform_config_selectorImLb1EEEZNS1_14transform_implILb1ES3_S5_PmPlNS0_8identityIvEEEE10hipError_tT2_T3_mT4_P12ihipStream_tbEUlT_E_NS1_11comp_targetILNS1_3genE9ELNS1_11target_archE1100ELNS1_3gpuE3ELNS1_3repE0EEENS1_30default_config_static_selectorELNS0_4arch9wavefront6targetE1EEEvT1_, .Lfunc_end51-_ZN7rocprim17ROCPRIM_400000_NS6detail17trampoline_kernelINS0_14default_configENS1_25transform_config_selectorImLb1EEEZNS1_14transform_implILb1ES3_S5_PmPlNS0_8identityIvEEEE10hipError_tT2_T3_mT4_P12ihipStream_tbEUlT_E_NS1_11comp_targetILNS1_3genE9ELNS1_11target_archE1100ELNS1_3gpuE3ELNS1_3repE0EEENS1_30default_config_static_selectorELNS0_4arch9wavefront6targetE1EEEvT1_
                                        ; -- End function
	.set _ZN7rocprim17ROCPRIM_400000_NS6detail17trampoline_kernelINS0_14default_configENS1_25transform_config_selectorImLb1EEEZNS1_14transform_implILb1ES3_S5_PmPlNS0_8identityIvEEEE10hipError_tT2_T3_mT4_P12ihipStream_tbEUlT_E_NS1_11comp_targetILNS1_3genE9ELNS1_11target_archE1100ELNS1_3gpuE3ELNS1_3repE0EEENS1_30default_config_static_selectorELNS0_4arch9wavefront6targetE1EEEvT1_.num_vgpr, 0
	.set _ZN7rocprim17ROCPRIM_400000_NS6detail17trampoline_kernelINS0_14default_configENS1_25transform_config_selectorImLb1EEEZNS1_14transform_implILb1ES3_S5_PmPlNS0_8identityIvEEEE10hipError_tT2_T3_mT4_P12ihipStream_tbEUlT_E_NS1_11comp_targetILNS1_3genE9ELNS1_11target_archE1100ELNS1_3gpuE3ELNS1_3repE0EEENS1_30default_config_static_selectorELNS0_4arch9wavefront6targetE1EEEvT1_.num_agpr, 0
	.set _ZN7rocprim17ROCPRIM_400000_NS6detail17trampoline_kernelINS0_14default_configENS1_25transform_config_selectorImLb1EEEZNS1_14transform_implILb1ES3_S5_PmPlNS0_8identityIvEEEE10hipError_tT2_T3_mT4_P12ihipStream_tbEUlT_E_NS1_11comp_targetILNS1_3genE9ELNS1_11target_archE1100ELNS1_3gpuE3ELNS1_3repE0EEENS1_30default_config_static_selectorELNS0_4arch9wavefront6targetE1EEEvT1_.numbered_sgpr, 0
	.set _ZN7rocprim17ROCPRIM_400000_NS6detail17trampoline_kernelINS0_14default_configENS1_25transform_config_selectorImLb1EEEZNS1_14transform_implILb1ES3_S5_PmPlNS0_8identityIvEEEE10hipError_tT2_T3_mT4_P12ihipStream_tbEUlT_E_NS1_11comp_targetILNS1_3genE9ELNS1_11target_archE1100ELNS1_3gpuE3ELNS1_3repE0EEENS1_30default_config_static_selectorELNS0_4arch9wavefront6targetE1EEEvT1_.num_named_barrier, 0
	.set _ZN7rocprim17ROCPRIM_400000_NS6detail17trampoline_kernelINS0_14default_configENS1_25transform_config_selectorImLb1EEEZNS1_14transform_implILb1ES3_S5_PmPlNS0_8identityIvEEEE10hipError_tT2_T3_mT4_P12ihipStream_tbEUlT_E_NS1_11comp_targetILNS1_3genE9ELNS1_11target_archE1100ELNS1_3gpuE3ELNS1_3repE0EEENS1_30default_config_static_selectorELNS0_4arch9wavefront6targetE1EEEvT1_.private_seg_size, 0
	.set _ZN7rocprim17ROCPRIM_400000_NS6detail17trampoline_kernelINS0_14default_configENS1_25transform_config_selectorImLb1EEEZNS1_14transform_implILb1ES3_S5_PmPlNS0_8identityIvEEEE10hipError_tT2_T3_mT4_P12ihipStream_tbEUlT_E_NS1_11comp_targetILNS1_3genE9ELNS1_11target_archE1100ELNS1_3gpuE3ELNS1_3repE0EEENS1_30default_config_static_selectorELNS0_4arch9wavefront6targetE1EEEvT1_.uses_vcc, 0
	.set _ZN7rocprim17ROCPRIM_400000_NS6detail17trampoline_kernelINS0_14default_configENS1_25transform_config_selectorImLb1EEEZNS1_14transform_implILb1ES3_S5_PmPlNS0_8identityIvEEEE10hipError_tT2_T3_mT4_P12ihipStream_tbEUlT_E_NS1_11comp_targetILNS1_3genE9ELNS1_11target_archE1100ELNS1_3gpuE3ELNS1_3repE0EEENS1_30default_config_static_selectorELNS0_4arch9wavefront6targetE1EEEvT1_.uses_flat_scratch, 0
	.set _ZN7rocprim17ROCPRIM_400000_NS6detail17trampoline_kernelINS0_14default_configENS1_25transform_config_selectorImLb1EEEZNS1_14transform_implILb1ES3_S5_PmPlNS0_8identityIvEEEE10hipError_tT2_T3_mT4_P12ihipStream_tbEUlT_E_NS1_11comp_targetILNS1_3genE9ELNS1_11target_archE1100ELNS1_3gpuE3ELNS1_3repE0EEENS1_30default_config_static_selectorELNS0_4arch9wavefront6targetE1EEEvT1_.has_dyn_sized_stack, 0
	.set _ZN7rocprim17ROCPRIM_400000_NS6detail17trampoline_kernelINS0_14default_configENS1_25transform_config_selectorImLb1EEEZNS1_14transform_implILb1ES3_S5_PmPlNS0_8identityIvEEEE10hipError_tT2_T3_mT4_P12ihipStream_tbEUlT_E_NS1_11comp_targetILNS1_3genE9ELNS1_11target_archE1100ELNS1_3gpuE3ELNS1_3repE0EEENS1_30default_config_static_selectorELNS0_4arch9wavefront6targetE1EEEvT1_.has_recursion, 0
	.set _ZN7rocprim17ROCPRIM_400000_NS6detail17trampoline_kernelINS0_14default_configENS1_25transform_config_selectorImLb1EEEZNS1_14transform_implILb1ES3_S5_PmPlNS0_8identityIvEEEE10hipError_tT2_T3_mT4_P12ihipStream_tbEUlT_E_NS1_11comp_targetILNS1_3genE9ELNS1_11target_archE1100ELNS1_3gpuE3ELNS1_3repE0EEENS1_30default_config_static_selectorELNS0_4arch9wavefront6targetE1EEEvT1_.has_indirect_call, 0
	.section	.AMDGPU.csdata,"",@progbits
; Kernel info:
; codeLenInByte = 0
; TotalNumSgprs: 6
; NumVgprs: 0
; NumAgprs: 0
; TotalNumVgprs: 0
; ScratchSize: 0
; MemoryBound: 0
; FloatMode: 240
; IeeeMode: 1
; LDSByteSize: 0 bytes/workgroup (compile time only)
; SGPRBlocks: 0
; VGPRBlocks: 0
; NumSGPRsForWavesPerEU: 6
; NumVGPRsForWavesPerEU: 1
; AccumOffset: 4
; Occupancy: 8
; WaveLimiterHint : 0
; COMPUTE_PGM_RSRC2:SCRATCH_EN: 0
; COMPUTE_PGM_RSRC2:USER_SGPR: 2
; COMPUTE_PGM_RSRC2:TRAP_HANDLER: 0
; COMPUTE_PGM_RSRC2:TGID_X_EN: 1
; COMPUTE_PGM_RSRC2:TGID_Y_EN: 0
; COMPUTE_PGM_RSRC2:TGID_Z_EN: 0
; COMPUTE_PGM_RSRC2:TIDIG_COMP_CNT: 0
; COMPUTE_PGM_RSRC3_GFX90A:ACCUM_OFFSET: 0
; COMPUTE_PGM_RSRC3_GFX90A:TG_SPLIT: 0
	.section	.text._ZN7rocprim17ROCPRIM_400000_NS6detail17trampoline_kernelINS0_14default_configENS1_25transform_config_selectorImLb1EEEZNS1_14transform_implILb1ES3_S5_PmPlNS0_8identityIvEEEE10hipError_tT2_T3_mT4_P12ihipStream_tbEUlT_E_NS1_11comp_targetILNS1_3genE8ELNS1_11target_archE1030ELNS1_3gpuE2ELNS1_3repE0EEENS1_30default_config_static_selectorELNS0_4arch9wavefront6targetE1EEEvT1_,"axG",@progbits,_ZN7rocprim17ROCPRIM_400000_NS6detail17trampoline_kernelINS0_14default_configENS1_25transform_config_selectorImLb1EEEZNS1_14transform_implILb1ES3_S5_PmPlNS0_8identityIvEEEE10hipError_tT2_T3_mT4_P12ihipStream_tbEUlT_E_NS1_11comp_targetILNS1_3genE8ELNS1_11target_archE1030ELNS1_3gpuE2ELNS1_3repE0EEENS1_30default_config_static_selectorELNS0_4arch9wavefront6targetE1EEEvT1_,comdat
	.protected	_ZN7rocprim17ROCPRIM_400000_NS6detail17trampoline_kernelINS0_14default_configENS1_25transform_config_selectorImLb1EEEZNS1_14transform_implILb1ES3_S5_PmPlNS0_8identityIvEEEE10hipError_tT2_T3_mT4_P12ihipStream_tbEUlT_E_NS1_11comp_targetILNS1_3genE8ELNS1_11target_archE1030ELNS1_3gpuE2ELNS1_3repE0EEENS1_30default_config_static_selectorELNS0_4arch9wavefront6targetE1EEEvT1_ ; -- Begin function _ZN7rocprim17ROCPRIM_400000_NS6detail17trampoline_kernelINS0_14default_configENS1_25transform_config_selectorImLb1EEEZNS1_14transform_implILb1ES3_S5_PmPlNS0_8identityIvEEEE10hipError_tT2_T3_mT4_P12ihipStream_tbEUlT_E_NS1_11comp_targetILNS1_3genE8ELNS1_11target_archE1030ELNS1_3gpuE2ELNS1_3repE0EEENS1_30default_config_static_selectorELNS0_4arch9wavefront6targetE1EEEvT1_
	.globl	_ZN7rocprim17ROCPRIM_400000_NS6detail17trampoline_kernelINS0_14default_configENS1_25transform_config_selectorImLb1EEEZNS1_14transform_implILb1ES3_S5_PmPlNS0_8identityIvEEEE10hipError_tT2_T3_mT4_P12ihipStream_tbEUlT_E_NS1_11comp_targetILNS1_3genE8ELNS1_11target_archE1030ELNS1_3gpuE2ELNS1_3repE0EEENS1_30default_config_static_selectorELNS0_4arch9wavefront6targetE1EEEvT1_
	.p2align	8
	.type	_ZN7rocprim17ROCPRIM_400000_NS6detail17trampoline_kernelINS0_14default_configENS1_25transform_config_selectorImLb1EEEZNS1_14transform_implILb1ES3_S5_PmPlNS0_8identityIvEEEE10hipError_tT2_T3_mT4_P12ihipStream_tbEUlT_E_NS1_11comp_targetILNS1_3genE8ELNS1_11target_archE1030ELNS1_3gpuE2ELNS1_3repE0EEENS1_30default_config_static_selectorELNS0_4arch9wavefront6targetE1EEEvT1_,@function
_ZN7rocprim17ROCPRIM_400000_NS6detail17trampoline_kernelINS0_14default_configENS1_25transform_config_selectorImLb1EEEZNS1_14transform_implILb1ES3_S5_PmPlNS0_8identityIvEEEE10hipError_tT2_T3_mT4_P12ihipStream_tbEUlT_E_NS1_11comp_targetILNS1_3genE8ELNS1_11target_archE1030ELNS1_3gpuE2ELNS1_3repE0EEENS1_30default_config_static_selectorELNS0_4arch9wavefront6targetE1EEEvT1_: ; @_ZN7rocprim17ROCPRIM_400000_NS6detail17trampoline_kernelINS0_14default_configENS1_25transform_config_selectorImLb1EEEZNS1_14transform_implILb1ES3_S5_PmPlNS0_8identityIvEEEE10hipError_tT2_T3_mT4_P12ihipStream_tbEUlT_E_NS1_11comp_targetILNS1_3genE8ELNS1_11target_archE1030ELNS1_3gpuE2ELNS1_3repE0EEENS1_30default_config_static_selectorELNS0_4arch9wavefront6targetE1EEEvT1_
; %bb.0:
	.section	.rodata,"a",@progbits
	.p2align	6, 0x0
	.amdhsa_kernel _ZN7rocprim17ROCPRIM_400000_NS6detail17trampoline_kernelINS0_14default_configENS1_25transform_config_selectorImLb1EEEZNS1_14transform_implILb1ES3_S5_PmPlNS0_8identityIvEEEE10hipError_tT2_T3_mT4_P12ihipStream_tbEUlT_E_NS1_11comp_targetILNS1_3genE8ELNS1_11target_archE1030ELNS1_3gpuE2ELNS1_3repE0EEENS1_30default_config_static_selectorELNS0_4arch9wavefront6targetE1EEEvT1_
		.amdhsa_group_segment_fixed_size 0
		.amdhsa_private_segment_fixed_size 0
		.amdhsa_kernarg_size 40
		.amdhsa_user_sgpr_count 2
		.amdhsa_user_sgpr_dispatch_ptr 0
		.amdhsa_user_sgpr_queue_ptr 0
		.amdhsa_user_sgpr_kernarg_segment_ptr 1
		.amdhsa_user_sgpr_dispatch_id 0
		.amdhsa_user_sgpr_kernarg_preload_length 0
		.amdhsa_user_sgpr_kernarg_preload_offset 0
		.amdhsa_user_sgpr_private_segment_size 0
		.amdhsa_uses_dynamic_stack 0
		.amdhsa_enable_private_segment 0
		.amdhsa_system_sgpr_workgroup_id_x 1
		.amdhsa_system_sgpr_workgroup_id_y 0
		.amdhsa_system_sgpr_workgroup_id_z 0
		.amdhsa_system_sgpr_workgroup_info 0
		.amdhsa_system_vgpr_workitem_id 0
		.amdhsa_next_free_vgpr 1
		.amdhsa_next_free_sgpr 0
		.amdhsa_accum_offset 4
		.amdhsa_reserve_vcc 0
		.amdhsa_float_round_mode_32 0
		.amdhsa_float_round_mode_16_64 0
		.amdhsa_float_denorm_mode_32 3
		.amdhsa_float_denorm_mode_16_64 3
		.amdhsa_dx10_clamp 1
		.amdhsa_ieee_mode 1
		.amdhsa_fp16_overflow 0
		.amdhsa_tg_split 0
		.amdhsa_exception_fp_ieee_invalid_op 0
		.amdhsa_exception_fp_denorm_src 0
		.amdhsa_exception_fp_ieee_div_zero 0
		.amdhsa_exception_fp_ieee_overflow 0
		.amdhsa_exception_fp_ieee_underflow 0
		.amdhsa_exception_fp_ieee_inexact 0
		.amdhsa_exception_int_div_zero 0
	.end_amdhsa_kernel
	.section	.text._ZN7rocprim17ROCPRIM_400000_NS6detail17trampoline_kernelINS0_14default_configENS1_25transform_config_selectorImLb1EEEZNS1_14transform_implILb1ES3_S5_PmPlNS0_8identityIvEEEE10hipError_tT2_T3_mT4_P12ihipStream_tbEUlT_E_NS1_11comp_targetILNS1_3genE8ELNS1_11target_archE1030ELNS1_3gpuE2ELNS1_3repE0EEENS1_30default_config_static_selectorELNS0_4arch9wavefront6targetE1EEEvT1_,"axG",@progbits,_ZN7rocprim17ROCPRIM_400000_NS6detail17trampoline_kernelINS0_14default_configENS1_25transform_config_selectorImLb1EEEZNS1_14transform_implILb1ES3_S5_PmPlNS0_8identityIvEEEE10hipError_tT2_T3_mT4_P12ihipStream_tbEUlT_E_NS1_11comp_targetILNS1_3genE8ELNS1_11target_archE1030ELNS1_3gpuE2ELNS1_3repE0EEENS1_30default_config_static_selectorELNS0_4arch9wavefront6targetE1EEEvT1_,comdat
.Lfunc_end52:
	.size	_ZN7rocprim17ROCPRIM_400000_NS6detail17trampoline_kernelINS0_14default_configENS1_25transform_config_selectorImLb1EEEZNS1_14transform_implILb1ES3_S5_PmPlNS0_8identityIvEEEE10hipError_tT2_T3_mT4_P12ihipStream_tbEUlT_E_NS1_11comp_targetILNS1_3genE8ELNS1_11target_archE1030ELNS1_3gpuE2ELNS1_3repE0EEENS1_30default_config_static_selectorELNS0_4arch9wavefront6targetE1EEEvT1_, .Lfunc_end52-_ZN7rocprim17ROCPRIM_400000_NS6detail17trampoline_kernelINS0_14default_configENS1_25transform_config_selectorImLb1EEEZNS1_14transform_implILb1ES3_S5_PmPlNS0_8identityIvEEEE10hipError_tT2_T3_mT4_P12ihipStream_tbEUlT_E_NS1_11comp_targetILNS1_3genE8ELNS1_11target_archE1030ELNS1_3gpuE2ELNS1_3repE0EEENS1_30default_config_static_selectorELNS0_4arch9wavefront6targetE1EEEvT1_
                                        ; -- End function
	.set _ZN7rocprim17ROCPRIM_400000_NS6detail17trampoline_kernelINS0_14default_configENS1_25transform_config_selectorImLb1EEEZNS1_14transform_implILb1ES3_S5_PmPlNS0_8identityIvEEEE10hipError_tT2_T3_mT4_P12ihipStream_tbEUlT_E_NS1_11comp_targetILNS1_3genE8ELNS1_11target_archE1030ELNS1_3gpuE2ELNS1_3repE0EEENS1_30default_config_static_selectorELNS0_4arch9wavefront6targetE1EEEvT1_.num_vgpr, 0
	.set _ZN7rocprim17ROCPRIM_400000_NS6detail17trampoline_kernelINS0_14default_configENS1_25transform_config_selectorImLb1EEEZNS1_14transform_implILb1ES3_S5_PmPlNS0_8identityIvEEEE10hipError_tT2_T3_mT4_P12ihipStream_tbEUlT_E_NS1_11comp_targetILNS1_3genE8ELNS1_11target_archE1030ELNS1_3gpuE2ELNS1_3repE0EEENS1_30default_config_static_selectorELNS0_4arch9wavefront6targetE1EEEvT1_.num_agpr, 0
	.set _ZN7rocprim17ROCPRIM_400000_NS6detail17trampoline_kernelINS0_14default_configENS1_25transform_config_selectorImLb1EEEZNS1_14transform_implILb1ES3_S5_PmPlNS0_8identityIvEEEE10hipError_tT2_T3_mT4_P12ihipStream_tbEUlT_E_NS1_11comp_targetILNS1_3genE8ELNS1_11target_archE1030ELNS1_3gpuE2ELNS1_3repE0EEENS1_30default_config_static_selectorELNS0_4arch9wavefront6targetE1EEEvT1_.numbered_sgpr, 0
	.set _ZN7rocprim17ROCPRIM_400000_NS6detail17trampoline_kernelINS0_14default_configENS1_25transform_config_selectorImLb1EEEZNS1_14transform_implILb1ES3_S5_PmPlNS0_8identityIvEEEE10hipError_tT2_T3_mT4_P12ihipStream_tbEUlT_E_NS1_11comp_targetILNS1_3genE8ELNS1_11target_archE1030ELNS1_3gpuE2ELNS1_3repE0EEENS1_30default_config_static_selectorELNS0_4arch9wavefront6targetE1EEEvT1_.num_named_barrier, 0
	.set _ZN7rocprim17ROCPRIM_400000_NS6detail17trampoline_kernelINS0_14default_configENS1_25transform_config_selectorImLb1EEEZNS1_14transform_implILb1ES3_S5_PmPlNS0_8identityIvEEEE10hipError_tT2_T3_mT4_P12ihipStream_tbEUlT_E_NS1_11comp_targetILNS1_3genE8ELNS1_11target_archE1030ELNS1_3gpuE2ELNS1_3repE0EEENS1_30default_config_static_selectorELNS0_4arch9wavefront6targetE1EEEvT1_.private_seg_size, 0
	.set _ZN7rocprim17ROCPRIM_400000_NS6detail17trampoline_kernelINS0_14default_configENS1_25transform_config_selectorImLb1EEEZNS1_14transform_implILb1ES3_S5_PmPlNS0_8identityIvEEEE10hipError_tT2_T3_mT4_P12ihipStream_tbEUlT_E_NS1_11comp_targetILNS1_3genE8ELNS1_11target_archE1030ELNS1_3gpuE2ELNS1_3repE0EEENS1_30default_config_static_selectorELNS0_4arch9wavefront6targetE1EEEvT1_.uses_vcc, 0
	.set _ZN7rocprim17ROCPRIM_400000_NS6detail17trampoline_kernelINS0_14default_configENS1_25transform_config_selectorImLb1EEEZNS1_14transform_implILb1ES3_S5_PmPlNS0_8identityIvEEEE10hipError_tT2_T3_mT4_P12ihipStream_tbEUlT_E_NS1_11comp_targetILNS1_3genE8ELNS1_11target_archE1030ELNS1_3gpuE2ELNS1_3repE0EEENS1_30default_config_static_selectorELNS0_4arch9wavefront6targetE1EEEvT1_.uses_flat_scratch, 0
	.set _ZN7rocprim17ROCPRIM_400000_NS6detail17trampoline_kernelINS0_14default_configENS1_25transform_config_selectorImLb1EEEZNS1_14transform_implILb1ES3_S5_PmPlNS0_8identityIvEEEE10hipError_tT2_T3_mT4_P12ihipStream_tbEUlT_E_NS1_11comp_targetILNS1_3genE8ELNS1_11target_archE1030ELNS1_3gpuE2ELNS1_3repE0EEENS1_30default_config_static_selectorELNS0_4arch9wavefront6targetE1EEEvT1_.has_dyn_sized_stack, 0
	.set _ZN7rocprim17ROCPRIM_400000_NS6detail17trampoline_kernelINS0_14default_configENS1_25transform_config_selectorImLb1EEEZNS1_14transform_implILb1ES3_S5_PmPlNS0_8identityIvEEEE10hipError_tT2_T3_mT4_P12ihipStream_tbEUlT_E_NS1_11comp_targetILNS1_3genE8ELNS1_11target_archE1030ELNS1_3gpuE2ELNS1_3repE0EEENS1_30default_config_static_selectorELNS0_4arch9wavefront6targetE1EEEvT1_.has_recursion, 0
	.set _ZN7rocprim17ROCPRIM_400000_NS6detail17trampoline_kernelINS0_14default_configENS1_25transform_config_selectorImLb1EEEZNS1_14transform_implILb1ES3_S5_PmPlNS0_8identityIvEEEE10hipError_tT2_T3_mT4_P12ihipStream_tbEUlT_E_NS1_11comp_targetILNS1_3genE8ELNS1_11target_archE1030ELNS1_3gpuE2ELNS1_3repE0EEENS1_30default_config_static_selectorELNS0_4arch9wavefront6targetE1EEEvT1_.has_indirect_call, 0
	.section	.AMDGPU.csdata,"",@progbits
; Kernel info:
; codeLenInByte = 0
; TotalNumSgprs: 6
; NumVgprs: 0
; NumAgprs: 0
; TotalNumVgprs: 0
; ScratchSize: 0
; MemoryBound: 0
; FloatMode: 240
; IeeeMode: 1
; LDSByteSize: 0 bytes/workgroup (compile time only)
; SGPRBlocks: 0
; VGPRBlocks: 0
; NumSGPRsForWavesPerEU: 6
; NumVGPRsForWavesPerEU: 1
; AccumOffset: 4
; Occupancy: 8
; WaveLimiterHint : 0
; COMPUTE_PGM_RSRC2:SCRATCH_EN: 0
; COMPUTE_PGM_RSRC2:USER_SGPR: 2
; COMPUTE_PGM_RSRC2:TRAP_HANDLER: 0
; COMPUTE_PGM_RSRC2:TGID_X_EN: 1
; COMPUTE_PGM_RSRC2:TGID_Y_EN: 0
; COMPUTE_PGM_RSRC2:TGID_Z_EN: 0
; COMPUTE_PGM_RSRC2:TIDIG_COMP_CNT: 0
; COMPUTE_PGM_RSRC3_GFX90A:ACCUM_OFFSET: 0
; COMPUTE_PGM_RSRC3_GFX90A:TG_SPLIT: 0
	.section	.text._ZN7rocprim17ROCPRIM_400000_NS6detail31init_lookback_scan_state_kernelINS1_19lookback_scan_stateImLb1ELb1EEENS1_16block_id_wrapperIjLb1EEEEEvT_jT0_jPNS7_10value_typeE,"axG",@progbits,_ZN7rocprim17ROCPRIM_400000_NS6detail31init_lookback_scan_state_kernelINS1_19lookback_scan_stateImLb1ELb1EEENS1_16block_id_wrapperIjLb1EEEEEvT_jT0_jPNS7_10value_typeE,comdat
	.protected	_ZN7rocprim17ROCPRIM_400000_NS6detail31init_lookback_scan_state_kernelINS1_19lookback_scan_stateImLb1ELb1EEENS1_16block_id_wrapperIjLb1EEEEEvT_jT0_jPNS7_10value_typeE ; -- Begin function _ZN7rocprim17ROCPRIM_400000_NS6detail31init_lookback_scan_state_kernelINS1_19lookback_scan_stateImLb1ELb1EEENS1_16block_id_wrapperIjLb1EEEEEvT_jT0_jPNS7_10value_typeE
	.globl	_ZN7rocprim17ROCPRIM_400000_NS6detail31init_lookback_scan_state_kernelINS1_19lookback_scan_stateImLb1ELb1EEENS1_16block_id_wrapperIjLb1EEEEEvT_jT0_jPNS7_10value_typeE
	.p2align	8
	.type	_ZN7rocprim17ROCPRIM_400000_NS6detail31init_lookback_scan_state_kernelINS1_19lookback_scan_stateImLb1ELb1EEENS1_16block_id_wrapperIjLb1EEEEEvT_jT0_jPNS7_10value_typeE,@function
_ZN7rocprim17ROCPRIM_400000_NS6detail31init_lookback_scan_state_kernelINS1_19lookback_scan_stateImLb1ELb1EEENS1_16block_id_wrapperIjLb1EEEEEvT_jT0_jPNS7_10value_typeE: ; @_ZN7rocprim17ROCPRIM_400000_NS6detail31init_lookback_scan_state_kernelINS1_19lookback_scan_stateImLb1ELb1EEENS1_16block_id_wrapperIjLb1EEEEEvT_jT0_jPNS7_10value_typeE
; %bb.0:
	s_load_dword s3, s[0:1], 0x34
	s_load_dwordx2 s[6:7], s[0:1], 0x20
	s_load_dwordx2 s[4:5], s[0:1], 0x0
	s_load_dword s14, s[0:1], 0x8
	s_waitcnt lgkmcnt(0)
	s_and_b32 s3, s3, 0xffff
	s_mul_i32 s2, s2, s3
	s_cmp_eq_u64 s[6:7], 0
	v_add_u32_e32 v0, s2, v0
	s_cbranch_scc1 .LBB53_10
; %bb.1:
	s_load_dword s8, s[0:1], 0x18
	s_mov_b32 s9, 0
	s_waitcnt lgkmcnt(0)
	s_cmp_lt_u32 s8, s14
	s_cselect_b32 s2, s8, 0
	v_cmp_eq_u32_e32 vcc, s2, v0
	s_and_saveexec_b64 s[2:3], vcc
	s_cbranch_execz .LBB53_9
; %bb.2:
	s_add_i32 s8, s8, 64
	s_lshl_b64 s[8:9], s[8:9], 4
	s_add_u32 s12, s4, s8
	s_addc_u32 s13, s5, s9
	v_mov_b64_e32 v[2:3], s[12:13]
	;;#ASMSTART
	global_load_dwordx4 v[2:5], v[2:3] off sc1	
s_waitcnt vmcnt(0)
	;;#ASMEND
	v_mov_b32_e32 v7, 0
	v_and_b32_e32 v6, 0xff, v4
	s_mov_b64 s[10:11], 0
	v_cmp_eq_u64_e32 vcc, 0, v[6:7]
	s_and_saveexec_b64 s[8:9], vcc
	s_cbranch_execz .LBB53_8
; %bb.3:
	s_mov_b32 s15, 1
	v_mov_b64_e32 v[8:9], s[12:13]
.LBB53_4:                               ; =>This Loop Header: Depth=1
                                        ;     Child Loop BB53_5 Depth 2
	s_mov_b32 s12, s15
.LBB53_5:                               ;   Parent Loop BB53_4 Depth=1
                                        ; =>  This Inner Loop Header: Depth=2
	s_add_i32 s12, s12, -1
	s_cmp_eq_u32 s12, 0
	s_sleep 1
	s_cbranch_scc0 .LBB53_5
; %bb.6:                                ;   in Loop: Header=BB53_4 Depth=1
	s_cmp_lt_u32 s15, 32
	s_cselect_b64 s[12:13], -1, 0
	s_cmp_lg_u64 s[12:13], 0
	;;#ASMSTART
	global_load_dwordx4 v[2:5], v[8:9] off sc1	
s_waitcnt vmcnt(0)
	;;#ASMEND
	s_addc_u32 s15, s15, 0
	v_and_b32_e32 v6, 0xff, v4
	v_cmp_ne_u64_e32 vcc, 0, v[6:7]
	s_or_b64 s[10:11], vcc, s[10:11]
	s_andn2_b64 exec, exec, s[10:11]
	s_cbranch_execnz .LBB53_4
; %bb.7:
	s_or_b64 exec, exec, s[10:11]
.LBB53_8:
	s_or_b64 exec, exec, s[8:9]
	v_mov_b32_e32 v1, 0
	global_store_dwordx2 v1, v[2:3], s[6:7]
.LBB53_9:
	s_or_b64 exec, exec, s[2:3]
.LBB53_10:
	v_cmp_eq_u32_e32 vcc, 0, v0
	s_and_saveexec_b64 s[2:3], vcc
	s_cbranch_execnz .LBB53_14
; %bb.11:
	s_or_b64 exec, exec, s[2:3]
	v_cmp_gt_u32_e32 vcc, s14, v0
	s_and_saveexec_b64 s[0:1], vcc
	s_cbranch_execnz .LBB53_15
.LBB53_12:
	s_or_b64 exec, exec, s[0:1]
	v_cmp_gt_u32_e32 vcc, 64, v0
	s_and_saveexec_b64 s[0:1], vcc
	s_cbranch_execnz .LBB53_16
.LBB53_13:
	s_endpgm
.LBB53_14:
	s_load_dwordx2 s[0:1], s[0:1], 0x10
	v_mov_b32_e32 v1, 0
	s_waitcnt lgkmcnt(0)
	global_store_dword v1, v1, s[0:1]
	s_or_b64 exec, exec, s[2:3]
	v_cmp_gt_u32_e32 vcc, s14, v0
	s_and_saveexec_b64 s[0:1], vcc
	s_cbranch_execz .LBB53_12
.LBB53_15:
	v_add_u32_e32 v2, 64, v0
	v_mov_b32_e32 v3, 0
	v_lshl_add_u64 v[6:7], v[2:3], 4, s[4:5]
	v_mov_b32_e32 v2, v3
	v_mov_b32_e32 v4, v3
	;; [unrolled: 1-line block ×3, first 2 shown]
	global_store_dwordx4 v[6:7], v[2:5], off
	s_or_b64 exec, exec, s[0:1]
	v_cmp_gt_u32_e32 vcc, 64, v0
	s_and_saveexec_b64 s[0:1], vcc
	s_cbranch_execz .LBB53_13
.LBB53_16:
	v_mov_b32_e32 v1, 0
	v_lshl_add_u64 v[4:5], v[0:1], 4, s[4:5]
	v_mov_b32_e32 v2, 0xff
	v_mov_b32_e32 v0, v1
	;; [unrolled: 1-line block ×3, first 2 shown]
	global_store_dwordx4 v[4:5], v[0:3], off
	s_endpgm
	.section	.rodata,"a",@progbits
	.p2align	6, 0x0
	.amdhsa_kernel _ZN7rocprim17ROCPRIM_400000_NS6detail31init_lookback_scan_state_kernelINS1_19lookback_scan_stateImLb1ELb1EEENS1_16block_id_wrapperIjLb1EEEEEvT_jT0_jPNS7_10value_typeE
		.amdhsa_group_segment_fixed_size 0
		.amdhsa_private_segment_fixed_size 0
		.amdhsa_kernarg_size 296
		.amdhsa_user_sgpr_count 2
		.amdhsa_user_sgpr_dispatch_ptr 0
		.amdhsa_user_sgpr_queue_ptr 0
		.amdhsa_user_sgpr_kernarg_segment_ptr 1
		.amdhsa_user_sgpr_dispatch_id 0
		.amdhsa_user_sgpr_kernarg_preload_length 0
		.amdhsa_user_sgpr_kernarg_preload_offset 0
		.amdhsa_user_sgpr_private_segment_size 0
		.amdhsa_uses_dynamic_stack 0
		.amdhsa_enable_private_segment 0
		.amdhsa_system_sgpr_workgroup_id_x 1
		.amdhsa_system_sgpr_workgroup_id_y 0
		.amdhsa_system_sgpr_workgroup_id_z 0
		.amdhsa_system_sgpr_workgroup_info 0
		.amdhsa_system_vgpr_workitem_id 0
		.amdhsa_next_free_vgpr 10
		.amdhsa_next_free_sgpr 16
		.amdhsa_accum_offset 12
		.amdhsa_reserve_vcc 1
		.amdhsa_float_round_mode_32 0
		.amdhsa_float_round_mode_16_64 0
		.amdhsa_float_denorm_mode_32 3
		.amdhsa_float_denorm_mode_16_64 3
		.amdhsa_dx10_clamp 1
		.amdhsa_ieee_mode 1
		.amdhsa_fp16_overflow 0
		.amdhsa_tg_split 0
		.amdhsa_exception_fp_ieee_invalid_op 0
		.amdhsa_exception_fp_denorm_src 0
		.amdhsa_exception_fp_ieee_div_zero 0
		.amdhsa_exception_fp_ieee_overflow 0
		.amdhsa_exception_fp_ieee_underflow 0
		.amdhsa_exception_fp_ieee_inexact 0
		.amdhsa_exception_int_div_zero 0
	.end_amdhsa_kernel
	.section	.text._ZN7rocprim17ROCPRIM_400000_NS6detail31init_lookback_scan_state_kernelINS1_19lookback_scan_stateImLb1ELb1EEENS1_16block_id_wrapperIjLb1EEEEEvT_jT0_jPNS7_10value_typeE,"axG",@progbits,_ZN7rocprim17ROCPRIM_400000_NS6detail31init_lookback_scan_state_kernelINS1_19lookback_scan_stateImLb1ELb1EEENS1_16block_id_wrapperIjLb1EEEEEvT_jT0_jPNS7_10value_typeE,comdat
.Lfunc_end53:
	.size	_ZN7rocprim17ROCPRIM_400000_NS6detail31init_lookback_scan_state_kernelINS1_19lookback_scan_stateImLb1ELb1EEENS1_16block_id_wrapperIjLb1EEEEEvT_jT0_jPNS7_10value_typeE, .Lfunc_end53-_ZN7rocprim17ROCPRIM_400000_NS6detail31init_lookback_scan_state_kernelINS1_19lookback_scan_stateImLb1ELb1EEENS1_16block_id_wrapperIjLb1EEEEEvT_jT0_jPNS7_10value_typeE
                                        ; -- End function
	.set _ZN7rocprim17ROCPRIM_400000_NS6detail31init_lookback_scan_state_kernelINS1_19lookback_scan_stateImLb1ELb1EEENS1_16block_id_wrapperIjLb1EEEEEvT_jT0_jPNS7_10value_typeE.num_vgpr, 10
	.set _ZN7rocprim17ROCPRIM_400000_NS6detail31init_lookback_scan_state_kernelINS1_19lookback_scan_stateImLb1ELb1EEENS1_16block_id_wrapperIjLb1EEEEEvT_jT0_jPNS7_10value_typeE.num_agpr, 0
	.set _ZN7rocprim17ROCPRIM_400000_NS6detail31init_lookback_scan_state_kernelINS1_19lookback_scan_stateImLb1ELb1EEENS1_16block_id_wrapperIjLb1EEEEEvT_jT0_jPNS7_10value_typeE.numbered_sgpr, 16
	.set _ZN7rocprim17ROCPRIM_400000_NS6detail31init_lookback_scan_state_kernelINS1_19lookback_scan_stateImLb1ELb1EEENS1_16block_id_wrapperIjLb1EEEEEvT_jT0_jPNS7_10value_typeE.num_named_barrier, 0
	.set _ZN7rocprim17ROCPRIM_400000_NS6detail31init_lookback_scan_state_kernelINS1_19lookback_scan_stateImLb1ELb1EEENS1_16block_id_wrapperIjLb1EEEEEvT_jT0_jPNS7_10value_typeE.private_seg_size, 0
	.set _ZN7rocprim17ROCPRIM_400000_NS6detail31init_lookback_scan_state_kernelINS1_19lookback_scan_stateImLb1ELb1EEENS1_16block_id_wrapperIjLb1EEEEEvT_jT0_jPNS7_10value_typeE.uses_vcc, 1
	.set _ZN7rocprim17ROCPRIM_400000_NS6detail31init_lookback_scan_state_kernelINS1_19lookback_scan_stateImLb1ELb1EEENS1_16block_id_wrapperIjLb1EEEEEvT_jT0_jPNS7_10value_typeE.uses_flat_scratch, 0
	.set _ZN7rocprim17ROCPRIM_400000_NS6detail31init_lookback_scan_state_kernelINS1_19lookback_scan_stateImLb1ELb1EEENS1_16block_id_wrapperIjLb1EEEEEvT_jT0_jPNS7_10value_typeE.has_dyn_sized_stack, 0
	.set _ZN7rocprim17ROCPRIM_400000_NS6detail31init_lookback_scan_state_kernelINS1_19lookback_scan_stateImLb1ELb1EEENS1_16block_id_wrapperIjLb1EEEEEvT_jT0_jPNS7_10value_typeE.has_recursion, 0
	.set _ZN7rocprim17ROCPRIM_400000_NS6detail31init_lookback_scan_state_kernelINS1_19lookback_scan_stateImLb1ELb1EEENS1_16block_id_wrapperIjLb1EEEEEvT_jT0_jPNS7_10value_typeE.has_indirect_call, 0
	.section	.AMDGPU.csdata,"",@progbits
; Kernel info:
; codeLenInByte = 480
; TotalNumSgprs: 22
; NumVgprs: 10
; NumAgprs: 0
; TotalNumVgprs: 10
; ScratchSize: 0
; MemoryBound: 0
; FloatMode: 240
; IeeeMode: 1
; LDSByteSize: 0 bytes/workgroup (compile time only)
; SGPRBlocks: 2
; VGPRBlocks: 1
; NumSGPRsForWavesPerEU: 22
; NumVGPRsForWavesPerEU: 10
; AccumOffset: 12
; Occupancy: 8
; WaveLimiterHint : 0
; COMPUTE_PGM_RSRC2:SCRATCH_EN: 0
; COMPUTE_PGM_RSRC2:USER_SGPR: 2
; COMPUTE_PGM_RSRC2:TRAP_HANDLER: 0
; COMPUTE_PGM_RSRC2:TGID_X_EN: 1
; COMPUTE_PGM_RSRC2:TGID_Y_EN: 0
; COMPUTE_PGM_RSRC2:TGID_Z_EN: 0
; COMPUTE_PGM_RSRC2:TIDIG_COMP_CNT: 0
; COMPUTE_PGM_RSRC3_GFX90A:ACCUM_OFFSET: 2
; COMPUTE_PGM_RSRC3_GFX90A:TG_SPLIT: 0
	.section	.text._ZN7rocprim17ROCPRIM_400000_NS6detail17trampoline_kernelINS0_14default_configENS1_25partition_config_selectorILNS1_17partition_subalgoE5ElNS0_10empty_typeEbEEZZNS1_14partition_implILS5_5ELb0ES3_mN6hipcub16HIPCUB_304000_NS21CountingInputIteratorIllEEPS6_NSA_22TransformInputIteratorIb7NonZeroIaEPalEENS0_5tupleIJPlS6_EEENSJ_IJSD_SD_EEES6_SK_JS6_EEE10hipError_tPvRmT3_T4_T5_T6_T7_T9_mT8_P12ihipStream_tbDpT10_ENKUlT_T0_E_clISt17integral_constantIbLb1EES16_EEDaS11_S12_EUlS11_E_NS1_11comp_targetILNS1_3genE0ELNS1_11target_archE4294967295ELNS1_3gpuE0ELNS1_3repE0EEENS1_30default_config_static_selectorELNS0_4arch9wavefront6targetE1EEEvT1_,"axG",@progbits,_ZN7rocprim17ROCPRIM_400000_NS6detail17trampoline_kernelINS0_14default_configENS1_25partition_config_selectorILNS1_17partition_subalgoE5ElNS0_10empty_typeEbEEZZNS1_14partition_implILS5_5ELb0ES3_mN6hipcub16HIPCUB_304000_NS21CountingInputIteratorIllEEPS6_NSA_22TransformInputIteratorIb7NonZeroIaEPalEENS0_5tupleIJPlS6_EEENSJ_IJSD_SD_EEES6_SK_JS6_EEE10hipError_tPvRmT3_T4_T5_T6_T7_T9_mT8_P12ihipStream_tbDpT10_ENKUlT_T0_E_clISt17integral_constantIbLb1EES16_EEDaS11_S12_EUlS11_E_NS1_11comp_targetILNS1_3genE0ELNS1_11target_archE4294967295ELNS1_3gpuE0ELNS1_3repE0EEENS1_30default_config_static_selectorELNS0_4arch9wavefront6targetE1EEEvT1_,comdat
	.protected	_ZN7rocprim17ROCPRIM_400000_NS6detail17trampoline_kernelINS0_14default_configENS1_25partition_config_selectorILNS1_17partition_subalgoE5ElNS0_10empty_typeEbEEZZNS1_14partition_implILS5_5ELb0ES3_mN6hipcub16HIPCUB_304000_NS21CountingInputIteratorIllEEPS6_NSA_22TransformInputIteratorIb7NonZeroIaEPalEENS0_5tupleIJPlS6_EEENSJ_IJSD_SD_EEES6_SK_JS6_EEE10hipError_tPvRmT3_T4_T5_T6_T7_T9_mT8_P12ihipStream_tbDpT10_ENKUlT_T0_E_clISt17integral_constantIbLb1EES16_EEDaS11_S12_EUlS11_E_NS1_11comp_targetILNS1_3genE0ELNS1_11target_archE4294967295ELNS1_3gpuE0ELNS1_3repE0EEENS1_30default_config_static_selectorELNS0_4arch9wavefront6targetE1EEEvT1_ ; -- Begin function _ZN7rocprim17ROCPRIM_400000_NS6detail17trampoline_kernelINS0_14default_configENS1_25partition_config_selectorILNS1_17partition_subalgoE5ElNS0_10empty_typeEbEEZZNS1_14partition_implILS5_5ELb0ES3_mN6hipcub16HIPCUB_304000_NS21CountingInputIteratorIllEEPS6_NSA_22TransformInputIteratorIb7NonZeroIaEPalEENS0_5tupleIJPlS6_EEENSJ_IJSD_SD_EEES6_SK_JS6_EEE10hipError_tPvRmT3_T4_T5_T6_T7_T9_mT8_P12ihipStream_tbDpT10_ENKUlT_T0_E_clISt17integral_constantIbLb1EES16_EEDaS11_S12_EUlS11_E_NS1_11comp_targetILNS1_3genE0ELNS1_11target_archE4294967295ELNS1_3gpuE0ELNS1_3repE0EEENS1_30default_config_static_selectorELNS0_4arch9wavefront6targetE1EEEvT1_
	.globl	_ZN7rocprim17ROCPRIM_400000_NS6detail17trampoline_kernelINS0_14default_configENS1_25partition_config_selectorILNS1_17partition_subalgoE5ElNS0_10empty_typeEbEEZZNS1_14partition_implILS5_5ELb0ES3_mN6hipcub16HIPCUB_304000_NS21CountingInputIteratorIllEEPS6_NSA_22TransformInputIteratorIb7NonZeroIaEPalEENS0_5tupleIJPlS6_EEENSJ_IJSD_SD_EEES6_SK_JS6_EEE10hipError_tPvRmT3_T4_T5_T6_T7_T9_mT8_P12ihipStream_tbDpT10_ENKUlT_T0_E_clISt17integral_constantIbLb1EES16_EEDaS11_S12_EUlS11_E_NS1_11comp_targetILNS1_3genE0ELNS1_11target_archE4294967295ELNS1_3gpuE0ELNS1_3repE0EEENS1_30default_config_static_selectorELNS0_4arch9wavefront6targetE1EEEvT1_
	.p2align	8
	.type	_ZN7rocprim17ROCPRIM_400000_NS6detail17trampoline_kernelINS0_14default_configENS1_25partition_config_selectorILNS1_17partition_subalgoE5ElNS0_10empty_typeEbEEZZNS1_14partition_implILS5_5ELb0ES3_mN6hipcub16HIPCUB_304000_NS21CountingInputIteratorIllEEPS6_NSA_22TransformInputIteratorIb7NonZeroIaEPalEENS0_5tupleIJPlS6_EEENSJ_IJSD_SD_EEES6_SK_JS6_EEE10hipError_tPvRmT3_T4_T5_T6_T7_T9_mT8_P12ihipStream_tbDpT10_ENKUlT_T0_E_clISt17integral_constantIbLb1EES16_EEDaS11_S12_EUlS11_E_NS1_11comp_targetILNS1_3genE0ELNS1_11target_archE4294967295ELNS1_3gpuE0ELNS1_3repE0EEENS1_30default_config_static_selectorELNS0_4arch9wavefront6targetE1EEEvT1_,@function
_ZN7rocprim17ROCPRIM_400000_NS6detail17trampoline_kernelINS0_14default_configENS1_25partition_config_selectorILNS1_17partition_subalgoE5ElNS0_10empty_typeEbEEZZNS1_14partition_implILS5_5ELb0ES3_mN6hipcub16HIPCUB_304000_NS21CountingInputIteratorIllEEPS6_NSA_22TransformInputIteratorIb7NonZeroIaEPalEENS0_5tupleIJPlS6_EEENSJ_IJSD_SD_EEES6_SK_JS6_EEE10hipError_tPvRmT3_T4_T5_T6_T7_T9_mT8_P12ihipStream_tbDpT10_ENKUlT_T0_E_clISt17integral_constantIbLb1EES16_EEDaS11_S12_EUlS11_E_NS1_11comp_targetILNS1_3genE0ELNS1_11target_archE4294967295ELNS1_3gpuE0ELNS1_3repE0EEENS1_30default_config_static_selectorELNS0_4arch9wavefront6targetE1EEEvT1_: ; @_ZN7rocprim17ROCPRIM_400000_NS6detail17trampoline_kernelINS0_14default_configENS1_25partition_config_selectorILNS1_17partition_subalgoE5ElNS0_10empty_typeEbEEZZNS1_14partition_implILS5_5ELb0ES3_mN6hipcub16HIPCUB_304000_NS21CountingInputIteratorIllEEPS6_NSA_22TransformInputIteratorIb7NonZeroIaEPalEENS0_5tupleIJPlS6_EEENSJ_IJSD_SD_EEES6_SK_JS6_EEE10hipError_tPvRmT3_T4_T5_T6_T7_T9_mT8_P12ihipStream_tbDpT10_ENKUlT_T0_E_clISt17integral_constantIbLb1EES16_EEDaS11_S12_EUlS11_E_NS1_11comp_targetILNS1_3genE0ELNS1_11target_archE4294967295ELNS1_3gpuE0ELNS1_3repE0EEENS1_30default_config_static_selectorELNS0_4arch9wavefront6targetE1EEEvT1_
; %bb.0:
	s_endpgm
	.section	.rodata,"a",@progbits
	.p2align	6, 0x0
	.amdhsa_kernel _ZN7rocprim17ROCPRIM_400000_NS6detail17trampoline_kernelINS0_14default_configENS1_25partition_config_selectorILNS1_17partition_subalgoE5ElNS0_10empty_typeEbEEZZNS1_14partition_implILS5_5ELb0ES3_mN6hipcub16HIPCUB_304000_NS21CountingInputIteratorIllEEPS6_NSA_22TransformInputIteratorIb7NonZeroIaEPalEENS0_5tupleIJPlS6_EEENSJ_IJSD_SD_EEES6_SK_JS6_EEE10hipError_tPvRmT3_T4_T5_T6_T7_T9_mT8_P12ihipStream_tbDpT10_ENKUlT_T0_E_clISt17integral_constantIbLb1EES16_EEDaS11_S12_EUlS11_E_NS1_11comp_targetILNS1_3genE0ELNS1_11target_archE4294967295ELNS1_3gpuE0ELNS1_3repE0EEENS1_30default_config_static_selectorELNS0_4arch9wavefront6targetE1EEEvT1_
		.amdhsa_group_segment_fixed_size 0
		.amdhsa_private_segment_fixed_size 0
		.amdhsa_kernarg_size 136
		.amdhsa_user_sgpr_count 2
		.amdhsa_user_sgpr_dispatch_ptr 0
		.amdhsa_user_sgpr_queue_ptr 0
		.amdhsa_user_sgpr_kernarg_segment_ptr 1
		.amdhsa_user_sgpr_dispatch_id 0
		.amdhsa_user_sgpr_kernarg_preload_length 0
		.amdhsa_user_sgpr_kernarg_preload_offset 0
		.amdhsa_user_sgpr_private_segment_size 0
		.amdhsa_uses_dynamic_stack 0
		.amdhsa_enable_private_segment 0
		.amdhsa_system_sgpr_workgroup_id_x 1
		.amdhsa_system_sgpr_workgroup_id_y 0
		.amdhsa_system_sgpr_workgroup_id_z 0
		.amdhsa_system_sgpr_workgroup_info 0
		.amdhsa_system_vgpr_workitem_id 0
		.amdhsa_next_free_vgpr 1
		.amdhsa_next_free_sgpr 0
		.amdhsa_accum_offset 4
		.amdhsa_reserve_vcc 0
		.amdhsa_float_round_mode_32 0
		.amdhsa_float_round_mode_16_64 0
		.amdhsa_float_denorm_mode_32 3
		.amdhsa_float_denorm_mode_16_64 3
		.amdhsa_dx10_clamp 1
		.amdhsa_ieee_mode 1
		.amdhsa_fp16_overflow 0
		.amdhsa_tg_split 0
		.amdhsa_exception_fp_ieee_invalid_op 0
		.amdhsa_exception_fp_denorm_src 0
		.amdhsa_exception_fp_ieee_div_zero 0
		.amdhsa_exception_fp_ieee_overflow 0
		.amdhsa_exception_fp_ieee_underflow 0
		.amdhsa_exception_fp_ieee_inexact 0
		.amdhsa_exception_int_div_zero 0
	.end_amdhsa_kernel
	.section	.text._ZN7rocprim17ROCPRIM_400000_NS6detail17trampoline_kernelINS0_14default_configENS1_25partition_config_selectorILNS1_17partition_subalgoE5ElNS0_10empty_typeEbEEZZNS1_14partition_implILS5_5ELb0ES3_mN6hipcub16HIPCUB_304000_NS21CountingInputIteratorIllEEPS6_NSA_22TransformInputIteratorIb7NonZeroIaEPalEENS0_5tupleIJPlS6_EEENSJ_IJSD_SD_EEES6_SK_JS6_EEE10hipError_tPvRmT3_T4_T5_T6_T7_T9_mT8_P12ihipStream_tbDpT10_ENKUlT_T0_E_clISt17integral_constantIbLb1EES16_EEDaS11_S12_EUlS11_E_NS1_11comp_targetILNS1_3genE0ELNS1_11target_archE4294967295ELNS1_3gpuE0ELNS1_3repE0EEENS1_30default_config_static_selectorELNS0_4arch9wavefront6targetE1EEEvT1_,"axG",@progbits,_ZN7rocprim17ROCPRIM_400000_NS6detail17trampoline_kernelINS0_14default_configENS1_25partition_config_selectorILNS1_17partition_subalgoE5ElNS0_10empty_typeEbEEZZNS1_14partition_implILS5_5ELb0ES3_mN6hipcub16HIPCUB_304000_NS21CountingInputIteratorIllEEPS6_NSA_22TransformInputIteratorIb7NonZeroIaEPalEENS0_5tupleIJPlS6_EEENSJ_IJSD_SD_EEES6_SK_JS6_EEE10hipError_tPvRmT3_T4_T5_T6_T7_T9_mT8_P12ihipStream_tbDpT10_ENKUlT_T0_E_clISt17integral_constantIbLb1EES16_EEDaS11_S12_EUlS11_E_NS1_11comp_targetILNS1_3genE0ELNS1_11target_archE4294967295ELNS1_3gpuE0ELNS1_3repE0EEENS1_30default_config_static_selectorELNS0_4arch9wavefront6targetE1EEEvT1_,comdat
.Lfunc_end54:
	.size	_ZN7rocprim17ROCPRIM_400000_NS6detail17trampoline_kernelINS0_14default_configENS1_25partition_config_selectorILNS1_17partition_subalgoE5ElNS0_10empty_typeEbEEZZNS1_14partition_implILS5_5ELb0ES3_mN6hipcub16HIPCUB_304000_NS21CountingInputIteratorIllEEPS6_NSA_22TransformInputIteratorIb7NonZeroIaEPalEENS0_5tupleIJPlS6_EEENSJ_IJSD_SD_EEES6_SK_JS6_EEE10hipError_tPvRmT3_T4_T5_T6_T7_T9_mT8_P12ihipStream_tbDpT10_ENKUlT_T0_E_clISt17integral_constantIbLb1EES16_EEDaS11_S12_EUlS11_E_NS1_11comp_targetILNS1_3genE0ELNS1_11target_archE4294967295ELNS1_3gpuE0ELNS1_3repE0EEENS1_30default_config_static_selectorELNS0_4arch9wavefront6targetE1EEEvT1_, .Lfunc_end54-_ZN7rocprim17ROCPRIM_400000_NS6detail17trampoline_kernelINS0_14default_configENS1_25partition_config_selectorILNS1_17partition_subalgoE5ElNS0_10empty_typeEbEEZZNS1_14partition_implILS5_5ELb0ES3_mN6hipcub16HIPCUB_304000_NS21CountingInputIteratorIllEEPS6_NSA_22TransformInputIteratorIb7NonZeroIaEPalEENS0_5tupleIJPlS6_EEENSJ_IJSD_SD_EEES6_SK_JS6_EEE10hipError_tPvRmT3_T4_T5_T6_T7_T9_mT8_P12ihipStream_tbDpT10_ENKUlT_T0_E_clISt17integral_constantIbLb1EES16_EEDaS11_S12_EUlS11_E_NS1_11comp_targetILNS1_3genE0ELNS1_11target_archE4294967295ELNS1_3gpuE0ELNS1_3repE0EEENS1_30default_config_static_selectorELNS0_4arch9wavefront6targetE1EEEvT1_
                                        ; -- End function
	.set _ZN7rocprim17ROCPRIM_400000_NS6detail17trampoline_kernelINS0_14default_configENS1_25partition_config_selectorILNS1_17partition_subalgoE5ElNS0_10empty_typeEbEEZZNS1_14partition_implILS5_5ELb0ES3_mN6hipcub16HIPCUB_304000_NS21CountingInputIteratorIllEEPS6_NSA_22TransformInputIteratorIb7NonZeroIaEPalEENS0_5tupleIJPlS6_EEENSJ_IJSD_SD_EEES6_SK_JS6_EEE10hipError_tPvRmT3_T4_T5_T6_T7_T9_mT8_P12ihipStream_tbDpT10_ENKUlT_T0_E_clISt17integral_constantIbLb1EES16_EEDaS11_S12_EUlS11_E_NS1_11comp_targetILNS1_3genE0ELNS1_11target_archE4294967295ELNS1_3gpuE0ELNS1_3repE0EEENS1_30default_config_static_selectorELNS0_4arch9wavefront6targetE1EEEvT1_.num_vgpr, 0
	.set _ZN7rocprim17ROCPRIM_400000_NS6detail17trampoline_kernelINS0_14default_configENS1_25partition_config_selectorILNS1_17partition_subalgoE5ElNS0_10empty_typeEbEEZZNS1_14partition_implILS5_5ELb0ES3_mN6hipcub16HIPCUB_304000_NS21CountingInputIteratorIllEEPS6_NSA_22TransformInputIteratorIb7NonZeroIaEPalEENS0_5tupleIJPlS6_EEENSJ_IJSD_SD_EEES6_SK_JS6_EEE10hipError_tPvRmT3_T4_T5_T6_T7_T9_mT8_P12ihipStream_tbDpT10_ENKUlT_T0_E_clISt17integral_constantIbLb1EES16_EEDaS11_S12_EUlS11_E_NS1_11comp_targetILNS1_3genE0ELNS1_11target_archE4294967295ELNS1_3gpuE0ELNS1_3repE0EEENS1_30default_config_static_selectorELNS0_4arch9wavefront6targetE1EEEvT1_.num_agpr, 0
	.set _ZN7rocprim17ROCPRIM_400000_NS6detail17trampoline_kernelINS0_14default_configENS1_25partition_config_selectorILNS1_17partition_subalgoE5ElNS0_10empty_typeEbEEZZNS1_14partition_implILS5_5ELb0ES3_mN6hipcub16HIPCUB_304000_NS21CountingInputIteratorIllEEPS6_NSA_22TransformInputIteratorIb7NonZeroIaEPalEENS0_5tupleIJPlS6_EEENSJ_IJSD_SD_EEES6_SK_JS6_EEE10hipError_tPvRmT3_T4_T5_T6_T7_T9_mT8_P12ihipStream_tbDpT10_ENKUlT_T0_E_clISt17integral_constantIbLb1EES16_EEDaS11_S12_EUlS11_E_NS1_11comp_targetILNS1_3genE0ELNS1_11target_archE4294967295ELNS1_3gpuE0ELNS1_3repE0EEENS1_30default_config_static_selectorELNS0_4arch9wavefront6targetE1EEEvT1_.numbered_sgpr, 0
	.set _ZN7rocprim17ROCPRIM_400000_NS6detail17trampoline_kernelINS0_14default_configENS1_25partition_config_selectorILNS1_17partition_subalgoE5ElNS0_10empty_typeEbEEZZNS1_14partition_implILS5_5ELb0ES3_mN6hipcub16HIPCUB_304000_NS21CountingInputIteratorIllEEPS6_NSA_22TransformInputIteratorIb7NonZeroIaEPalEENS0_5tupleIJPlS6_EEENSJ_IJSD_SD_EEES6_SK_JS6_EEE10hipError_tPvRmT3_T4_T5_T6_T7_T9_mT8_P12ihipStream_tbDpT10_ENKUlT_T0_E_clISt17integral_constantIbLb1EES16_EEDaS11_S12_EUlS11_E_NS1_11comp_targetILNS1_3genE0ELNS1_11target_archE4294967295ELNS1_3gpuE0ELNS1_3repE0EEENS1_30default_config_static_selectorELNS0_4arch9wavefront6targetE1EEEvT1_.num_named_barrier, 0
	.set _ZN7rocprim17ROCPRIM_400000_NS6detail17trampoline_kernelINS0_14default_configENS1_25partition_config_selectorILNS1_17partition_subalgoE5ElNS0_10empty_typeEbEEZZNS1_14partition_implILS5_5ELb0ES3_mN6hipcub16HIPCUB_304000_NS21CountingInputIteratorIllEEPS6_NSA_22TransformInputIteratorIb7NonZeroIaEPalEENS0_5tupleIJPlS6_EEENSJ_IJSD_SD_EEES6_SK_JS6_EEE10hipError_tPvRmT3_T4_T5_T6_T7_T9_mT8_P12ihipStream_tbDpT10_ENKUlT_T0_E_clISt17integral_constantIbLb1EES16_EEDaS11_S12_EUlS11_E_NS1_11comp_targetILNS1_3genE0ELNS1_11target_archE4294967295ELNS1_3gpuE0ELNS1_3repE0EEENS1_30default_config_static_selectorELNS0_4arch9wavefront6targetE1EEEvT1_.private_seg_size, 0
	.set _ZN7rocprim17ROCPRIM_400000_NS6detail17trampoline_kernelINS0_14default_configENS1_25partition_config_selectorILNS1_17partition_subalgoE5ElNS0_10empty_typeEbEEZZNS1_14partition_implILS5_5ELb0ES3_mN6hipcub16HIPCUB_304000_NS21CountingInputIteratorIllEEPS6_NSA_22TransformInputIteratorIb7NonZeroIaEPalEENS0_5tupleIJPlS6_EEENSJ_IJSD_SD_EEES6_SK_JS6_EEE10hipError_tPvRmT3_T4_T5_T6_T7_T9_mT8_P12ihipStream_tbDpT10_ENKUlT_T0_E_clISt17integral_constantIbLb1EES16_EEDaS11_S12_EUlS11_E_NS1_11comp_targetILNS1_3genE0ELNS1_11target_archE4294967295ELNS1_3gpuE0ELNS1_3repE0EEENS1_30default_config_static_selectorELNS0_4arch9wavefront6targetE1EEEvT1_.uses_vcc, 0
	.set _ZN7rocprim17ROCPRIM_400000_NS6detail17trampoline_kernelINS0_14default_configENS1_25partition_config_selectorILNS1_17partition_subalgoE5ElNS0_10empty_typeEbEEZZNS1_14partition_implILS5_5ELb0ES3_mN6hipcub16HIPCUB_304000_NS21CountingInputIteratorIllEEPS6_NSA_22TransformInputIteratorIb7NonZeroIaEPalEENS0_5tupleIJPlS6_EEENSJ_IJSD_SD_EEES6_SK_JS6_EEE10hipError_tPvRmT3_T4_T5_T6_T7_T9_mT8_P12ihipStream_tbDpT10_ENKUlT_T0_E_clISt17integral_constantIbLb1EES16_EEDaS11_S12_EUlS11_E_NS1_11comp_targetILNS1_3genE0ELNS1_11target_archE4294967295ELNS1_3gpuE0ELNS1_3repE0EEENS1_30default_config_static_selectorELNS0_4arch9wavefront6targetE1EEEvT1_.uses_flat_scratch, 0
	.set _ZN7rocprim17ROCPRIM_400000_NS6detail17trampoline_kernelINS0_14default_configENS1_25partition_config_selectorILNS1_17partition_subalgoE5ElNS0_10empty_typeEbEEZZNS1_14partition_implILS5_5ELb0ES3_mN6hipcub16HIPCUB_304000_NS21CountingInputIteratorIllEEPS6_NSA_22TransformInputIteratorIb7NonZeroIaEPalEENS0_5tupleIJPlS6_EEENSJ_IJSD_SD_EEES6_SK_JS6_EEE10hipError_tPvRmT3_T4_T5_T6_T7_T9_mT8_P12ihipStream_tbDpT10_ENKUlT_T0_E_clISt17integral_constantIbLb1EES16_EEDaS11_S12_EUlS11_E_NS1_11comp_targetILNS1_3genE0ELNS1_11target_archE4294967295ELNS1_3gpuE0ELNS1_3repE0EEENS1_30default_config_static_selectorELNS0_4arch9wavefront6targetE1EEEvT1_.has_dyn_sized_stack, 0
	.set _ZN7rocprim17ROCPRIM_400000_NS6detail17trampoline_kernelINS0_14default_configENS1_25partition_config_selectorILNS1_17partition_subalgoE5ElNS0_10empty_typeEbEEZZNS1_14partition_implILS5_5ELb0ES3_mN6hipcub16HIPCUB_304000_NS21CountingInputIteratorIllEEPS6_NSA_22TransformInputIteratorIb7NonZeroIaEPalEENS0_5tupleIJPlS6_EEENSJ_IJSD_SD_EEES6_SK_JS6_EEE10hipError_tPvRmT3_T4_T5_T6_T7_T9_mT8_P12ihipStream_tbDpT10_ENKUlT_T0_E_clISt17integral_constantIbLb1EES16_EEDaS11_S12_EUlS11_E_NS1_11comp_targetILNS1_3genE0ELNS1_11target_archE4294967295ELNS1_3gpuE0ELNS1_3repE0EEENS1_30default_config_static_selectorELNS0_4arch9wavefront6targetE1EEEvT1_.has_recursion, 0
	.set _ZN7rocprim17ROCPRIM_400000_NS6detail17trampoline_kernelINS0_14default_configENS1_25partition_config_selectorILNS1_17partition_subalgoE5ElNS0_10empty_typeEbEEZZNS1_14partition_implILS5_5ELb0ES3_mN6hipcub16HIPCUB_304000_NS21CountingInputIteratorIllEEPS6_NSA_22TransformInputIteratorIb7NonZeroIaEPalEENS0_5tupleIJPlS6_EEENSJ_IJSD_SD_EEES6_SK_JS6_EEE10hipError_tPvRmT3_T4_T5_T6_T7_T9_mT8_P12ihipStream_tbDpT10_ENKUlT_T0_E_clISt17integral_constantIbLb1EES16_EEDaS11_S12_EUlS11_E_NS1_11comp_targetILNS1_3genE0ELNS1_11target_archE4294967295ELNS1_3gpuE0ELNS1_3repE0EEENS1_30default_config_static_selectorELNS0_4arch9wavefront6targetE1EEEvT1_.has_indirect_call, 0
	.section	.AMDGPU.csdata,"",@progbits
; Kernel info:
; codeLenInByte = 4
; TotalNumSgprs: 6
; NumVgprs: 0
; NumAgprs: 0
; TotalNumVgprs: 0
; ScratchSize: 0
; MemoryBound: 0
; FloatMode: 240
; IeeeMode: 1
; LDSByteSize: 0 bytes/workgroup (compile time only)
; SGPRBlocks: 0
; VGPRBlocks: 0
; NumSGPRsForWavesPerEU: 6
; NumVGPRsForWavesPerEU: 1
; AccumOffset: 4
; Occupancy: 8
; WaveLimiterHint : 0
; COMPUTE_PGM_RSRC2:SCRATCH_EN: 0
; COMPUTE_PGM_RSRC2:USER_SGPR: 2
; COMPUTE_PGM_RSRC2:TRAP_HANDLER: 0
; COMPUTE_PGM_RSRC2:TGID_X_EN: 1
; COMPUTE_PGM_RSRC2:TGID_Y_EN: 0
; COMPUTE_PGM_RSRC2:TGID_Z_EN: 0
; COMPUTE_PGM_RSRC2:TIDIG_COMP_CNT: 0
; COMPUTE_PGM_RSRC3_GFX90A:ACCUM_OFFSET: 0
; COMPUTE_PGM_RSRC3_GFX90A:TG_SPLIT: 0
	.section	.text._ZN7rocprim17ROCPRIM_400000_NS6detail17trampoline_kernelINS0_14default_configENS1_25partition_config_selectorILNS1_17partition_subalgoE5ElNS0_10empty_typeEbEEZZNS1_14partition_implILS5_5ELb0ES3_mN6hipcub16HIPCUB_304000_NS21CountingInputIteratorIllEEPS6_NSA_22TransformInputIteratorIb7NonZeroIaEPalEENS0_5tupleIJPlS6_EEENSJ_IJSD_SD_EEES6_SK_JS6_EEE10hipError_tPvRmT3_T4_T5_T6_T7_T9_mT8_P12ihipStream_tbDpT10_ENKUlT_T0_E_clISt17integral_constantIbLb1EES16_EEDaS11_S12_EUlS11_E_NS1_11comp_targetILNS1_3genE5ELNS1_11target_archE942ELNS1_3gpuE9ELNS1_3repE0EEENS1_30default_config_static_selectorELNS0_4arch9wavefront6targetE1EEEvT1_,"axG",@progbits,_ZN7rocprim17ROCPRIM_400000_NS6detail17trampoline_kernelINS0_14default_configENS1_25partition_config_selectorILNS1_17partition_subalgoE5ElNS0_10empty_typeEbEEZZNS1_14partition_implILS5_5ELb0ES3_mN6hipcub16HIPCUB_304000_NS21CountingInputIteratorIllEEPS6_NSA_22TransformInputIteratorIb7NonZeroIaEPalEENS0_5tupleIJPlS6_EEENSJ_IJSD_SD_EEES6_SK_JS6_EEE10hipError_tPvRmT3_T4_T5_T6_T7_T9_mT8_P12ihipStream_tbDpT10_ENKUlT_T0_E_clISt17integral_constantIbLb1EES16_EEDaS11_S12_EUlS11_E_NS1_11comp_targetILNS1_3genE5ELNS1_11target_archE942ELNS1_3gpuE9ELNS1_3repE0EEENS1_30default_config_static_selectorELNS0_4arch9wavefront6targetE1EEEvT1_,comdat
	.protected	_ZN7rocprim17ROCPRIM_400000_NS6detail17trampoline_kernelINS0_14default_configENS1_25partition_config_selectorILNS1_17partition_subalgoE5ElNS0_10empty_typeEbEEZZNS1_14partition_implILS5_5ELb0ES3_mN6hipcub16HIPCUB_304000_NS21CountingInputIteratorIllEEPS6_NSA_22TransformInputIteratorIb7NonZeroIaEPalEENS0_5tupleIJPlS6_EEENSJ_IJSD_SD_EEES6_SK_JS6_EEE10hipError_tPvRmT3_T4_T5_T6_T7_T9_mT8_P12ihipStream_tbDpT10_ENKUlT_T0_E_clISt17integral_constantIbLb1EES16_EEDaS11_S12_EUlS11_E_NS1_11comp_targetILNS1_3genE5ELNS1_11target_archE942ELNS1_3gpuE9ELNS1_3repE0EEENS1_30default_config_static_selectorELNS0_4arch9wavefront6targetE1EEEvT1_ ; -- Begin function _ZN7rocprim17ROCPRIM_400000_NS6detail17trampoline_kernelINS0_14default_configENS1_25partition_config_selectorILNS1_17partition_subalgoE5ElNS0_10empty_typeEbEEZZNS1_14partition_implILS5_5ELb0ES3_mN6hipcub16HIPCUB_304000_NS21CountingInputIteratorIllEEPS6_NSA_22TransformInputIteratorIb7NonZeroIaEPalEENS0_5tupleIJPlS6_EEENSJ_IJSD_SD_EEES6_SK_JS6_EEE10hipError_tPvRmT3_T4_T5_T6_T7_T9_mT8_P12ihipStream_tbDpT10_ENKUlT_T0_E_clISt17integral_constantIbLb1EES16_EEDaS11_S12_EUlS11_E_NS1_11comp_targetILNS1_3genE5ELNS1_11target_archE942ELNS1_3gpuE9ELNS1_3repE0EEENS1_30default_config_static_selectorELNS0_4arch9wavefront6targetE1EEEvT1_
	.globl	_ZN7rocprim17ROCPRIM_400000_NS6detail17trampoline_kernelINS0_14default_configENS1_25partition_config_selectorILNS1_17partition_subalgoE5ElNS0_10empty_typeEbEEZZNS1_14partition_implILS5_5ELb0ES3_mN6hipcub16HIPCUB_304000_NS21CountingInputIteratorIllEEPS6_NSA_22TransformInputIteratorIb7NonZeroIaEPalEENS0_5tupleIJPlS6_EEENSJ_IJSD_SD_EEES6_SK_JS6_EEE10hipError_tPvRmT3_T4_T5_T6_T7_T9_mT8_P12ihipStream_tbDpT10_ENKUlT_T0_E_clISt17integral_constantIbLb1EES16_EEDaS11_S12_EUlS11_E_NS1_11comp_targetILNS1_3genE5ELNS1_11target_archE942ELNS1_3gpuE9ELNS1_3repE0EEENS1_30default_config_static_selectorELNS0_4arch9wavefront6targetE1EEEvT1_
	.p2align	8
	.type	_ZN7rocprim17ROCPRIM_400000_NS6detail17trampoline_kernelINS0_14default_configENS1_25partition_config_selectorILNS1_17partition_subalgoE5ElNS0_10empty_typeEbEEZZNS1_14partition_implILS5_5ELb0ES3_mN6hipcub16HIPCUB_304000_NS21CountingInputIteratorIllEEPS6_NSA_22TransformInputIteratorIb7NonZeroIaEPalEENS0_5tupleIJPlS6_EEENSJ_IJSD_SD_EEES6_SK_JS6_EEE10hipError_tPvRmT3_T4_T5_T6_T7_T9_mT8_P12ihipStream_tbDpT10_ENKUlT_T0_E_clISt17integral_constantIbLb1EES16_EEDaS11_S12_EUlS11_E_NS1_11comp_targetILNS1_3genE5ELNS1_11target_archE942ELNS1_3gpuE9ELNS1_3repE0EEENS1_30default_config_static_selectorELNS0_4arch9wavefront6targetE1EEEvT1_,@function
_ZN7rocprim17ROCPRIM_400000_NS6detail17trampoline_kernelINS0_14default_configENS1_25partition_config_selectorILNS1_17partition_subalgoE5ElNS0_10empty_typeEbEEZZNS1_14partition_implILS5_5ELb0ES3_mN6hipcub16HIPCUB_304000_NS21CountingInputIteratorIllEEPS6_NSA_22TransformInputIteratorIb7NonZeroIaEPalEENS0_5tupleIJPlS6_EEENSJ_IJSD_SD_EEES6_SK_JS6_EEE10hipError_tPvRmT3_T4_T5_T6_T7_T9_mT8_P12ihipStream_tbDpT10_ENKUlT_T0_E_clISt17integral_constantIbLb1EES16_EEDaS11_S12_EUlS11_E_NS1_11comp_targetILNS1_3genE5ELNS1_11target_archE942ELNS1_3gpuE9ELNS1_3repE0EEENS1_30default_config_static_selectorELNS0_4arch9wavefront6targetE1EEEvT1_: ; @_ZN7rocprim17ROCPRIM_400000_NS6detail17trampoline_kernelINS0_14default_configENS1_25partition_config_selectorILNS1_17partition_subalgoE5ElNS0_10empty_typeEbEEZZNS1_14partition_implILS5_5ELb0ES3_mN6hipcub16HIPCUB_304000_NS21CountingInputIteratorIllEEPS6_NSA_22TransformInputIteratorIb7NonZeroIaEPalEENS0_5tupleIJPlS6_EEENSJ_IJSD_SD_EEES6_SK_JS6_EEE10hipError_tPvRmT3_T4_T5_T6_T7_T9_mT8_P12ihipStream_tbDpT10_ENKUlT_T0_E_clISt17integral_constantIbLb1EES16_EEDaS11_S12_EUlS11_E_NS1_11comp_targetILNS1_3genE5ELNS1_11target_archE942ELNS1_3gpuE9ELNS1_3repE0EEENS1_30default_config_static_selectorELNS0_4arch9wavefront6targetE1EEEvT1_
; %bb.0:
	.section	.rodata,"a",@progbits
	.p2align	6, 0x0
	.amdhsa_kernel _ZN7rocprim17ROCPRIM_400000_NS6detail17trampoline_kernelINS0_14default_configENS1_25partition_config_selectorILNS1_17partition_subalgoE5ElNS0_10empty_typeEbEEZZNS1_14partition_implILS5_5ELb0ES3_mN6hipcub16HIPCUB_304000_NS21CountingInputIteratorIllEEPS6_NSA_22TransformInputIteratorIb7NonZeroIaEPalEENS0_5tupleIJPlS6_EEENSJ_IJSD_SD_EEES6_SK_JS6_EEE10hipError_tPvRmT3_T4_T5_T6_T7_T9_mT8_P12ihipStream_tbDpT10_ENKUlT_T0_E_clISt17integral_constantIbLb1EES16_EEDaS11_S12_EUlS11_E_NS1_11comp_targetILNS1_3genE5ELNS1_11target_archE942ELNS1_3gpuE9ELNS1_3repE0EEENS1_30default_config_static_selectorELNS0_4arch9wavefront6targetE1EEEvT1_
		.amdhsa_group_segment_fixed_size 0
		.amdhsa_private_segment_fixed_size 0
		.amdhsa_kernarg_size 136
		.amdhsa_user_sgpr_count 2
		.amdhsa_user_sgpr_dispatch_ptr 0
		.amdhsa_user_sgpr_queue_ptr 0
		.amdhsa_user_sgpr_kernarg_segment_ptr 1
		.amdhsa_user_sgpr_dispatch_id 0
		.amdhsa_user_sgpr_kernarg_preload_length 0
		.amdhsa_user_sgpr_kernarg_preload_offset 0
		.amdhsa_user_sgpr_private_segment_size 0
		.amdhsa_uses_dynamic_stack 0
		.amdhsa_enable_private_segment 0
		.amdhsa_system_sgpr_workgroup_id_x 1
		.amdhsa_system_sgpr_workgroup_id_y 0
		.amdhsa_system_sgpr_workgroup_id_z 0
		.amdhsa_system_sgpr_workgroup_info 0
		.amdhsa_system_vgpr_workitem_id 0
		.amdhsa_next_free_vgpr 1
		.amdhsa_next_free_sgpr 0
		.amdhsa_accum_offset 4
		.amdhsa_reserve_vcc 0
		.amdhsa_float_round_mode_32 0
		.amdhsa_float_round_mode_16_64 0
		.amdhsa_float_denorm_mode_32 3
		.amdhsa_float_denorm_mode_16_64 3
		.amdhsa_dx10_clamp 1
		.amdhsa_ieee_mode 1
		.amdhsa_fp16_overflow 0
		.amdhsa_tg_split 0
		.amdhsa_exception_fp_ieee_invalid_op 0
		.amdhsa_exception_fp_denorm_src 0
		.amdhsa_exception_fp_ieee_div_zero 0
		.amdhsa_exception_fp_ieee_overflow 0
		.amdhsa_exception_fp_ieee_underflow 0
		.amdhsa_exception_fp_ieee_inexact 0
		.amdhsa_exception_int_div_zero 0
	.end_amdhsa_kernel
	.section	.text._ZN7rocprim17ROCPRIM_400000_NS6detail17trampoline_kernelINS0_14default_configENS1_25partition_config_selectorILNS1_17partition_subalgoE5ElNS0_10empty_typeEbEEZZNS1_14partition_implILS5_5ELb0ES3_mN6hipcub16HIPCUB_304000_NS21CountingInputIteratorIllEEPS6_NSA_22TransformInputIteratorIb7NonZeroIaEPalEENS0_5tupleIJPlS6_EEENSJ_IJSD_SD_EEES6_SK_JS6_EEE10hipError_tPvRmT3_T4_T5_T6_T7_T9_mT8_P12ihipStream_tbDpT10_ENKUlT_T0_E_clISt17integral_constantIbLb1EES16_EEDaS11_S12_EUlS11_E_NS1_11comp_targetILNS1_3genE5ELNS1_11target_archE942ELNS1_3gpuE9ELNS1_3repE0EEENS1_30default_config_static_selectorELNS0_4arch9wavefront6targetE1EEEvT1_,"axG",@progbits,_ZN7rocprim17ROCPRIM_400000_NS6detail17trampoline_kernelINS0_14default_configENS1_25partition_config_selectorILNS1_17partition_subalgoE5ElNS0_10empty_typeEbEEZZNS1_14partition_implILS5_5ELb0ES3_mN6hipcub16HIPCUB_304000_NS21CountingInputIteratorIllEEPS6_NSA_22TransformInputIteratorIb7NonZeroIaEPalEENS0_5tupleIJPlS6_EEENSJ_IJSD_SD_EEES6_SK_JS6_EEE10hipError_tPvRmT3_T4_T5_T6_T7_T9_mT8_P12ihipStream_tbDpT10_ENKUlT_T0_E_clISt17integral_constantIbLb1EES16_EEDaS11_S12_EUlS11_E_NS1_11comp_targetILNS1_3genE5ELNS1_11target_archE942ELNS1_3gpuE9ELNS1_3repE0EEENS1_30default_config_static_selectorELNS0_4arch9wavefront6targetE1EEEvT1_,comdat
.Lfunc_end55:
	.size	_ZN7rocprim17ROCPRIM_400000_NS6detail17trampoline_kernelINS0_14default_configENS1_25partition_config_selectorILNS1_17partition_subalgoE5ElNS0_10empty_typeEbEEZZNS1_14partition_implILS5_5ELb0ES3_mN6hipcub16HIPCUB_304000_NS21CountingInputIteratorIllEEPS6_NSA_22TransformInputIteratorIb7NonZeroIaEPalEENS0_5tupleIJPlS6_EEENSJ_IJSD_SD_EEES6_SK_JS6_EEE10hipError_tPvRmT3_T4_T5_T6_T7_T9_mT8_P12ihipStream_tbDpT10_ENKUlT_T0_E_clISt17integral_constantIbLb1EES16_EEDaS11_S12_EUlS11_E_NS1_11comp_targetILNS1_3genE5ELNS1_11target_archE942ELNS1_3gpuE9ELNS1_3repE0EEENS1_30default_config_static_selectorELNS0_4arch9wavefront6targetE1EEEvT1_, .Lfunc_end55-_ZN7rocprim17ROCPRIM_400000_NS6detail17trampoline_kernelINS0_14default_configENS1_25partition_config_selectorILNS1_17partition_subalgoE5ElNS0_10empty_typeEbEEZZNS1_14partition_implILS5_5ELb0ES3_mN6hipcub16HIPCUB_304000_NS21CountingInputIteratorIllEEPS6_NSA_22TransformInputIteratorIb7NonZeroIaEPalEENS0_5tupleIJPlS6_EEENSJ_IJSD_SD_EEES6_SK_JS6_EEE10hipError_tPvRmT3_T4_T5_T6_T7_T9_mT8_P12ihipStream_tbDpT10_ENKUlT_T0_E_clISt17integral_constantIbLb1EES16_EEDaS11_S12_EUlS11_E_NS1_11comp_targetILNS1_3genE5ELNS1_11target_archE942ELNS1_3gpuE9ELNS1_3repE0EEENS1_30default_config_static_selectorELNS0_4arch9wavefront6targetE1EEEvT1_
                                        ; -- End function
	.set _ZN7rocprim17ROCPRIM_400000_NS6detail17trampoline_kernelINS0_14default_configENS1_25partition_config_selectorILNS1_17partition_subalgoE5ElNS0_10empty_typeEbEEZZNS1_14partition_implILS5_5ELb0ES3_mN6hipcub16HIPCUB_304000_NS21CountingInputIteratorIllEEPS6_NSA_22TransformInputIteratorIb7NonZeroIaEPalEENS0_5tupleIJPlS6_EEENSJ_IJSD_SD_EEES6_SK_JS6_EEE10hipError_tPvRmT3_T4_T5_T6_T7_T9_mT8_P12ihipStream_tbDpT10_ENKUlT_T0_E_clISt17integral_constantIbLb1EES16_EEDaS11_S12_EUlS11_E_NS1_11comp_targetILNS1_3genE5ELNS1_11target_archE942ELNS1_3gpuE9ELNS1_3repE0EEENS1_30default_config_static_selectorELNS0_4arch9wavefront6targetE1EEEvT1_.num_vgpr, 0
	.set _ZN7rocprim17ROCPRIM_400000_NS6detail17trampoline_kernelINS0_14default_configENS1_25partition_config_selectorILNS1_17partition_subalgoE5ElNS0_10empty_typeEbEEZZNS1_14partition_implILS5_5ELb0ES3_mN6hipcub16HIPCUB_304000_NS21CountingInputIteratorIllEEPS6_NSA_22TransformInputIteratorIb7NonZeroIaEPalEENS0_5tupleIJPlS6_EEENSJ_IJSD_SD_EEES6_SK_JS6_EEE10hipError_tPvRmT3_T4_T5_T6_T7_T9_mT8_P12ihipStream_tbDpT10_ENKUlT_T0_E_clISt17integral_constantIbLb1EES16_EEDaS11_S12_EUlS11_E_NS1_11comp_targetILNS1_3genE5ELNS1_11target_archE942ELNS1_3gpuE9ELNS1_3repE0EEENS1_30default_config_static_selectorELNS0_4arch9wavefront6targetE1EEEvT1_.num_agpr, 0
	.set _ZN7rocprim17ROCPRIM_400000_NS6detail17trampoline_kernelINS0_14default_configENS1_25partition_config_selectorILNS1_17partition_subalgoE5ElNS0_10empty_typeEbEEZZNS1_14partition_implILS5_5ELb0ES3_mN6hipcub16HIPCUB_304000_NS21CountingInputIteratorIllEEPS6_NSA_22TransformInputIteratorIb7NonZeroIaEPalEENS0_5tupleIJPlS6_EEENSJ_IJSD_SD_EEES6_SK_JS6_EEE10hipError_tPvRmT3_T4_T5_T6_T7_T9_mT8_P12ihipStream_tbDpT10_ENKUlT_T0_E_clISt17integral_constantIbLb1EES16_EEDaS11_S12_EUlS11_E_NS1_11comp_targetILNS1_3genE5ELNS1_11target_archE942ELNS1_3gpuE9ELNS1_3repE0EEENS1_30default_config_static_selectorELNS0_4arch9wavefront6targetE1EEEvT1_.numbered_sgpr, 0
	.set _ZN7rocprim17ROCPRIM_400000_NS6detail17trampoline_kernelINS0_14default_configENS1_25partition_config_selectorILNS1_17partition_subalgoE5ElNS0_10empty_typeEbEEZZNS1_14partition_implILS5_5ELb0ES3_mN6hipcub16HIPCUB_304000_NS21CountingInputIteratorIllEEPS6_NSA_22TransformInputIteratorIb7NonZeroIaEPalEENS0_5tupleIJPlS6_EEENSJ_IJSD_SD_EEES6_SK_JS6_EEE10hipError_tPvRmT3_T4_T5_T6_T7_T9_mT8_P12ihipStream_tbDpT10_ENKUlT_T0_E_clISt17integral_constantIbLb1EES16_EEDaS11_S12_EUlS11_E_NS1_11comp_targetILNS1_3genE5ELNS1_11target_archE942ELNS1_3gpuE9ELNS1_3repE0EEENS1_30default_config_static_selectorELNS0_4arch9wavefront6targetE1EEEvT1_.num_named_barrier, 0
	.set _ZN7rocprim17ROCPRIM_400000_NS6detail17trampoline_kernelINS0_14default_configENS1_25partition_config_selectorILNS1_17partition_subalgoE5ElNS0_10empty_typeEbEEZZNS1_14partition_implILS5_5ELb0ES3_mN6hipcub16HIPCUB_304000_NS21CountingInputIteratorIllEEPS6_NSA_22TransformInputIteratorIb7NonZeroIaEPalEENS0_5tupleIJPlS6_EEENSJ_IJSD_SD_EEES6_SK_JS6_EEE10hipError_tPvRmT3_T4_T5_T6_T7_T9_mT8_P12ihipStream_tbDpT10_ENKUlT_T0_E_clISt17integral_constantIbLb1EES16_EEDaS11_S12_EUlS11_E_NS1_11comp_targetILNS1_3genE5ELNS1_11target_archE942ELNS1_3gpuE9ELNS1_3repE0EEENS1_30default_config_static_selectorELNS0_4arch9wavefront6targetE1EEEvT1_.private_seg_size, 0
	.set _ZN7rocprim17ROCPRIM_400000_NS6detail17trampoline_kernelINS0_14default_configENS1_25partition_config_selectorILNS1_17partition_subalgoE5ElNS0_10empty_typeEbEEZZNS1_14partition_implILS5_5ELb0ES3_mN6hipcub16HIPCUB_304000_NS21CountingInputIteratorIllEEPS6_NSA_22TransformInputIteratorIb7NonZeroIaEPalEENS0_5tupleIJPlS6_EEENSJ_IJSD_SD_EEES6_SK_JS6_EEE10hipError_tPvRmT3_T4_T5_T6_T7_T9_mT8_P12ihipStream_tbDpT10_ENKUlT_T0_E_clISt17integral_constantIbLb1EES16_EEDaS11_S12_EUlS11_E_NS1_11comp_targetILNS1_3genE5ELNS1_11target_archE942ELNS1_3gpuE9ELNS1_3repE0EEENS1_30default_config_static_selectorELNS0_4arch9wavefront6targetE1EEEvT1_.uses_vcc, 0
	.set _ZN7rocprim17ROCPRIM_400000_NS6detail17trampoline_kernelINS0_14default_configENS1_25partition_config_selectorILNS1_17partition_subalgoE5ElNS0_10empty_typeEbEEZZNS1_14partition_implILS5_5ELb0ES3_mN6hipcub16HIPCUB_304000_NS21CountingInputIteratorIllEEPS6_NSA_22TransformInputIteratorIb7NonZeroIaEPalEENS0_5tupleIJPlS6_EEENSJ_IJSD_SD_EEES6_SK_JS6_EEE10hipError_tPvRmT3_T4_T5_T6_T7_T9_mT8_P12ihipStream_tbDpT10_ENKUlT_T0_E_clISt17integral_constantIbLb1EES16_EEDaS11_S12_EUlS11_E_NS1_11comp_targetILNS1_3genE5ELNS1_11target_archE942ELNS1_3gpuE9ELNS1_3repE0EEENS1_30default_config_static_selectorELNS0_4arch9wavefront6targetE1EEEvT1_.uses_flat_scratch, 0
	.set _ZN7rocprim17ROCPRIM_400000_NS6detail17trampoline_kernelINS0_14default_configENS1_25partition_config_selectorILNS1_17partition_subalgoE5ElNS0_10empty_typeEbEEZZNS1_14partition_implILS5_5ELb0ES3_mN6hipcub16HIPCUB_304000_NS21CountingInputIteratorIllEEPS6_NSA_22TransformInputIteratorIb7NonZeroIaEPalEENS0_5tupleIJPlS6_EEENSJ_IJSD_SD_EEES6_SK_JS6_EEE10hipError_tPvRmT3_T4_T5_T6_T7_T9_mT8_P12ihipStream_tbDpT10_ENKUlT_T0_E_clISt17integral_constantIbLb1EES16_EEDaS11_S12_EUlS11_E_NS1_11comp_targetILNS1_3genE5ELNS1_11target_archE942ELNS1_3gpuE9ELNS1_3repE0EEENS1_30default_config_static_selectorELNS0_4arch9wavefront6targetE1EEEvT1_.has_dyn_sized_stack, 0
	.set _ZN7rocprim17ROCPRIM_400000_NS6detail17trampoline_kernelINS0_14default_configENS1_25partition_config_selectorILNS1_17partition_subalgoE5ElNS0_10empty_typeEbEEZZNS1_14partition_implILS5_5ELb0ES3_mN6hipcub16HIPCUB_304000_NS21CountingInputIteratorIllEEPS6_NSA_22TransformInputIteratorIb7NonZeroIaEPalEENS0_5tupleIJPlS6_EEENSJ_IJSD_SD_EEES6_SK_JS6_EEE10hipError_tPvRmT3_T4_T5_T6_T7_T9_mT8_P12ihipStream_tbDpT10_ENKUlT_T0_E_clISt17integral_constantIbLb1EES16_EEDaS11_S12_EUlS11_E_NS1_11comp_targetILNS1_3genE5ELNS1_11target_archE942ELNS1_3gpuE9ELNS1_3repE0EEENS1_30default_config_static_selectorELNS0_4arch9wavefront6targetE1EEEvT1_.has_recursion, 0
	.set _ZN7rocprim17ROCPRIM_400000_NS6detail17trampoline_kernelINS0_14default_configENS1_25partition_config_selectorILNS1_17partition_subalgoE5ElNS0_10empty_typeEbEEZZNS1_14partition_implILS5_5ELb0ES3_mN6hipcub16HIPCUB_304000_NS21CountingInputIteratorIllEEPS6_NSA_22TransformInputIteratorIb7NonZeroIaEPalEENS0_5tupleIJPlS6_EEENSJ_IJSD_SD_EEES6_SK_JS6_EEE10hipError_tPvRmT3_T4_T5_T6_T7_T9_mT8_P12ihipStream_tbDpT10_ENKUlT_T0_E_clISt17integral_constantIbLb1EES16_EEDaS11_S12_EUlS11_E_NS1_11comp_targetILNS1_3genE5ELNS1_11target_archE942ELNS1_3gpuE9ELNS1_3repE0EEENS1_30default_config_static_selectorELNS0_4arch9wavefront6targetE1EEEvT1_.has_indirect_call, 0
	.section	.AMDGPU.csdata,"",@progbits
; Kernel info:
; codeLenInByte = 0
; TotalNumSgprs: 6
; NumVgprs: 0
; NumAgprs: 0
; TotalNumVgprs: 0
; ScratchSize: 0
; MemoryBound: 0
; FloatMode: 240
; IeeeMode: 1
; LDSByteSize: 0 bytes/workgroup (compile time only)
; SGPRBlocks: 0
; VGPRBlocks: 0
; NumSGPRsForWavesPerEU: 6
; NumVGPRsForWavesPerEU: 1
; AccumOffset: 4
; Occupancy: 8
; WaveLimiterHint : 0
; COMPUTE_PGM_RSRC2:SCRATCH_EN: 0
; COMPUTE_PGM_RSRC2:USER_SGPR: 2
; COMPUTE_PGM_RSRC2:TRAP_HANDLER: 0
; COMPUTE_PGM_RSRC2:TGID_X_EN: 1
; COMPUTE_PGM_RSRC2:TGID_Y_EN: 0
; COMPUTE_PGM_RSRC2:TGID_Z_EN: 0
; COMPUTE_PGM_RSRC2:TIDIG_COMP_CNT: 0
; COMPUTE_PGM_RSRC3_GFX90A:ACCUM_OFFSET: 0
; COMPUTE_PGM_RSRC3_GFX90A:TG_SPLIT: 0
	.section	.text._ZN7rocprim17ROCPRIM_400000_NS6detail17trampoline_kernelINS0_14default_configENS1_25partition_config_selectorILNS1_17partition_subalgoE5ElNS0_10empty_typeEbEEZZNS1_14partition_implILS5_5ELb0ES3_mN6hipcub16HIPCUB_304000_NS21CountingInputIteratorIllEEPS6_NSA_22TransformInputIteratorIb7NonZeroIaEPalEENS0_5tupleIJPlS6_EEENSJ_IJSD_SD_EEES6_SK_JS6_EEE10hipError_tPvRmT3_T4_T5_T6_T7_T9_mT8_P12ihipStream_tbDpT10_ENKUlT_T0_E_clISt17integral_constantIbLb1EES16_EEDaS11_S12_EUlS11_E_NS1_11comp_targetILNS1_3genE4ELNS1_11target_archE910ELNS1_3gpuE8ELNS1_3repE0EEENS1_30default_config_static_selectorELNS0_4arch9wavefront6targetE1EEEvT1_,"axG",@progbits,_ZN7rocprim17ROCPRIM_400000_NS6detail17trampoline_kernelINS0_14default_configENS1_25partition_config_selectorILNS1_17partition_subalgoE5ElNS0_10empty_typeEbEEZZNS1_14partition_implILS5_5ELb0ES3_mN6hipcub16HIPCUB_304000_NS21CountingInputIteratorIllEEPS6_NSA_22TransformInputIteratorIb7NonZeroIaEPalEENS0_5tupleIJPlS6_EEENSJ_IJSD_SD_EEES6_SK_JS6_EEE10hipError_tPvRmT3_T4_T5_T6_T7_T9_mT8_P12ihipStream_tbDpT10_ENKUlT_T0_E_clISt17integral_constantIbLb1EES16_EEDaS11_S12_EUlS11_E_NS1_11comp_targetILNS1_3genE4ELNS1_11target_archE910ELNS1_3gpuE8ELNS1_3repE0EEENS1_30default_config_static_selectorELNS0_4arch9wavefront6targetE1EEEvT1_,comdat
	.protected	_ZN7rocprim17ROCPRIM_400000_NS6detail17trampoline_kernelINS0_14default_configENS1_25partition_config_selectorILNS1_17partition_subalgoE5ElNS0_10empty_typeEbEEZZNS1_14partition_implILS5_5ELb0ES3_mN6hipcub16HIPCUB_304000_NS21CountingInputIteratorIllEEPS6_NSA_22TransformInputIteratorIb7NonZeroIaEPalEENS0_5tupleIJPlS6_EEENSJ_IJSD_SD_EEES6_SK_JS6_EEE10hipError_tPvRmT3_T4_T5_T6_T7_T9_mT8_P12ihipStream_tbDpT10_ENKUlT_T0_E_clISt17integral_constantIbLb1EES16_EEDaS11_S12_EUlS11_E_NS1_11comp_targetILNS1_3genE4ELNS1_11target_archE910ELNS1_3gpuE8ELNS1_3repE0EEENS1_30default_config_static_selectorELNS0_4arch9wavefront6targetE1EEEvT1_ ; -- Begin function _ZN7rocprim17ROCPRIM_400000_NS6detail17trampoline_kernelINS0_14default_configENS1_25partition_config_selectorILNS1_17partition_subalgoE5ElNS0_10empty_typeEbEEZZNS1_14partition_implILS5_5ELb0ES3_mN6hipcub16HIPCUB_304000_NS21CountingInputIteratorIllEEPS6_NSA_22TransformInputIteratorIb7NonZeroIaEPalEENS0_5tupleIJPlS6_EEENSJ_IJSD_SD_EEES6_SK_JS6_EEE10hipError_tPvRmT3_T4_T5_T6_T7_T9_mT8_P12ihipStream_tbDpT10_ENKUlT_T0_E_clISt17integral_constantIbLb1EES16_EEDaS11_S12_EUlS11_E_NS1_11comp_targetILNS1_3genE4ELNS1_11target_archE910ELNS1_3gpuE8ELNS1_3repE0EEENS1_30default_config_static_selectorELNS0_4arch9wavefront6targetE1EEEvT1_
	.globl	_ZN7rocprim17ROCPRIM_400000_NS6detail17trampoline_kernelINS0_14default_configENS1_25partition_config_selectorILNS1_17partition_subalgoE5ElNS0_10empty_typeEbEEZZNS1_14partition_implILS5_5ELb0ES3_mN6hipcub16HIPCUB_304000_NS21CountingInputIteratorIllEEPS6_NSA_22TransformInputIteratorIb7NonZeroIaEPalEENS0_5tupleIJPlS6_EEENSJ_IJSD_SD_EEES6_SK_JS6_EEE10hipError_tPvRmT3_T4_T5_T6_T7_T9_mT8_P12ihipStream_tbDpT10_ENKUlT_T0_E_clISt17integral_constantIbLb1EES16_EEDaS11_S12_EUlS11_E_NS1_11comp_targetILNS1_3genE4ELNS1_11target_archE910ELNS1_3gpuE8ELNS1_3repE0EEENS1_30default_config_static_selectorELNS0_4arch9wavefront6targetE1EEEvT1_
	.p2align	8
	.type	_ZN7rocprim17ROCPRIM_400000_NS6detail17trampoline_kernelINS0_14default_configENS1_25partition_config_selectorILNS1_17partition_subalgoE5ElNS0_10empty_typeEbEEZZNS1_14partition_implILS5_5ELb0ES3_mN6hipcub16HIPCUB_304000_NS21CountingInputIteratorIllEEPS6_NSA_22TransformInputIteratorIb7NonZeroIaEPalEENS0_5tupleIJPlS6_EEENSJ_IJSD_SD_EEES6_SK_JS6_EEE10hipError_tPvRmT3_T4_T5_T6_T7_T9_mT8_P12ihipStream_tbDpT10_ENKUlT_T0_E_clISt17integral_constantIbLb1EES16_EEDaS11_S12_EUlS11_E_NS1_11comp_targetILNS1_3genE4ELNS1_11target_archE910ELNS1_3gpuE8ELNS1_3repE0EEENS1_30default_config_static_selectorELNS0_4arch9wavefront6targetE1EEEvT1_,@function
_ZN7rocprim17ROCPRIM_400000_NS6detail17trampoline_kernelINS0_14default_configENS1_25partition_config_selectorILNS1_17partition_subalgoE5ElNS0_10empty_typeEbEEZZNS1_14partition_implILS5_5ELb0ES3_mN6hipcub16HIPCUB_304000_NS21CountingInputIteratorIllEEPS6_NSA_22TransformInputIteratorIb7NonZeroIaEPalEENS0_5tupleIJPlS6_EEENSJ_IJSD_SD_EEES6_SK_JS6_EEE10hipError_tPvRmT3_T4_T5_T6_T7_T9_mT8_P12ihipStream_tbDpT10_ENKUlT_T0_E_clISt17integral_constantIbLb1EES16_EEDaS11_S12_EUlS11_E_NS1_11comp_targetILNS1_3genE4ELNS1_11target_archE910ELNS1_3gpuE8ELNS1_3repE0EEENS1_30default_config_static_selectorELNS0_4arch9wavefront6targetE1EEEvT1_: ; @_ZN7rocprim17ROCPRIM_400000_NS6detail17trampoline_kernelINS0_14default_configENS1_25partition_config_selectorILNS1_17partition_subalgoE5ElNS0_10empty_typeEbEEZZNS1_14partition_implILS5_5ELb0ES3_mN6hipcub16HIPCUB_304000_NS21CountingInputIteratorIllEEPS6_NSA_22TransformInputIteratorIb7NonZeroIaEPalEENS0_5tupleIJPlS6_EEENSJ_IJSD_SD_EEES6_SK_JS6_EEE10hipError_tPvRmT3_T4_T5_T6_T7_T9_mT8_P12ihipStream_tbDpT10_ENKUlT_T0_E_clISt17integral_constantIbLb1EES16_EEDaS11_S12_EUlS11_E_NS1_11comp_targetILNS1_3genE4ELNS1_11target_archE910ELNS1_3gpuE8ELNS1_3repE0EEENS1_30default_config_static_selectorELNS0_4arch9wavefront6targetE1EEEvT1_
; %bb.0:
	.section	.rodata,"a",@progbits
	.p2align	6, 0x0
	.amdhsa_kernel _ZN7rocprim17ROCPRIM_400000_NS6detail17trampoline_kernelINS0_14default_configENS1_25partition_config_selectorILNS1_17partition_subalgoE5ElNS0_10empty_typeEbEEZZNS1_14partition_implILS5_5ELb0ES3_mN6hipcub16HIPCUB_304000_NS21CountingInputIteratorIllEEPS6_NSA_22TransformInputIteratorIb7NonZeroIaEPalEENS0_5tupleIJPlS6_EEENSJ_IJSD_SD_EEES6_SK_JS6_EEE10hipError_tPvRmT3_T4_T5_T6_T7_T9_mT8_P12ihipStream_tbDpT10_ENKUlT_T0_E_clISt17integral_constantIbLb1EES16_EEDaS11_S12_EUlS11_E_NS1_11comp_targetILNS1_3genE4ELNS1_11target_archE910ELNS1_3gpuE8ELNS1_3repE0EEENS1_30default_config_static_selectorELNS0_4arch9wavefront6targetE1EEEvT1_
		.amdhsa_group_segment_fixed_size 0
		.amdhsa_private_segment_fixed_size 0
		.amdhsa_kernarg_size 136
		.amdhsa_user_sgpr_count 2
		.amdhsa_user_sgpr_dispatch_ptr 0
		.amdhsa_user_sgpr_queue_ptr 0
		.amdhsa_user_sgpr_kernarg_segment_ptr 1
		.amdhsa_user_sgpr_dispatch_id 0
		.amdhsa_user_sgpr_kernarg_preload_length 0
		.amdhsa_user_sgpr_kernarg_preload_offset 0
		.amdhsa_user_sgpr_private_segment_size 0
		.amdhsa_uses_dynamic_stack 0
		.amdhsa_enable_private_segment 0
		.amdhsa_system_sgpr_workgroup_id_x 1
		.amdhsa_system_sgpr_workgroup_id_y 0
		.amdhsa_system_sgpr_workgroup_id_z 0
		.amdhsa_system_sgpr_workgroup_info 0
		.amdhsa_system_vgpr_workitem_id 0
		.amdhsa_next_free_vgpr 1
		.amdhsa_next_free_sgpr 0
		.amdhsa_accum_offset 4
		.amdhsa_reserve_vcc 0
		.amdhsa_float_round_mode_32 0
		.amdhsa_float_round_mode_16_64 0
		.amdhsa_float_denorm_mode_32 3
		.amdhsa_float_denorm_mode_16_64 3
		.amdhsa_dx10_clamp 1
		.amdhsa_ieee_mode 1
		.amdhsa_fp16_overflow 0
		.amdhsa_tg_split 0
		.amdhsa_exception_fp_ieee_invalid_op 0
		.amdhsa_exception_fp_denorm_src 0
		.amdhsa_exception_fp_ieee_div_zero 0
		.amdhsa_exception_fp_ieee_overflow 0
		.amdhsa_exception_fp_ieee_underflow 0
		.amdhsa_exception_fp_ieee_inexact 0
		.amdhsa_exception_int_div_zero 0
	.end_amdhsa_kernel
	.section	.text._ZN7rocprim17ROCPRIM_400000_NS6detail17trampoline_kernelINS0_14default_configENS1_25partition_config_selectorILNS1_17partition_subalgoE5ElNS0_10empty_typeEbEEZZNS1_14partition_implILS5_5ELb0ES3_mN6hipcub16HIPCUB_304000_NS21CountingInputIteratorIllEEPS6_NSA_22TransformInputIteratorIb7NonZeroIaEPalEENS0_5tupleIJPlS6_EEENSJ_IJSD_SD_EEES6_SK_JS6_EEE10hipError_tPvRmT3_T4_T5_T6_T7_T9_mT8_P12ihipStream_tbDpT10_ENKUlT_T0_E_clISt17integral_constantIbLb1EES16_EEDaS11_S12_EUlS11_E_NS1_11comp_targetILNS1_3genE4ELNS1_11target_archE910ELNS1_3gpuE8ELNS1_3repE0EEENS1_30default_config_static_selectorELNS0_4arch9wavefront6targetE1EEEvT1_,"axG",@progbits,_ZN7rocprim17ROCPRIM_400000_NS6detail17trampoline_kernelINS0_14default_configENS1_25partition_config_selectorILNS1_17partition_subalgoE5ElNS0_10empty_typeEbEEZZNS1_14partition_implILS5_5ELb0ES3_mN6hipcub16HIPCUB_304000_NS21CountingInputIteratorIllEEPS6_NSA_22TransformInputIteratorIb7NonZeroIaEPalEENS0_5tupleIJPlS6_EEENSJ_IJSD_SD_EEES6_SK_JS6_EEE10hipError_tPvRmT3_T4_T5_T6_T7_T9_mT8_P12ihipStream_tbDpT10_ENKUlT_T0_E_clISt17integral_constantIbLb1EES16_EEDaS11_S12_EUlS11_E_NS1_11comp_targetILNS1_3genE4ELNS1_11target_archE910ELNS1_3gpuE8ELNS1_3repE0EEENS1_30default_config_static_selectorELNS0_4arch9wavefront6targetE1EEEvT1_,comdat
.Lfunc_end56:
	.size	_ZN7rocprim17ROCPRIM_400000_NS6detail17trampoline_kernelINS0_14default_configENS1_25partition_config_selectorILNS1_17partition_subalgoE5ElNS0_10empty_typeEbEEZZNS1_14partition_implILS5_5ELb0ES3_mN6hipcub16HIPCUB_304000_NS21CountingInputIteratorIllEEPS6_NSA_22TransformInputIteratorIb7NonZeroIaEPalEENS0_5tupleIJPlS6_EEENSJ_IJSD_SD_EEES6_SK_JS6_EEE10hipError_tPvRmT3_T4_T5_T6_T7_T9_mT8_P12ihipStream_tbDpT10_ENKUlT_T0_E_clISt17integral_constantIbLb1EES16_EEDaS11_S12_EUlS11_E_NS1_11comp_targetILNS1_3genE4ELNS1_11target_archE910ELNS1_3gpuE8ELNS1_3repE0EEENS1_30default_config_static_selectorELNS0_4arch9wavefront6targetE1EEEvT1_, .Lfunc_end56-_ZN7rocprim17ROCPRIM_400000_NS6detail17trampoline_kernelINS0_14default_configENS1_25partition_config_selectorILNS1_17partition_subalgoE5ElNS0_10empty_typeEbEEZZNS1_14partition_implILS5_5ELb0ES3_mN6hipcub16HIPCUB_304000_NS21CountingInputIteratorIllEEPS6_NSA_22TransformInputIteratorIb7NonZeroIaEPalEENS0_5tupleIJPlS6_EEENSJ_IJSD_SD_EEES6_SK_JS6_EEE10hipError_tPvRmT3_T4_T5_T6_T7_T9_mT8_P12ihipStream_tbDpT10_ENKUlT_T0_E_clISt17integral_constantIbLb1EES16_EEDaS11_S12_EUlS11_E_NS1_11comp_targetILNS1_3genE4ELNS1_11target_archE910ELNS1_3gpuE8ELNS1_3repE0EEENS1_30default_config_static_selectorELNS0_4arch9wavefront6targetE1EEEvT1_
                                        ; -- End function
	.set _ZN7rocprim17ROCPRIM_400000_NS6detail17trampoline_kernelINS0_14default_configENS1_25partition_config_selectorILNS1_17partition_subalgoE5ElNS0_10empty_typeEbEEZZNS1_14partition_implILS5_5ELb0ES3_mN6hipcub16HIPCUB_304000_NS21CountingInputIteratorIllEEPS6_NSA_22TransformInputIteratorIb7NonZeroIaEPalEENS0_5tupleIJPlS6_EEENSJ_IJSD_SD_EEES6_SK_JS6_EEE10hipError_tPvRmT3_T4_T5_T6_T7_T9_mT8_P12ihipStream_tbDpT10_ENKUlT_T0_E_clISt17integral_constantIbLb1EES16_EEDaS11_S12_EUlS11_E_NS1_11comp_targetILNS1_3genE4ELNS1_11target_archE910ELNS1_3gpuE8ELNS1_3repE0EEENS1_30default_config_static_selectorELNS0_4arch9wavefront6targetE1EEEvT1_.num_vgpr, 0
	.set _ZN7rocprim17ROCPRIM_400000_NS6detail17trampoline_kernelINS0_14default_configENS1_25partition_config_selectorILNS1_17partition_subalgoE5ElNS0_10empty_typeEbEEZZNS1_14partition_implILS5_5ELb0ES3_mN6hipcub16HIPCUB_304000_NS21CountingInputIteratorIllEEPS6_NSA_22TransformInputIteratorIb7NonZeroIaEPalEENS0_5tupleIJPlS6_EEENSJ_IJSD_SD_EEES6_SK_JS6_EEE10hipError_tPvRmT3_T4_T5_T6_T7_T9_mT8_P12ihipStream_tbDpT10_ENKUlT_T0_E_clISt17integral_constantIbLb1EES16_EEDaS11_S12_EUlS11_E_NS1_11comp_targetILNS1_3genE4ELNS1_11target_archE910ELNS1_3gpuE8ELNS1_3repE0EEENS1_30default_config_static_selectorELNS0_4arch9wavefront6targetE1EEEvT1_.num_agpr, 0
	.set _ZN7rocprim17ROCPRIM_400000_NS6detail17trampoline_kernelINS0_14default_configENS1_25partition_config_selectorILNS1_17partition_subalgoE5ElNS0_10empty_typeEbEEZZNS1_14partition_implILS5_5ELb0ES3_mN6hipcub16HIPCUB_304000_NS21CountingInputIteratorIllEEPS6_NSA_22TransformInputIteratorIb7NonZeroIaEPalEENS0_5tupleIJPlS6_EEENSJ_IJSD_SD_EEES6_SK_JS6_EEE10hipError_tPvRmT3_T4_T5_T6_T7_T9_mT8_P12ihipStream_tbDpT10_ENKUlT_T0_E_clISt17integral_constantIbLb1EES16_EEDaS11_S12_EUlS11_E_NS1_11comp_targetILNS1_3genE4ELNS1_11target_archE910ELNS1_3gpuE8ELNS1_3repE0EEENS1_30default_config_static_selectorELNS0_4arch9wavefront6targetE1EEEvT1_.numbered_sgpr, 0
	.set _ZN7rocprim17ROCPRIM_400000_NS6detail17trampoline_kernelINS0_14default_configENS1_25partition_config_selectorILNS1_17partition_subalgoE5ElNS0_10empty_typeEbEEZZNS1_14partition_implILS5_5ELb0ES3_mN6hipcub16HIPCUB_304000_NS21CountingInputIteratorIllEEPS6_NSA_22TransformInputIteratorIb7NonZeroIaEPalEENS0_5tupleIJPlS6_EEENSJ_IJSD_SD_EEES6_SK_JS6_EEE10hipError_tPvRmT3_T4_T5_T6_T7_T9_mT8_P12ihipStream_tbDpT10_ENKUlT_T0_E_clISt17integral_constantIbLb1EES16_EEDaS11_S12_EUlS11_E_NS1_11comp_targetILNS1_3genE4ELNS1_11target_archE910ELNS1_3gpuE8ELNS1_3repE0EEENS1_30default_config_static_selectorELNS0_4arch9wavefront6targetE1EEEvT1_.num_named_barrier, 0
	.set _ZN7rocprim17ROCPRIM_400000_NS6detail17trampoline_kernelINS0_14default_configENS1_25partition_config_selectorILNS1_17partition_subalgoE5ElNS0_10empty_typeEbEEZZNS1_14partition_implILS5_5ELb0ES3_mN6hipcub16HIPCUB_304000_NS21CountingInputIteratorIllEEPS6_NSA_22TransformInputIteratorIb7NonZeroIaEPalEENS0_5tupleIJPlS6_EEENSJ_IJSD_SD_EEES6_SK_JS6_EEE10hipError_tPvRmT3_T4_T5_T6_T7_T9_mT8_P12ihipStream_tbDpT10_ENKUlT_T0_E_clISt17integral_constantIbLb1EES16_EEDaS11_S12_EUlS11_E_NS1_11comp_targetILNS1_3genE4ELNS1_11target_archE910ELNS1_3gpuE8ELNS1_3repE0EEENS1_30default_config_static_selectorELNS0_4arch9wavefront6targetE1EEEvT1_.private_seg_size, 0
	.set _ZN7rocprim17ROCPRIM_400000_NS6detail17trampoline_kernelINS0_14default_configENS1_25partition_config_selectorILNS1_17partition_subalgoE5ElNS0_10empty_typeEbEEZZNS1_14partition_implILS5_5ELb0ES3_mN6hipcub16HIPCUB_304000_NS21CountingInputIteratorIllEEPS6_NSA_22TransformInputIteratorIb7NonZeroIaEPalEENS0_5tupleIJPlS6_EEENSJ_IJSD_SD_EEES6_SK_JS6_EEE10hipError_tPvRmT3_T4_T5_T6_T7_T9_mT8_P12ihipStream_tbDpT10_ENKUlT_T0_E_clISt17integral_constantIbLb1EES16_EEDaS11_S12_EUlS11_E_NS1_11comp_targetILNS1_3genE4ELNS1_11target_archE910ELNS1_3gpuE8ELNS1_3repE0EEENS1_30default_config_static_selectorELNS0_4arch9wavefront6targetE1EEEvT1_.uses_vcc, 0
	.set _ZN7rocprim17ROCPRIM_400000_NS6detail17trampoline_kernelINS0_14default_configENS1_25partition_config_selectorILNS1_17partition_subalgoE5ElNS0_10empty_typeEbEEZZNS1_14partition_implILS5_5ELb0ES3_mN6hipcub16HIPCUB_304000_NS21CountingInputIteratorIllEEPS6_NSA_22TransformInputIteratorIb7NonZeroIaEPalEENS0_5tupleIJPlS6_EEENSJ_IJSD_SD_EEES6_SK_JS6_EEE10hipError_tPvRmT3_T4_T5_T6_T7_T9_mT8_P12ihipStream_tbDpT10_ENKUlT_T0_E_clISt17integral_constantIbLb1EES16_EEDaS11_S12_EUlS11_E_NS1_11comp_targetILNS1_3genE4ELNS1_11target_archE910ELNS1_3gpuE8ELNS1_3repE0EEENS1_30default_config_static_selectorELNS0_4arch9wavefront6targetE1EEEvT1_.uses_flat_scratch, 0
	.set _ZN7rocprim17ROCPRIM_400000_NS6detail17trampoline_kernelINS0_14default_configENS1_25partition_config_selectorILNS1_17partition_subalgoE5ElNS0_10empty_typeEbEEZZNS1_14partition_implILS5_5ELb0ES3_mN6hipcub16HIPCUB_304000_NS21CountingInputIteratorIllEEPS6_NSA_22TransformInputIteratorIb7NonZeroIaEPalEENS0_5tupleIJPlS6_EEENSJ_IJSD_SD_EEES6_SK_JS6_EEE10hipError_tPvRmT3_T4_T5_T6_T7_T9_mT8_P12ihipStream_tbDpT10_ENKUlT_T0_E_clISt17integral_constantIbLb1EES16_EEDaS11_S12_EUlS11_E_NS1_11comp_targetILNS1_3genE4ELNS1_11target_archE910ELNS1_3gpuE8ELNS1_3repE0EEENS1_30default_config_static_selectorELNS0_4arch9wavefront6targetE1EEEvT1_.has_dyn_sized_stack, 0
	.set _ZN7rocprim17ROCPRIM_400000_NS6detail17trampoline_kernelINS0_14default_configENS1_25partition_config_selectorILNS1_17partition_subalgoE5ElNS0_10empty_typeEbEEZZNS1_14partition_implILS5_5ELb0ES3_mN6hipcub16HIPCUB_304000_NS21CountingInputIteratorIllEEPS6_NSA_22TransformInputIteratorIb7NonZeroIaEPalEENS0_5tupleIJPlS6_EEENSJ_IJSD_SD_EEES6_SK_JS6_EEE10hipError_tPvRmT3_T4_T5_T6_T7_T9_mT8_P12ihipStream_tbDpT10_ENKUlT_T0_E_clISt17integral_constantIbLb1EES16_EEDaS11_S12_EUlS11_E_NS1_11comp_targetILNS1_3genE4ELNS1_11target_archE910ELNS1_3gpuE8ELNS1_3repE0EEENS1_30default_config_static_selectorELNS0_4arch9wavefront6targetE1EEEvT1_.has_recursion, 0
	.set _ZN7rocprim17ROCPRIM_400000_NS6detail17trampoline_kernelINS0_14default_configENS1_25partition_config_selectorILNS1_17partition_subalgoE5ElNS0_10empty_typeEbEEZZNS1_14partition_implILS5_5ELb0ES3_mN6hipcub16HIPCUB_304000_NS21CountingInputIteratorIllEEPS6_NSA_22TransformInputIteratorIb7NonZeroIaEPalEENS0_5tupleIJPlS6_EEENSJ_IJSD_SD_EEES6_SK_JS6_EEE10hipError_tPvRmT3_T4_T5_T6_T7_T9_mT8_P12ihipStream_tbDpT10_ENKUlT_T0_E_clISt17integral_constantIbLb1EES16_EEDaS11_S12_EUlS11_E_NS1_11comp_targetILNS1_3genE4ELNS1_11target_archE910ELNS1_3gpuE8ELNS1_3repE0EEENS1_30default_config_static_selectorELNS0_4arch9wavefront6targetE1EEEvT1_.has_indirect_call, 0
	.section	.AMDGPU.csdata,"",@progbits
; Kernel info:
; codeLenInByte = 0
; TotalNumSgprs: 6
; NumVgprs: 0
; NumAgprs: 0
; TotalNumVgprs: 0
; ScratchSize: 0
; MemoryBound: 0
; FloatMode: 240
; IeeeMode: 1
; LDSByteSize: 0 bytes/workgroup (compile time only)
; SGPRBlocks: 0
; VGPRBlocks: 0
; NumSGPRsForWavesPerEU: 6
; NumVGPRsForWavesPerEU: 1
; AccumOffset: 4
; Occupancy: 8
; WaveLimiterHint : 0
; COMPUTE_PGM_RSRC2:SCRATCH_EN: 0
; COMPUTE_PGM_RSRC2:USER_SGPR: 2
; COMPUTE_PGM_RSRC2:TRAP_HANDLER: 0
; COMPUTE_PGM_RSRC2:TGID_X_EN: 1
; COMPUTE_PGM_RSRC2:TGID_Y_EN: 0
; COMPUTE_PGM_RSRC2:TGID_Z_EN: 0
; COMPUTE_PGM_RSRC2:TIDIG_COMP_CNT: 0
; COMPUTE_PGM_RSRC3_GFX90A:ACCUM_OFFSET: 0
; COMPUTE_PGM_RSRC3_GFX90A:TG_SPLIT: 0
	.section	.text._ZN7rocprim17ROCPRIM_400000_NS6detail17trampoline_kernelINS0_14default_configENS1_25partition_config_selectorILNS1_17partition_subalgoE5ElNS0_10empty_typeEbEEZZNS1_14partition_implILS5_5ELb0ES3_mN6hipcub16HIPCUB_304000_NS21CountingInputIteratorIllEEPS6_NSA_22TransformInputIteratorIb7NonZeroIaEPalEENS0_5tupleIJPlS6_EEENSJ_IJSD_SD_EEES6_SK_JS6_EEE10hipError_tPvRmT3_T4_T5_T6_T7_T9_mT8_P12ihipStream_tbDpT10_ENKUlT_T0_E_clISt17integral_constantIbLb1EES16_EEDaS11_S12_EUlS11_E_NS1_11comp_targetILNS1_3genE3ELNS1_11target_archE908ELNS1_3gpuE7ELNS1_3repE0EEENS1_30default_config_static_selectorELNS0_4arch9wavefront6targetE1EEEvT1_,"axG",@progbits,_ZN7rocprim17ROCPRIM_400000_NS6detail17trampoline_kernelINS0_14default_configENS1_25partition_config_selectorILNS1_17partition_subalgoE5ElNS0_10empty_typeEbEEZZNS1_14partition_implILS5_5ELb0ES3_mN6hipcub16HIPCUB_304000_NS21CountingInputIteratorIllEEPS6_NSA_22TransformInputIteratorIb7NonZeroIaEPalEENS0_5tupleIJPlS6_EEENSJ_IJSD_SD_EEES6_SK_JS6_EEE10hipError_tPvRmT3_T4_T5_T6_T7_T9_mT8_P12ihipStream_tbDpT10_ENKUlT_T0_E_clISt17integral_constantIbLb1EES16_EEDaS11_S12_EUlS11_E_NS1_11comp_targetILNS1_3genE3ELNS1_11target_archE908ELNS1_3gpuE7ELNS1_3repE0EEENS1_30default_config_static_selectorELNS0_4arch9wavefront6targetE1EEEvT1_,comdat
	.protected	_ZN7rocprim17ROCPRIM_400000_NS6detail17trampoline_kernelINS0_14default_configENS1_25partition_config_selectorILNS1_17partition_subalgoE5ElNS0_10empty_typeEbEEZZNS1_14partition_implILS5_5ELb0ES3_mN6hipcub16HIPCUB_304000_NS21CountingInputIteratorIllEEPS6_NSA_22TransformInputIteratorIb7NonZeroIaEPalEENS0_5tupleIJPlS6_EEENSJ_IJSD_SD_EEES6_SK_JS6_EEE10hipError_tPvRmT3_T4_T5_T6_T7_T9_mT8_P12ihipStream_tbDpT10_ENKUlT_T0_E_clISt17integral_constantIbLb1EES16_EEDaS11_S12_EUlS11_E_NS1_11comp_targetILNS1_3genE3ELNS1_11target_archE908ELNS1_3gpuE7ELNS1_3repE0EEENS1_30default_config_static_selectorELNS0_4arch9wavefront6targetE1EEEvT1_ ; -- Begin function _ZN7rocprim17ROCPRIM_400000_NS6detail17trampoline_kernelINS0_14default_configENS1_25partition_config_selectorILNS1_17partition_subalgoE5ElNS0_10empty_typeEbEEZZNS1_14partition_implILS5_5ELb0ES3_mN6hipcub16HIPCUB_304000_NS21CountingInputIteratorIllEEPS6_NSA_22TransformInputIteratorIb7NonZeroIaEPalEENS0_5tupleIJPlS6_EEENSJ_IJSD_SD_EEES6_SK_JS6_EEE10hipError_tPvRmT3_T4_T5_T6_T7_T9_mT8_P12ihipStream_tbDpT10_ENKUlT_T0_E_clISt17integral_constantIbLb1EES16_EEDaS11_S12_EUlS11_E_NS1_11comp_targetILNS1_3genE3ELNS1_11target_archE908ELNS1_3gpuE7ELNS1_3repE0EEENS1_30default_config_static_selectorELNS0_4arch9wavefront6targetE1EEEvT1_
	.globl	_ZN7rocprim17ROCPRIM_400000_NS6detail17trampoline_kernelINS0_14default_configENS1_25partition_config_selectorILNS1_17partition_subalgoE5ElNS0_10empty_typeEbEEZZNS1_14partition_implILS5_5ELb0ES3_mN6hipcub16HIPCUB_304000_NS21CountingInputIteratorIllEEPS6_NSA_22TransformInputIteratorIb7NonZeroIaEPalEENS0_5tupleIJPlS6_EEENSJ_IJSD_SD_EEES6_SK_JS6_EEE10hipError_tPvRmT3_T4_T5_T6_T7_T9_mT8_P12ihipStream_tbDpT10_ENKUlT_T0_E_clISt17integral_constantIbLb1EES16_EEDaS11_S12_EUlS11_E_NS1_11comp_targetILNS1_3genE3ELNS1_11target_archE908ELNS1_3gpuE7ELNS1_3repE0EEENS1_30default_config_static_selectorELNS0_4arch9wavefront6targetE1EEEvT1_
	.p2align	8
	.type	_ZN7rocprim17ROCPRIM_400000_NS6detail17trampoline_kernelINS0_14default_configENS1_25partition_config_selectorILNS1_17partition_subalgoE5ElNS0_10empty_typeEbEEZZNS1_14partition_implILS5_5ELb0ES3_mN6hipcub16HIPCUB_304000_NS21CountingInputIteratorIllEEPS6_NSA_22TransformInputIteratorIb7NonZeroIaEPalEENS0_5tupleIJPlS6_EEENSJ_IJSD_SD_EEES6_SK_JS6_EEE10hipError_tPvRmT3_T4_T5_T6_T7_T9_mT8_P12ihipStream_tbDpT10_ENKUlT_T0_E_clISt17integral_constantIbLb1EES16_EEDaS11_S12_EUlS11_E_NS1_11comp_targetILNS1_3genE3ELNS1_11target_archE908ELNS1_3gpuE7ELNS1_3repE0EEENS1_30default_config_static_selectorELNS0_4arch9wavefront6targetE1EEEvT1_,@function
_ZN7rocprim17ROCPRIM_400000_NS6detail17trampoline_kernelINS0_14default_configENS1_25partition_config_selectorILNS1_17partition_subalgoE5ElNS0_10empty_typeEbEEZZNS1_14partition_implILS5_5ELb0ES3_mN6hipcub16HIPCUB_304000_NS21CountingInputIteratorIllEEPS6_NSA_22TransformInputIteratorIb7NonZeroIaEPalEENS0_5tupleIJPlS6_EEENSJ_IJSD_SD_EEES6_SK_JS6_EEE10hipError_tPvRmT3_T4_T5_T6_T7_T9_mT8_P12ihipStream_tbDpT10_ENKUlT_T0_E_clISt17integral_constantIbLb1EES16_EEDaS11_S12_EUlS11_E_NS1_11comp_targetILNS1_3genE3ELNS1_11target_archE908ELNS1_3gpuE7ELNS1_3repE0EEENS1_30default_config_static_selectorELNS0_4arch9wavefront6targetE1EEEvT1_: ; @_ZN7rocprim17ROCPRIM_400000_NS6detail17trampoline_kernelINS0_14default_configENS1_25partition_config_selectorILNS1_17partition_subalgoE5ElNS0_10empty_typeEbEEZZNS1_14partition_implILS5_5ELb0ES3_mN6hipcub16HIPCUB_304000_NS21CountingInputIteratorIllEEPS6_NSA_22TransformInputIteratorIb7NonZeroIaEPalEENS0_5tupleIJPlS6_EEENSJ_IJSD_SD_EEES6_SK_JS6_EEE10hipError_tPvRmT3_T4_T5_T6_T7_T9_mT8_P12ihipStream_tbDpT10_ENKUlT_T0_E_clISt17integral_constantIbLb1EES16_EEDaS11_S12_EUlS11_E_NS1_11comp_targetILNS1_3genE3ELNS1_11target_archE908ELNS1_3gpuE7ELNS1_3repE0EEENS1_30default_config_static_selectorELNS0_4arch9wavefront6targetE1EEEvT1_
; %bb.0:
	.section	.rodata,"a",@progbits
	.p2align	6, 0x0
	.amdhsa_kernel _ZN7rocprim17ROCPRIM_400000_NS6detail17trampoline_kernelINS0_14default_configENS1_25partition_config_selectorILNS1_17partition_subalgoE5ElNS0_10empty_typeEbEEZZNS1_14partition_implILS5_5ELb0ES3_mN6hipcub16HIPCUB_304000_NS21CountingInputIteratorIllEEPS6_NSA_22TransformInputIteratorIb7NonZeroIaEPalEENS0_5tupleIJPlS6_EEENSJ_IJSD_SD_EEES6_SK_JS6_EEE10hipError_tPvRmT3_T4_T5_T6_T7_T9_mT8_P12ihipStream_tbDpT10_ENKUlT_T0_E_clISt17integral_constantIbLb1EES16_EEDaS11_S12_EUlS11_E_NS1_11comp_targetILNS1_3genE3ELNS1_11target_archE908ELNS1_3gpuE7ELNS1_3repE0EEENS1_30default_config_static_selectorELNS0_4arch9wavefront6targetE1EEEvT1_
		.amdhsa_group_segment_fixed_size 0
		.amdhsa_private_segment_fixed_size 0
		.amdhsa_kernarg_size 136
		.amdhsa_user_sgpr_count 2
		.amdhsa_user_sgpr_dispatch_ptr 0
		.amdhsa_user_sgpr_queue_ptr 0
		.amdhsa_user_sgpr_kernarg_segment_ptr 1
		.amdhsa_user_sgpr_dispatch_id 0
		.amdhsa_user_sgpr_kernarg_preload_length 0
		.amdhsa_user_sgpr_kernarg_preload_offset 0
		.amdhsa_user_sgpr_private_segment_size 0
		.amdhsa_uses_dynamic_stack 0
		.amdhsa_enable_private_segment 0
		.amdhsa_system_sgpr_workgroup_id_x 1
		.amdhsa_system_sgpr_workgroup_id_y 0
		.amdhsa_system_sgpr_workgroup_id_z 0
		.amdhsa_system_sgpr_workgroup_info 0
		.amdhsa_system_vgpr_workitem_id 0
		.amdhsa_next_free_vgpr 1
		.amdhsa_next_free_sgpr 0
		.amdhsa_accum_offset 4
		.amdhsa_reserve_vcc 0
		.amdhsa_float_round_mode_32 0
		.amdhsa_float_round_mode_16_64 0
		.amdhsa_float_denorm_mode_32 3
		.amdhsa_float_denorm_mode_16_64 3
		.amdhsa_dx10_clamp 1
		.amdhsa_ieee_mode 1
		.amdhsa_fp16_overflow 0
		.amdhsa_tg_split 0
		.amdhsa_exception_fp_ieee_invalid_op 0
		.amdhsa_exception_fp_denorm_src 0
		.amdhsa_exception_fp_ieee_div_zero 0
		.amdhsa_exception_fp_ieee_overflow 0
		.amdhsa_exception_fp_ieee_underflow 0
		.amdhsa_exception_fp_ieee_inexact 0
		.amdhsa_exception_int_div_zero 0
	.end_amdhsa_kernel
	.section	.text._ZN7rocprim17ROCPRIM_400000_NS6detail17trampoline_kernelINS0_14default_configENS1_25partition_config_selectorILNS1_17partition_subalgoE5ElNS0_10empty_typeEbEEZZNS1_14partition_implILS5_5ELb0ES3_mN6hipcub16HIPCUB_304000_NS21CountingInputIteratorIllEEPS6_NSA_22TransformInputIteratorIb7NonZeroIaEPalEENS0_5tupleIJPlS6_EEENSJ_IJSD_SD_EEES6_SK_JS6_EEE10hipError_tPvRmT3_T4_T5_T6_T7_T9_mT8_P12ihipStream_tbDpT10_ENKUlT_T0_E_clISt17integral_constantIbLb1EES16_EEDaS11_S12_EUlS11_E_NS1_11comp_targetILNS1_3genE3ELNS1_11target_archE908ELNS1_3gpuE7ELNS1_3repE0EEENS1_30default_config_static_selectorELNS0_4arch9wavefront6targetE1EEEvT1_,"axG",@progbits,_ZN7rocprim17ROCPRIM_400000_NS6detail17trampoline_kernelINS0_14default_configENS1_25partition_config_selectorILNS1_17partition_subalgoE5ElNS0_10empty_typeEbEEZZNS1_14partition_implILS5_5ELb0ES3_mN6hipcub16HIPCUB_304000_NS21CountingInputIteratorIllEEPS6_NSA_22TransformInputIteratorIb7NonZeroIaEPalEENS0_5tupleIJPlS6_EEENSJ_IJSD_SD_EEES6_SK_JS6_EEE10hipError_tPvRmT3_T4_T5_T6_T7_T9_mT8_P12ihipStream_tbDpT10_ENKUlT_T0_E_clISt17integral_constantIbLb1EES16_EEDaS11_S12_EUlS11_E_NS1_11comp_targetILNS1_3genE3ELNS1_11target_archE908ELNS1_3gpuE7ELNS1_3repE0EEENS1_30default_config_static_selectorELNS0_4arch9wavefront6targetE1EEEvT1_,comdat
.Lfunc_end57:
	.size	_ZN7rocprim17ROCPRIM_400000_NS6detail17trampoline_kernelINS0_14default_configENS1_25partition_config_selectorILNS1_17partition_subalgoE5ElNS0_10empty_typeEbEEZZNS1_14partition_implILS5_5ELb0ES3_mN6hipcub16HIPCUB_304000_NS21CountingInputIteratorIllEEPS6_NSA_22TransformInputIteratorIb7NonZeroIaEPalEENS0_5tupleIJPlS6_EEENSJ_IJSD_SD_EEES6_SK_JS6_EEE10hipError_tPvRmT3_T4_T5_T6_T7_T9_mT8_P12ihipStream_tbDpT10_ENKUlT_T0_E_clISt17integral_constantIbLb1EES16_EEDaS11_S12_EUlS11_E_NS1_11comp_targetILNS1_3genE3ELNS1_11target_archE908ELNS1_3gpuE7ELNS1_3repE0EEENS1_30default_config_static_selectorELNS0_4arch9wavefront6targetE1EEEvT1_, .Lfunc_end57-_ZN7rocprim17ROCPRIM_400000_NS6detail17trampoline_kernelINS0_14default_configENS1_25partition_config_selectorILNS1_17partition_subalgoE5ElNS0_10empty_typeEbEEZZNS1_14partition_implILS5_5ELb0ES3_mN6hipcub16HIPCUB_304000_NS21CountingInputIteratorIllEEPS6_NSA_22TransformInputIteratorIb7NonZeroIaEPalEENS0_5tupleIJPlS6_EEENSJ_IJSD_SD_EEES6_SK_JS6_EEE10hipError_tPvRmT3_T4_T5_T6_T7_T9_mT8_P12ihipStream_tbDpT10_ENKUlT_T0_E_clISt17integral_constantIbLb1EES16_EEDaS11_S12_EUlS11_E_NS1_11comp_targetILNS1_3genE3ELNS1_11target_archE908ELNS1_3gpuE7ELNS1_3repE0EEENS1_30default_config_static_selectorELNS0_4arch9wavefront6targetE1EEEvT1_
                                        ; -- End function
	.set _ZN7rocprim17ROCPRIM_400000_NS6detail17trampoline_kernelINS0_14default_configENS1_25partition_config_selectorILNS1_17partition_subalgoE5ElNS0_10empty_typeEbEEZZNS1_14partition_implILS5_5ELb0ES3_mN6hipcub16HIPCUB_304000_NS21CountingInputIteratorIllEEPS6_NSA_22TransformInputIteratorIb7NonZeroIaEPalEENS0_5tupleIJPlS6_EEENSJ_IJSD_SD_EEES6_SK_JS6_EEE10hipError_tPvRmT3_T4_T5_T6_T7_T9_mT8_P12ihipStream_tbDpT10_ENKUlT_T0_E_clISt17integral_constantIbLb1EES16_EEDaS11_S12_EUlS11_E_NS1_11comp_targetILNS1_3genE3ELNS1_11target_archE908ELNS1_3gpuE7ELNS1_3repE0EEENS1_30default_config_static_selectorELNS0_4arch9wavefront6targetE1EEEvT1_.num_vgpr, 0
	.set _ZN7rocprim17ROCPRIM_400000_NS6detail17trampoline_kernelINS0_14default_configENS1_25partition_config_selectorILNS1_17partition_subalgoE5ElNS0_10empty_typeEbEEZZNS1_14partition_implILS5_5ELb0ES3_mN6hipcub16HIPCUB_304000_NS21CountingInputIteratorIllEEPS6_NSA_22TransformInputIteratorIb7NonZeroIaEPalEENS0_5tupleIJPlS6_EEENSJ_IJSD_SD_EEES6_SK_JS6_EEE10hipError_tPvRmT3_T4_T5_T6_T7_T9_mT8_P12ihipStream_tbDpT10_ENKUlT_T0_E_clISt17integral_constantIbLb1EES16_EEDaS11_S12_EUlS11_E_NS1_11comp_targetILNS1_3genE3ELNS1_11target_archE908ELNS1_3gpuE7ELNS1_3repE0EEENS1_30default_config_static_selectorELNS0_4arch9wavefront6targetE1EEEvT1_.num_agpr, 0
	.set _ZN7rocprim17ROCPRIM_400000_NS6detail17trampoline_kernelINS0_14default_configENS1_25partition_config_selectorILNS1_17partition_subalgoE5ElNS0_10empty_typeEbEEZZNS1_14partition_implILS5_5ELb0ES3_mN6hipcub16HIPCUB_304000_NS21CountingInputIteratorIllEEPS6_NSA_22TransformInputIteratorIb7NonZeroIaEPalEENS0_5tupleIJPlS6_EEENSJ_IJSD_SD_EEES6_SK_JS6_EEE10hipError_tPvRmT3_T4_T5_T6_T7_T9_mT8_P12ihipStream_tbDpT10_ENKUlT_T0_E_clISt17integral_constantIbLb1EES16_EEDaS11_S12_EUlS11_E_NS1_11comp_targetILNS1_3genE3ELNS1_11target_archE908ELNS1_3gpuE7ELNS1_3repE0EEENS1_30default_config_static_selectorELNS0_4arch9wavefront6targetE1EEEvT1_.numbered_sgpr, 0
	.set _ZN7rocprim17ROCPRIM_400000_NS6detail17trampoline_kernelINS0_14default_configENS1_25partition_config_selectorILNS1_17partition_subalgoE5ElNS0_10empty_typeEbEEZZNS1_14partition_implILS5_5ELb0ES3_mN6hipcub16HIPCUB_304000_NS21CountingInputIteratorIllEEPS6_NSA_22TransformInputIteratorIb7NonZeroIaEPalEENS0_5tupleIJPlS6_EEENSJ_IJSD_SD_EEES6_SK_JS6_EEE10hipError_tPvRmT3_T4_T5_T6_T7_T9_mT8_P12ihipStream_tbDpT10_ENKUlT_T0_E_clISt17integral_constantIbLb1EES16_EEDaS11_S12_EUlS11_E_NS1_11comp_targetILNS1_3genE3ELNS1_11target_archE908ELNS1_3gpuE7ELNS1_3repE0EEENS1_30default_config_static_selectorELNS0_4arch9wavefront6targetE1EEEvT1_.num_named_barrier, 0
	.set _ZN7rocprim17ROCPRIM_400000_NS6detail17trampoline_kernelINS0_14default_configENS1_25partition_config_selectorILNS1_17partition_subalgoE5ElNS0_10empty_typeEbEEZZNS1_14partition_implILS5_5ELb0ES3_mN6hipcub16HIPCUB_304000_NS21CountingInputIteratorIllEEPS6_NSA_22TransformInputIteratorIb7NonZeroIaEPalEENS0_5tupleIJPlS6_EEENSJ_IJSD_SD_EEES6_SK_JS6_EEE10hipError_tPvRmT3_T4_T5_T6_T7_T9_mT8_P12ihipStream_tbDpT10_ENKUlT_T0_E_clISt17integral_constantIbLb1EES16_EEDaS11_S12_EUlS11_E_NS1_11comp_targetILNS1_3genE3ELNS1_11target_archE908ELNS1_3gpuE7ELNS1_3repE0EEENS1_30default_config_static_selectorELNS0_4arch9wavefront6targetE1EEEvT1_.private_seg_size, 0
	.set _ZN7rocprim17ROCPRIM_400000_NS6detail17trampoline_kernelINS0_14default_configENS1_25partition_config_selectorILNS1_17partition_subalgoE5ElNS0_10empty_typeEbEEZZNS1_14partition_implILS5_5ELb0ES3_mN6hipcub16HIPCUB_304000_NS21CountingInputIteratorIllEEPS6_NSA_22TransformInputIteratorIb7NonZeroIaEPalEENS0_5tupleIJPlS6_EEENSJ_IJSD_SD_EEES6_SK_JS6_EEE10hipError_tPvRmT3_T4_T5_T6_T7_T9_mT8_P12ihipStream_tbDpT10_ENKUlT_T0_E_clISt17integral_constantIbLb1EES16_EEDaS11_S12_EUlS11_E_NS1_11comp_targetILNS1_3genE3ELNS1_11target_archE908ELNS1_3gpuE7ELNS1_3repE0EEENS1_30default_config_static_selectorELNS0_4arch9wavefront6targetE1EEEvT1_.uses_vcc, 0
	.set _ZN7rocprim17ROCPRIM_400000_NS6detail17trampoline_kernelINS0_14default_configENS1_25partition_config_selectorILNS1_17partition_subalgoE5ElNS0_10empty_typeEbEEZZNS1_14partition_implILS5_5ELb0ES3_mN6hipcub16HIPCUB_304000_NS21CountingInputIteratorIllEEPS6_NSA_22TransformInputIteratorIb7NonZeroIaEPalEENS0_5tupleIJPlS6_EEENSJ_IJSD_SD_EEES6_SK_JS6_EEE10hipError_tPvRmT3_T4_T5_T6_T7_T9_mT8_P12ihipStream_tbDpT10_ENKUlT_T0_E_clISt17integral_constantIbLb1EES16_EEDaS11_S12_EUlS11_E_NS1_11comp_targetILNS1_3genE3ELNS1_11target_archE908ELNS1_3gpuE7ELNS1_3repE0EEENS1_30default_config_static_selectorELNS0_4arch9wavefront6targetE1EEEvT1_.uses_flat_scratch, 0
	.set _ZN7rocprim17ROCPRIM_400000_NS6detail17trampoline_kernelINS0_14default_configENS1_25partition_config_selectorILNS1_17partition_subalgoE5ElNS0_10empty_typeEbEEZZNS1_14partition_implILS5_5ELb0ES3_mN6hipcub16HIPCUB_304000_NS21CountingInputIteratorIllEEPS6_NSA_22TransformInputIteratorIb7NonZeroIaEPalEENS0_5tupleIJPlS6_EEENSJ_IJSD_SD_EEES6_SK_JS6_EEE10hipError_tPvRmT3_T4_T5_T6_T7_T9_mT8_P12ihipStream_tbDpT10_ENKUlT_T0_E_clISt17integral_constantIbLb1EES16_EEDaS11_S12_EUlS11_E_NS1_11comp_targetILNS1_3genE3ELNS1_11target_archE908ELNS1_3gpuE7ELNS1_3repE0EEENS1_30default_config_static_selectorELNS0_4arch9wavefront6targetE1EEEvT1_.has_dyn_sized_stack, 0
	.set _ZN7rocprim17ROCPRIM_400000_NS6detail17trampoline_kernelINS0_14default_configENS1_25partition_config_selectorILNS1_17partition_subalgoE5ElNS0_10empty_typeEbEEZZNS1_14partition_implILS5_5ELb0ES3_mN6hipcub16HIPCUB_304000_NS21CountingInputIteratorIllEEPS6_NSA_22TransformInputIteratorIb7NonZeroIaEPalEENS0_5tupleIJPlS6_EEENSJ_IJSD_SD_EEES6_SK_JS6_EEE10hipError_tPvRmT3_T4_T5_T6_T7_T9_mT8_P12ihipStream_tbDpT10_ENKUlT_T0_E_clISt17integral_constantIbLb1EES16_EEDaS11_S12_EUlS11_E_NS1_11comp_targetILNS1_3genE3ELNS1_11target_archE908ELNS1_3gpuE7ELNS1_3repE0EEENS1_30default_config_static_selectorELNS0_4arch9wavefront6targetE1EEEvT1_.has_recursion, 0
	.set _ZN7rocprim17ROCPRIM_400000_NS6detail17trampoline_kernelINS0_14default_configENS1_25partition_config_selectorILNS1_17partition_subalgoE5ElNS0_10empty_typeEbEEZZNS1_14partition_implILS5_5ELb0ES3_mN6hipcub16HIPCUB_304000_NS21CountingInputIteratorIllEEPS6_NSA_22TransformInputIteratorIb7NonZeroIaEPalEENS0_5tupleIJPlS6_EEENSJ_IJSD_SD_EEES6_SK_JS6_EEE10hipError_tPvRmT3_T4_T5_T6_T7_T9_mT8_P12ihipStream_tbDpT10_ENKUlT_T0_E_clISt17integral_constantIbLb1EES16_EEDaS11_S12_EUlS11_E_NS1_11comp_targetILNS1_3genE3ELNS1_11target_archE908ELNS1_3gpuE7ELNS1_3repE0EEENS1_30default_config_static_selectorELNS0_4arch9wavefront6targetE1EEEvT1_.has_indirect_call, 0
	.section	.AMDGPU.csdata,"",@progbits
; Kernel info:
; codeLenInByte = 0
; TotalNumSgprs: 6
; NumVgprs: 0
; NumAgprs: 0
; TotalNumVgprs: 0
; ScratchSize: 0
; MemoryBound: 0
; FloatMode: 240
; IeeeMode: 1
; LDSByteSize: 0 bytes/workgroup (compile time only)
; SGPRBlocks: 0
; VGPRBlocks: 0
; NumSGPRsForWavesPerEU: 6
; NumVGPRsForWavesPerEU: 1
; AccumOffset: 4
; Occupancy: 8
; WaveLimiterHint : 0
; COMPUTE_PGM_RSRC2:SCRATCH_EN: 0
; COMPUTE_PGM_RSRC2:USER_SGPR: 2
; COMPUTE_PGM_RSRC2:TRAP_HANDLER: 0
; COMPUTE_PGM_RSRC2:TGID_X_EN: 1
; COMPUTE_PGM_RSRC2:TGID_Y_EN: 0
; COMPUTE_PGM_RSRC2:TGID_Z_EN: 0
; COMPUTE_PGM_RSRC2:TIDIG_COMP_CNT: 0
; COMPUTE_PGM_RSRC3_GFX90A:ACCUM_OFFSET: 0
; COMPUTE_PGM_RSRC3_GFX90A:TG_SPLIT: 0
	.section	.text._ZN7rocprim17ROCPRIM_400000_NS6detail17trampoline_kernelINS0_14default_configENS1_25partition_config_selectorILNS1_17partition_subalgoE5ElNS0_10empty_typeEbEEZZNS1_14partition_implILS5_5ELb0ES3_mN6hipcub16HIPCUB_304000_NS21CountingInputIteratorIllEEPS6_NSA_22TransformInputIteratorIb7NonZeroIaEPalEENS0_5tupleIJPlS6_EEENSJ_IJSD_SD_EEES6_SK_JS6_EEE10hipError_tPvRmT3_T4_T5_T6_T7_T9_mT8_P12ihipStream_tbDpT10_ENKUlT_T0_E_clISt17integral_constantIbLb1EES16_EEDaS11_S12_EUlS11_E_NS1_11comp_targetILNS1_3genE2ELNS1_11target_archE906ELNS1_3gpuE6ELNS1_3repE0EEENS1_30default_config_static_selectorELNS0_4arch9wavefront6targetE1EEEvT1_,"axG",@progbits,_ZN7rocprim17ROCPRIM_400000_NS6detail17trampoline_kernelINS0_14default_configENS1_25partition_config_selectorILNS1_17partition_subalgoE5ElNS0_10empty_typeEbEEZZNS1_14partition_implILS5_5ELb0ES3_mN6hipcub16HIPCUB_304000_NS21CountingInputIteratorIllEEPS6_NSA_22TransformInputIteratorIb7NonZeroIaEPalEENS0_5tupleIJPlS6_EEENSJ_IJSD_SD_EEES6_SK_JS6_EEE10hipError_tPvRmT3_T4_T5_T6_T7_T9_mT8_P12ihipStream_tbDpT10_ENKUlT_T0_E_clISt17integral_constantIbLb1EES16_EEDaS11_S12_EUlS11_E_NS1_11comp_targetILNS1_3genE2ELNS1_11target_archE906ELNS1_3gpuE6ELNS1_3repE0EEENS1_30default_config_static_selectorELNS0_4arch9wavefront6targetE1EEEvT1_,comdat
	.protected	_ZN7rocprim17ROCPRIM_400000_NS6detail17trampoline_kernelINS0_14default_configENS1_25partition_config_selectorILNS1_17partition_subalgoE5ElNS0_10empty_typeEbEEZZNS1_14partition_implILS5_5ELb0ES3_mN6hipcub16HIPCUB_304000_NS21CountingInputIteratorIllEEPS6_NSA_22TransformInputIteratorIb7NonZeroIaEPalEENS0_5tupleIJPlS6_EEENSJ_IJSD_SD_EEES6_SK_JS6_EEE10hipError_tPvRmT3_T4_T5_T6_T7_T9_mT8_P12ihipStream_tbDpT10_ENKUlT_T0_E_clISt17integral_constantIbLb1EES16_EEDaS11_S12_EUlS11_E_NS1_11comp_targetILNS1_3genE2ELNS1_11target_archE906ELNS1_3gpuE6ELNS1_3repE0EEENS1_30default_config_static_selectorELNS0_4arch9wavefront6targetE1EEEvT1_ ; -- Begin function _ZN7rocprim17ROCPRIM_400000_NS6detail17trampoline_kernelINS0_14default_configENS1_25partition_config_selectorILNS1_17partition_subalgoE5ElNS0_10empty_typeEbEEZZNS1_14partition_implILS5_5ELb0ES3_mN6hipcub16HIPCUB_304000_NS21CountingInputIteratorIllEEPS6_NSA_22TransformInputIteratorIb7NonZeroIaEPalEENS0_5tupleIJPlS6_EEENSJ_IJSD_SD_EEES6_SK_JS6_EEE10hipError_tPvRmT3_T4_T5_T6_T7_T9_mT8_P12ihipStream_tbDpT10_ENKUlT_T0_E_clISt17integral_constantIbLb1EES16_EEDaS11_S12_EUlS11_E_NS1_11comp_targetILNS1_3genE2ELNS1_11target_archE906ELNS1_3gpuE6ELNS1_3repE0EEENS1_30default_config_static_selectorELNS0_4arch9wavefront6targetE1EEEvT1_
	.globl	_ZN7rocprim17ROCPRIM_400000_NS6detail17trampoline_kernelINS0_14default_configENS1_25partition_config_selectorILNS1_17partition_subalgoE5ElNS0_10empty_typeEbEEZZNS1_14partition_implILS5_5ELb0ES3_mN6hipcub16HIPCUB_304000_NS21CountingInputIteratorIllEEPS6_NSA_22TransformInputIteratorIb7NonZeroIaEPalEENS0_5tupleIJPlS6_EEENSJ_IJSD_SD_EEES6_SK_JS6_EEE10hipError_tPvRmT3_T4_T5_T6_T7_T9_mT8_P12ihipStream_tbDpT10_ENKUlT_T0_E_clISt17integral_constantIbLb1EES16_EEDaS11_S12_EUlS11_E_NS1_11comp_targetILNS1_3genE2ELNS1_11target_archE906ELNS1_3gpuE6ELNS1_3repE0EEENS1_30default_config_static_selectorELNS0_4arch9wavefront6targetE1EEEvT1_
	.p2align	8
	.type	_ZN7rocprim17ROCPRIM_400000_NS6detail17trampoline_kernelINS0_14default_configENS1_25partition_config_selectorILNS1_17partition_subalgoE5ElNS0_10empty_typeEbEEZZNS1_14partition_implILS5_5ELb0ES3_mN6hipcub16HIPCUB_304000_NS21CountingInputIteratorIllEEPS6_NSA_22TransformInputIteratorIb7NonZeroIaEPalEENS0_5tupleIJPlS6_EEENSJ_IJSD_SD_EEES6_SK_JS6_EEE10hipError_tPvRmT3_T4_T5_T6_T7_T9_mT8_P12ihipStream_tbDpT10_ENKUlT_T0_E_clISt17integral_constantIbLb1EES16_EEDaS11_S12_EUlS11_E_NS1_11comp_targetILNS1_3genE2ELNS1_11target_archE906ELNS1_3gpuE6ELNS1_3repE0EEENS1_30default_config_static_selectorELNS0_4arch9wavefront6targetE1EEEvT1_,@function
_ZN7rocprim17ROCPRIM_400000_NS6detail17trampoline_kernelINS0_14default_configENS1_25partition_config_selectorILNS1_17partition_subalgoE5ElNS0_10empty_typeEbEEZZNS1_14partition_implILS5_5ELb0ES3_mN6hipcub16HIPCUB_304000_NS21CountingInputIteratorIllEEPS6_NSA_22TransformInputIteratorIb7NonZeroIaEPalEENS0_5tupleIJPlS6_EEENSJ_IJSD_SD_EEES6_SK_JS6_EEE10hipError_tPvRmT3_T4_T5_T6_T7_T9_mT8_P12ihipStream_tbDpT10_ENKUlT_T0_E_clISt17integral_constantIbLb1EES16_EEDaS11_S12_EUlS11_E_NS1_11comp_targetILNS1_3genE2ELNS1_11target_archE906ELNS1_3gpuE6ELNS1_3repE0EEENS1_30default_config_static_selectorELNS0_4arch9wavefront6targetE1EEEvT1_: ; @_ZN7rocprim17ROCPRIM_400000_NS6detail17trampoline_kernelINS0_14default_configENS1_25partition_config_selectorILNS1_17partition_subalgoE5ElNS0_10empty_typeEbEEZZNS1_14partition_implILS5_5ELb0ES3_mN6hipcub16HIPCUB_304000_NS21CountingInputIteratorIllEEPS6_NSA_22TransformInputIteratorIb7NonZeroIaEPalEENS0_5tupleIJPlS6_EEENSJ_IJSD_SD_EEES6_SK_JS6_EEE10hipError_tPvRmT3_T4_T5_T6_T7_T9_mT8_P12ihipStream_tbDpT10_ENKUlT_T0_E_clISt17integral_constantIbLb1EES16_EEDaS11_S12_EUlS11_E_NS1_11comp_targetILNS1_3genE2ELNS1_11target_archE906ELNS1_3gpuE6ELNS1_3repE0EEENS1_30default_config_static_selectorELNS0_4arch9wavefront6targetE1EEEvT1_
; %bb.0:
	.section	.rodata,"a",@progbits
	.p2align	6, 0x0
	.amdhsa_kernel _ZN7rocprim17ROCPRIM_400000_NS6detail17trampoline_kernelINS0_14default_configENS1_25partition_config_selectorILNS1_17partition_subalgoE5ElNS0_10empty_typeEbEEZZNS1_14partition_implILS5_5ELb0ES3_mN6hipcub16HIPCUB_304000_NS21CountingInputIteratorIllEEPS6_NSA_22TransformInputIteratorIb7NonZeroIaEPalEENS0_5tupleIJPlS6_EEENSJ_IJSD_SD_EEES6_SK_JS6_EEE10hipError_tPvRmT3_T4_T5_T6_T7_T9_mT8_P12ihipStream_tbDpT10_ENKUlT_T0_E_clISt17integral_constantIbLb1EES16_EEDaS11_S12_EUlS11_E_NS1_11comp_targetILNS1_3genE2ELNS1_11target_archE906ELNS1_3gpuE6ELNS1_3repE0EEENS1_30default_config_static_selectorELNS0_4arch9wavefront6targetE1EEEvT1_
		.amdhsa_group_segment_fixed_size 0
		.amdhsa_private_segment_fixed_size 0
		.amdhsa_kernarg_size 136
		.amdhsa_user_sgpr_count 2
		.amdhsa_user_sgpr_dispatch_ptr 0
		.amdhsa_user_sgpr_queue_ptr 0
		.amdhsa_user_sgpr_kernarg_segment_ptr 1
		.amdhsa_user_sgpr_dispatch_id 0
		.amdhsa_user_sgpr_kernarg_preload_length 0
		.amdhsa_user_sgpr_kernarg_preload_offset 0
		.amdhsa_user_sgpr_private_segment_size 0
		.amdhsa_uses_dynamic_stack 0
		.amdhsa_enable_private_segment 0
		.amdhsa_system_sgpr_workgroup_id_x 1
		.amdhsa_system_sgpr_workgroup_id_y 0
		.amdhsa_system_sgpr_workgroup_id_z 0
		.amdhsa_system_sgpr_workgroup_info 0
		.amdhsa_system_vgpr_workitem_id 0
		.amdhsa_next_free_vgpr 1
		.amdhsa_next_free_sgpr 0
		.amdhsa_accum_offset 4
		.amdhsa_reserve_vcc 0
		.amdhsa_float_round_mode_32 0
		.amdhsa_float_round_mode_16_64 0
		.amdhsa_float_denorm_mode_32 3
		.amdhsa_float_denorm_mode_16_64 3
		.amdhsa_dx10_clamp 1
		.amdhsa_ieee_mode 1
		.amdhsa_fp16_overflow 0
		.amdhsa_tg_split 0
		.amdhsa_exception_fp_ieee_invalid_op 0
		.amdhsa_exception_fp_denorm_src 0
		.amdhsa_exception_fp_ieee_div_zero 0
		.amdhsa_exception_fp_ieee_overflow 0
		.amdhsa_exception_fp_ieee_underflow 0
		.amdhsa_exception_fp_ieee_inexact 0
		.amdhsa_exception_int_div_zero 0
	.end_amdhsa_kernel
	.section	.text._ZN7rocprim17ROCPRIM_400000_NS6detail17trampoline_kernelINS0_14default_configENS1_25partition_config_selectorILNS1_17partition_subalgoE5ElNS0_10empty_typeEbEEZZNS1_14partition_implILS5_5ELb0ES3_mN6hipcub16HIPCUB_304000_NS21CountingInputIteratorIllEEPS6_NSA_22TransformInputIteratorIb7NonZeroIaEPalEENS0_5tupleIJPlS6_EEENSJ_IJSD_SD_EEES6_SK_JS6_EEE10hipError_tPvRmT3_T4_T5_T6_T7_T9_mT8_P12ihipStream_tbDpT10_ENKUlT_T0_E_clISt17integral_constantIbLb1EES16_EEDaS11_S12_EUlS11_E_NS1_11comp_targetILNS1_3genE2ELNS1_11target_archE906ELNS1_3gpuE6ELNS1_3repE0EEENS1_30default_config_static_selectorELNS0_4arch9wavefront6targetE1EEEvT1_,"axG",@progbits,_ZN7rocprim17ROCPRIM_400000_NS6detail17trampoline_kernelINS0_14default_configENS1_25partition_config_selectorILNS1_17partition_subalgoE5ElNS0_10empty_typeEbEEZZNS1_14partition_implILS5_5ELb0ES3_mN6hipcub16HIPCUB_304000_NS21CountingInputIteratorIllEEPS6_NSA_22TransformInputIteratorIb7NonZeroIaEPalEENS0_5tupleIJPlS6_EEENSJ_IJSD_SD_EEES6_SK_JS6_EEE10hipError_tPvRmT3_T4_T5_T6_T7_T9_mT8_P12ihipStream_tbDpT10_ENKUlT_T0_E_clISt17integral_constantIbLb1EES16_EEDaS11_S12_EUlS11_E_NS1_11comp_targetILNS1_3genE2ELNS1_11target_archE906ELNS1_3gpuE6ELNS1_3repE0EEENS1_30default_config_static_selectorELNS0_4arch9wavefront6targetE1EEEvT1_,comdat
.Lfunc_end58:
	.size	_ZN7rocprim17ROCPRIM_400000_NS6detail17trampoline_kernelINS0_14default_configENS1_25partition_config_selectorILNS1_17partition_subalgoE5ElNS0_10empty_typeEbEEZZNS1_14partition_implILS5_5ELb0ES3_mN6hipcub16HIPCUB_304000_NS21CountingInputIteratorIllEEPS6_NSA_22TransformInputIteratorIb7NonZeroIaEPalEENS0_5tupleIJPlS6_EEENSJ_IJSD_SD_EEES6_SK_JS6_EEE10hipError_tPvRmT3_T4_T5_T6_T7_T9_mT8_P12ihipStream_tbDpT10_ENKUlT_T0_E_clISt17integral_constantIbLb1EES16_EEDaS11_S12_EUlS11_E_NS1_11comp_targetILNS1_3genE2ELNS1_11target_archE906ELNS1_3gpuE6ELNS1_3repE0EEENS1_30default_config_static_selectorELNS0_4arch9wavefront6targetE1EEEvT1_, .Lfunc_end58-_ZN7rocprim17ROCPRIM_400000_NS6detail17trampoline_kernelINS0_14default_configENS1_25partition_config_selectorILNS1_17partition_subalgoE5ElNS0_10empty_typeEbEEZZNS1_14partition_implILS5_5ELb0ES3_mN6hipcub16HIPCUB_304000_NS21CountingInputIteratorIllEEPS6_NSA_22TransformInputIteratorIb7NonZeroIaEPalEENS0_5tupleIJPlS6_EEENSJ_IJSD_SD_EEES6_SK_JS6_EEE10hipError_tPvRmT3_T4_T5_T6_T7_T9_mT8_P12ihipStream_tbDpT10_ENKUlT_T0_E_clISt17integral_constantIbLb1EES16_EEDaS11_S12_EUlS11_E_NS1_11comp_targetILNS1_3genE2ELNS1_11target_archE906ELNS1_3gpuE6ELNS1_3repE0EEENS1_30default_config_static_selectorELNS0_4arch9wavefront6targetE1EEEvT1_
                                        ; -- End function
	.set _ZN7rocprim17ROCPRIM_400000_NS6detail17trampoline_kernelINS0_14default_configENS1_25partition_config_selectorILNS1_17partition_subalgoE5ElNS0_10empty_typeEbEEZZNS1_14partition_implILS5_5ELb0ES3_mN6hipcub16HIPCUB_304000_NS21CountingInputIteratorIllEEPS6_NSA_22TransformInputIteratorIb7NonZeroIaEPalEENS0_5tupleIJPlS6_EEENSJ_IJSD_SD_EEES6_SK_JS6_EEE10hipError_tPvRmT3_T4_T5_T6_T7_T9_mT8_P12ihipStream_tbDpT10_ENKUlT_T0_E_clISt17integral_constantIbLb1EES16_EEDaS11_S12_EUlS11_E_NS1_11comp_targetILNS1_3genE2ELNS1_11target_archE906ELNS1_3gpuE6ELNS1_3repE0EEENS1_30default_config_static_selectorELNS0_4arch9wavefront6targetE1EEEvT1_.num_vgpr, 0
	.set _ZN7rocprim17ROCPRIM_400000_NS6detail17trampoline_kernelINS0_14default_configENS1_25partition_config_selectorILNS1_17partition_subalgoE5ElNS0_10empty_typeEbEEZZNS1_14partition_implILS5_5ELb0ES3_mN6hipcub16HIPCUB_304000_NS21CountingInputIteratorIllEEPS6_NSA_22TransformInputIteratorIb7NonZeroIaEPalEENS0_5tupleIJPlS6_EEENSJ_IJSD_SD_EEES6_SK_JS6_EEE10hipError_tPvRmT3_T4_T5_T6_T7_T9_mT8_P12ihipStream_tbDpT10_ENKUlT_T0_E_clISt17integral_constantIbLb1EES16_EEDaS11_S12_EUlS11_E_NS1_11comp_targetILNS1_3genE2ELNS1_11target_archE906ELNS1_3gpuE6ELNS1_3repE0EEENS1_30default_config_static_selectorELNS0_4arch9wavefront6targetE1EEEvT1_.num_agpr, 0
	.set _ZN7rocprim17ROCPRIM_400000_NS6detail17trampoline_kernelINS0_14default_configENS1_25partition_config_selectorILNS1_17partition_subalgoE5ElNS0_10empty_typeEbEEZZNS1_14partition_implILS5_5ELb0ES3_mN6hipcub16HIPCUB_304000_NS21CountingInputIteratorIllEEPS6_NSA_22TransformInputIteratorIb7NonZeroIaEPalEENS0_5tupleIJPlS6_EEENSJ_IJSD_SD_EEES6_SK_JS6_EEE10hipError_tPvRmT3_T4_T5_T6_T7_T9_mT8_P12ihipStream_tbDpT10_ENKUlT_T0_E_clISt17integral_constantIbLb1EES16_EEDaS11_S12_EUlS11_E_NS1_11comp_targetILNS1_3genE2ELNS1_11target_archE906ELNS1_3gpuE6ELNS1_3repE0EEENS1_30default_config_static_selectorELNS0_4arch9wavefront6targetE1EEEvT1_.numbered_sgpr, 0
	.set _ZN7rocprim17ROCPRIM_400000_NS6detail17trampoline_kernelINS0_14default_configENS1_25partition_config_selectorILNS1_17partition_subalgoE5ElNS0_10empty_typeEbEEZZNS1_14partition_implILS5_5ELb0ES3_mN6hipcub16HIPCUB_304000_NS21CountingInputIteratorIllEEPS6_NSA_22TransformInputIteratorIb7NonZeroIaEPalEENS0_5tupleIJPlS6_EEENSJ_IJSD_SD_EEES6_SK_JS6_EEE10hipError_tPvRmT3_T4_T5_T6_T7_T9_mT8_P12ihipStream_tbDpT10_ENKUlT_T0_E_clISt17integral_constantIbLb1EES16_EEDaS11_S12_EUlS11_E_NS1_11comp_targetILNS1_3genE2ELNS1_11target_archE906ELNS1_3gpuE6ELNS1_3repE0EEENS1_30default_config_static_selectorELNS0_4arch9wavefront6targetE1EEEvT1_.num_named_barrier, 0
	.set _ZN7rocprim17ROCPRIM_400000_NS6detail17trampoline_kernelINS0_14default_configENS1_25partition_config_selectorILNS1_17partition_subalgoE5ElNS0_10empty_typeEbEEZZNS1_14partition_implILS5_5ELb0ES3_mN6hipcub16HIPCUB_304000_NS21CountingInputIteratorIllEEPS6_NSA_22TransformInputIteratorIb7NonZeroIaEPalEENS0_5tupleIJPlS6_EEENSJ_IJSD_SD_EEES6_SK_JS6_EEE10hipError_tPvRmT3_T4_T5_T6_T7_T9_mT8_P12ihipStream_tbDpT10_ENKUlT_T0_E_clISt17integral_constantIbLb1EES16_EEDaS11_S12_EUlS11_E_NS1_11comp_targetILNS1_3genE2ELNS1_11target_archE906ELNS1_3gpuE6ELNS1_3repE0EEENS1_30default_config_static_selectorELNS0_4arch9wavefront6targetE1EEEvT1_.private_seg_size, 0
	.set _ZN7rocprim17ROCPRIM_400000_NS6detail17trampoline_kernelINS0_14default_configENS1_25partition_config_selectorILNS1_17partition_subalgoE5ElNS0_10empty_typeEbEEZZNS1_14partition_implILS5_5ELb0ES3_mN6hipcub16HIPCUB_304000_NS21CountingInputIteratorIllEEPS6_NSA_22TransformInputIteratorIb7NonZeroIaEPalEENS0_5tupleIJPlS6_EEENSJ_IJSD_SD_EEES6_SK_JS6_EEE10hipError_tPvRmT3_T4_T5_T6_T7_T9_mT8_P12ihipStream_tbDpT10_ENKUlT_T0_E_clISt17integral_constantIbLb1EES16_EEDaS11_S12_EUlS11_E_NS1_11comp_targetILNS1_3genE2ELNS1_11target_archE906ELNS1_3gpuE6ELNS1_3repE0EEENS1_30default_config_static_selectorELNS0_4arch9wavefront6targetE1EEEvT1_.uses_vcc, 0
	.set _ZN7rocprim17ROCPRIM_400000_NS6detail17trampoline_kernelINS0_14default_configENS1_25partition_config_selectorILNS1_17partition_subalgoE5ElNS0_10empty_typeEbEEZZNS1_14partition_implILS5_5ELb0ES3_mN6hipcub16HIPCUB_304000_NS21CountingInputIteratorIllEEPS6_NSA_22TransformInputIteratorIb7NonZeroIaEPalEENS0_5tupleIJPlS6_EEENSJ_IJSD_SD_EEES6_SK_JS6_EEE10hipError_tPvRmT3_T4_T5_T6_T7_T9_mT8_P12ihipStream_tbDpT10_ENKUlT_T0_E_clISt17integral_constantIbLb1EES16_EEDaS11_S12_EUlS11_E_NS1_11comp_targetILNS1_3genE2ELNS1_11target_archE906ELNS1_3gpuE6ELNS1_3repE0EEENS1_30default_config_static_selectorELNS0_4arch9wavefront6targetE1EEEvT1_.uses_flat_scratch, 0
	.set _ZN7rocprim17ROCPRIM_400000_NS6detail17trampoline_kernelINS0_14default_configENS1_25partition_config_selectorILNS1_17partition_subalgoE5ElNS0_10empty_typeEbEEZZNS1_14partition_implILS5_5ELb0ES3_mN6hipcub16HIPCUB_304000_NS21CountingInputIteratorIllEEPS6_NSA_22TransformInputIteratorIb7NonZeroIaEPalEENS0_5tupleIJPlS6_EEENSJ_IJSD_SD_EEES6_SK_JS6_EEE10hipError_tPvRmT3_T4_T5_T6_T7_T9_mT8_P12ihipStream_tbDpT10_ENKUlT_T0_E_clISt17integral_constantIbLb1EES16_EEDaS11_S12_EUlS11_E_NS1_11comp_targetILNS1_3genE2ELNS1_11target_archE906ELNS1_3gpuE6ELNS1_3repE0EEENS1_30default_config_static_selectorELNS0_4arch9wavefront6targetE1EEEvT1_.has_dyn_sized_stack, 0
	.set _ZN7rocprim17ROCPRIM_400000_NS6detail17trampoline_kernelINS0_14default_configENS1_25partition_config_selectorILNS1_17partition_subalgoE5ElNS0_10empty_typeEbEEZZNS1_14partition_implILS5_5ELb0ES3_mN6hipcub16HIPCUB_304000_NS21CountingInputIteratorIllEEPS6_NSA_22TransformInputIteratorIb7NonZeroIaEPalEENS0_5tupleIJPlS6_EEENSJ_IJSD_SD_EEES6_SK_JS6_EEE10hipError_tPvRmT3_T4_T5_T6_T7_T9_mT8_P12ihipStream_tbDpT10_ENKUlT_T0_E_clISt17integral_constantIbLb1EES16_EEDaS11_S12_EUlS11_E_NS1_11comp_targetILNS1_3genE2ELNS1_11target_archE906ELNS1_3gpuE6ELNS1_3repE0EEENS1_30default_config_static_selectorELNS0_4arch9wavefront6targetE1EEEvT1_.has_recursion, 0
	.set _ZN7rocprim17ROCPRIM_400000_NS6detail17trampoline_kernelINS0_14default_configENS1_25partition_config_selectorILNS1_17partition_subalgoE5ElNS0_10empty_typeEbEEZZNS1_14partition_implILS5_5ELb0ES3_mN6hipcub16HIPCUB_304000_NS21CountingInputIteratorIllEEPS6_NSA_22TransformInputIteratorIb7NonZeroIaEPalEENS0_5tupleIJPlS6_EEENSJ_IJSD_SD_EEES6_SK_JS6_EEE10hipError_tPvRmT3_T4_T5_T6_T7_T9_mT8_P12ihipStream_tbDpT10_ENKUlT_T0_E_clISt17integral_constantIbLb1EES16_EEDaS11_S12_EUlS11_E_NS1_11comp_targetILNS1_3genE2ELNS1_11target_archE906ELNS1_3gpuE6ELNS1_3repE0EEENS1_30default_config_static_selectorELNS0_4arch9wavefront6targetE1EEEvT1_.has_indirect_call, 0
	.section	.AMDGPU.csdata,"",@progbits
; Kernel info:
; codeLenInByte = 0
; TotalNumSgprs: 6
; NumVgprs: 0
; NumAgprs: 0
; TotalNumVgprs: 0
; ScratchSize: 0
; MemoryBound: 0
; FloatMode: 240
; IeeeMode: 1
; LDSByteSize: 0 bytes/workgroup (compile time only)
; SGPRBlocks: 0
; VGPRBlocks: 0
; NumSGPRsForWavesPerEU: 6
; NumVGPRsForWavesPerEU: 1
; AccumOffset: 4
; Occupancy: 8
; WaveLimiterHint : 0
; COMPUTE_PGM_RSRC2:SCRATCH_EN: 0
; COMPUTE_PGM_RSRC2:USER_SGPR: 2
; COMPUTE_PGM_RSRC2:TRAP_HANDLER: 0
; COMPUTE_PGM_RSRC2:TGID_X_EN: 1
; COMPUTE_PGM_RSRC2:TGID_Y_EN: 0
; COMPUTE_PGM_RSRC2:TGID_Z_EN: 0
; COMPUTE_PGM_RSRC2:TIDIG_COMP_CNT: 0
; COMPUTE_PGM_RSRC3_GFX90A:ACCUM_OFFSET: 0
; COMPUTE_PGM_RSRC3_GFX90A:TG_SPLIT: 0
	.section	.text._ZN7rocprim17ROCPRIM_400000_NS6detail17trampoline_kernelINS0_14default_configENS1_25partition_config_selectorILNS1_17partition_subalgoE5ElNS0_10empty_typeEbEEZZNS1_14partition_implILS5_5ELb0ES3_mN6hipcub16HIPCUB_304000_NS21CountingInputIteratorIllEEPS6_NSA_22TransformInputIteratorIb7NonZeroIaEPalEENS0_5tupleIJPlS6_EEENSJ_IJSD_SD_EEES6_SK_JS6_EEE10hipError_tPvRmT3_T4_T5_T6_T7_T9_mT8_P12ihipStream_tbDpT10_ENKUlT_T0_E_clISt17integral_constantIbLb1EES16_EEDaS11_S12_EUlS11_E_NS1_11comp_targetILNS1_3genE10ELNS1_11target_archE1200ELNS1_3gpuE4ELNS1_3repE0EEENS1_30default_config_static_selectorELNS0_4arch9wavefront6targetE1EEEvT1_,"axG",@progbits,_ZN7rocprim17ROCPRIM_400000_NS6detail17trampoline_kernelINS0_14default_configENS1_25partition_config_selectorILNS1_17partition_subalgoE5ElNS0_10empty_typeEbEEZZNS1_14partition_implILS5_5ELb0ES3_mN6hipcub16HIPCUB_304000_NS21CountingInputIteratorIllEEPS6_NSA_22TransformInputIteratorIb7NonZeroIaEPalEENS0_5tupleIJPlS6_EEENSJ_IJSD_SD_EEES6_SK_JS6_EEE10hipError_tPvRmT3_T4_T5_T6_T7_T9_mT8_P12ihipStream_tbDpT10_ENKUlT_T0_E_clISt17integral_constantIbLb1EES16_EEDaS11_S12_EUlS11_E_NS1_11comp_targetILNS1_3genE10ELNS1_11target_archE1200ELNS1_3gpuE4ELNS1_3repE0EEENS1_30default_config_static_selectorELNS0_4arch9wavefront6targetE1EEEvT1_,comdat
	.protected	_ZN7rocprim17ROCPRIM_400000_NS6detail17trampoline_kernelINS0_14default_configENS1_25partition_config_selectorILNS1_17partition_subalgoE5ElNS0_10empty_typeEbEEZZNS1_14partition_implILS5_5ELb0ES3_mN6hipcub16HIPCUB_304000_NS21CountingInputIteratorIllEEPS6_NSA_22TransformInputIteratorIb7NonZeroIaEPalEENS0_5tupleIJPlS6_EEENSJ_IJSD_SD_EEES6_SK_JS6_EEE10hipError_tPvRmT3_T4_T5_T6_T7_T9_mT8_P12ihipStream_tbDpT10_ENKUlT_T0_E_clISt17integral_constantIbLb1EES16_EEDaS11_S12_EUlS11_E_NS1_11comp_targetILNS1_3genE10ELNS1_11target_archE1200ELNS1_3gpuE4ELNS1_3repE0EEENS1_30default_config_static_selectorELNS0_4arch9wavefront6targetE1EEEvT1_ ; -- Begin function _ZN7rocprim17ROCPRIM_400000_NS6detail17trampoline_kernelINS0_14default_configENS1_25partition_config_selectorILNS1_17partition_subalgoE5ElNS0_10empty_typeEbEEZZNS1_14partition_implILS5_5ELb0ES3_mN6hipcub16HIPCUB_304000_NS21CountingInputIteratorIllEEPS6_NSA_22TransformInputIteratorIb7NonZeroIaEPalEENS0_5tupleIJPlS6_EEENSJ_IJSD_SD_EEES6_SK_JS6_EEE10hipError_tPvRmT3_T4_T5_T6_T7_T9_mT8_P12ihipStream_tbDpT10_ENKUlT_T0_E_clISt17integral_constantIbLb1EES16_EEDaS11_S12_EUlS11_E_NS1_11comp_targetILNS1_3genE10ELNS1_11target_archE1200ELNS1_3gpuE4ELNS1_3repE0EEENS1_30default_config_static_selectorELNS0_4arch9wavefront6targetE1EEEvT1_
	.globl	_ZN7rocprim17ROCPRIM_400000_NS6detail17trampoline_kernelINS0_14default_configENS1_25partition_config_selectorILNS1_17partition_subalgoE5ElNS0_10empty_typeEbEEZZNS1_14partition_implILS5_5ELb0ES3_mN6hipcub16HIPCUB_304000_NS21CountingInputIteratorIllEEPS6_NSA_22TransformInputIteratorIb7NonZeroIaEPalEENS0_5tupleIJPlS6_EEENSJ_IJSD_SD_EEES6_SK_JS6_EEE10hipError_tPvRmT3_T4_T5_T6_T7_T9_mT8_P12ihipStream_tbDpT10_ENKUlT_T0_E_clISt17integral_constantIbLb1EES16_EEDaS11_S12_EUlS11_E_NS1_11comp_targetILNS1_3genE10ELNS1_11target_archE1200ELNS1_3gpuE4ELNS1_3repE0EEENS1_30default_config_static_selectorELNS0_4arch9wavefront6targetE1EEEvT1_
	.p2align	8
	.type	_ZN7rocprim17ROCPRIM_400000_NS6detail17trampoline_kernelINS0_14default_configENS1_25partition_config_selectorILNS1_17partition_subalgoE5ElNS0_10empty_typeEbEEZZNS1_14partition_implILS5_5ELb0ES3_mN6hipcub16HIPCUB_304000_NS21CountingInputIteratorIllEEPS6_NSA_22TransformInputIteratorIb7NonZeroIaEPalEENS0_5tupleIJPlS6_EEENSJ_IJSD_SD_EEES6_SK_JS6_EEE10hipError_tPvRmT3_T4_T5_T6_T7_T9_mT8_P12ihipStream_tbDpT10_ENKUlT_T0_E_clISt17integral_constantIbLb1EES16_EEDaS11_S12_EUlS11_E_NS1_11comp_targetILNS1_3genE10ELNS1_11target_archE1200ELNS1_3gpuE4ELNS1_3repE0EEENS1_30default_config_static_selectorELNS0_4arch9wavefront6targetE1EEEvT1_,@function
_ZN7rocprim17ROCPRIM_400000_NS6detail17trampoline_kernelINS0_14default_configENS1_25partition_config_selectorILNS1_17partition_subalgoE5ElNS0_10empty_typeEbEEZZNS1_14partition_implILS5_5ELb0ES3_mN6hipcub16HIPCUB_304000_NS21CountingInputIteratorIllEEPS6_NSA_22TransformInputIteratorIb7NonZeroIaEPalEENS0_5tupleIJPlS6_EEENSJ_IJSD_SD_EEES6_SK_JS6_EEE10hipError_tPvRmT3_T4_T5_T6_T7_T9_mT8_P12ihipStream_tbDpT10_ENKUlT_T0_E_clISt17integral_constantIbLb1EES16_EEDaS11_S12_EUlS11_E_NS1_11comp_targetILNS1_3genE10ELNS1_11target_archE1200ELNS1_3gpuE4ELNS1_3repE0EEENS1_30default_config_static_selectorELNS0_4arch9wavefront6targetE1EEEvT1_: ; @_ZN7rocprim17ROCPRIM_400000_NS6detail17trampoline_kernelINS0_14default_configENS1_25partition_config_selectorILNS1_17partition_subalgoE5ElNS0_10empty_typeEbEEZZNS1_14partition_implILS5_5ELb0ES3_mN6hipcub16HIPCUB_304000_NS21CountingInputIteratorIllEEPS6_NSA_22TransformInputIteratorIb7NonZeroIaEPalEENS0_5tupleIJPlS6_EEENSJ_IJSD_SD_EEES6_SK_JS6_EEE10hipError_tPvRmT3_T4_T5_T6_T7_T9_mT8_P12ihipStream_tbDpT10_ENKUlT_T0_E_clISt17integral_constantIbLb1EES16_EEDaS11_S12_EUlS11_E_NS1_11comp_targetILNS1_3genE10ELNS1_11target_archE1200ELNS1_3gpuE4ELNS1_3repE0EEENS1_30default_config_static_selectorELNS0_4arch9wavefront6targetE1EEEvT1_
; %bb.0:
	.section	.rodata,"a",@progbits
	.p2align	6, 0x0
	.amdhsa_kernel _ZN7rocprim17ROCPRIM_400000_NS6detail17trampoline_kernelINS0_14default_configENS1_25partition_config_selectorILNS1_17partition_subalgoE5ElNS0_10empty_typeEbEEZZNS1_14partition_implILS5_5ELb0ES3_mN6hipcub16HIPCUB_304000_NS21CountingInputIteratorIllEEPS6_NSA_22TransformInputIteratorIb7NonZeroIaEPalEENS0_5tupleIJPlS6_EEENSJ_IJSD_SD_EEES6_SK_JS6_EEE10hipError_tPvRmT3_T4_T5_T6_T7_T9_mT8_P12ihipStream_tbDpT10_ENKUlT_T0_E_clISt17integral_constantIbLb1EES16_EEDaS11_S12_EUlS11_E_NS1_11comp_targetILNS1_3genE10ELNS1_11target_archE1200ELNS1_3gpuE4ELNS1_3repE0EEENS1_30default_config_static_selectorELNS0_4arch9wavefront6targetE1EEEvT1_
		.amdhsa_group_segment_fixed_size 0
		.amdhsa_private_segment_fixed_size 0
		.amdhsa_kernarg_size 136
		.amdhsa_user_sgpr_count 2
		.amdhsa_user_sgpr_dispatch_ptr 0
		.amdhsa_user_sgpr_queue_ptr 0
		.amdhsa_user_sgpr_kernarg_segment_ptr 1
		.amdhsa_user_sgpr_dispatch_id 0
		.amdhsa_user_sgpr_kernarg_preload_length 0
		.amdhsa_user_sgpr_kernarg_preload_offset 0
		.amdhsa_user_sgpr_private_segment_size 0
		.amdhsa_uses_dynamic_stack 0
		.amdhsa_enable_private_segment 0
		.amdhsa_system_sgpr_workgroup_id_x 1
		.amdhsa_system_sgpr_workgroup_id_y 0
		.amdhsa_system_sgpr_workgroup_id_z 0
		.amdhsa_system_sgpr_workgroup_info 0
		.amdhsa_system_vgpr_workitem_id 0
		.amdhsa_next_free_vgpr 1
		.amdhsa_next_free_sgpr 0
		.amdhsa_accum_offset 4
		.amdhsa_reserve_vcc 0
		.amdhsa_float_round_mode_32 0
		.amdhsa_float_round_mode_16_64 0
		.amdhsa_float_denorm_mode_32 3
		.amdhsa_float_denorm_mode_16_64 3
		.amdhsa_dx10_clamp 1
		.amdhsa_ieee_mode 1
		.amdhsa_fp16_overflow 0
		.amdhsa_tg_split 0
		.amdhsa_exception_fp_ieee_invalid_op 0
		.amdhsa_exception_fp_denorm_src 0
		.amdhsa_exception_fp_ieee_div_zero 0
		.amdhsa_exception_fp_ieee_overflow 0
		.amdhsa_exception_fp_ieee_underflow 0
		.amdhsa_exception_fp_ieee_inexact 0
		.amdhsa_exception_int_div_zero 0
	.end_amdhsa_kernel
	.section	.text._ZN7rocprim17ROCPRIM_400000_NS6detail17trampoline_kernelINS0_14default_configENS1_25partition_config_selectorILNS1_17partition_subalgoE5ElNS0_10empty_typeEbEEZZNS1_14partition_implILS5_5ELb0ES3_mN6hipcub16HIPCUB_304000_NS21CountingInputIteratorIllEEPS6_NSA_22TransformInputIteratorIb7NonZeroIaEPalEENS0_5tupleIJPlS6_EEENSJ_IJSD_SD_EEES6_SK_JS6_EEE10hipError_tPvRmT3_T4_T5_T6_T7_T9_mT8_P12ihipStream_tbDpT10_ENKUlT_T0_E_clISt17integral_constantIbLb1EES16_EEDaS11_S12_EUlS11_E_NS1_11comp_targetILNS1_3genE10ELNS1_11target_archE1200ELNS1_3gpuE4ELNS1_3repE0EEENS1_30default_config_static_selectorELNS0_4arch9wavefront6targetE1EEEvT1_,"axG",@progbits,_ZN7rocprim17ROCPRIM_400000_NS6detail17trampoline_kernelINS0_14default_configENS1_25partition_config_selectorILNS1_17partition_subalgoE5ElNS0_10empty_typeEbEEZZNS1_14partition_implILS5_5ELb0ES3_mN6hipcub16HIPCUB_304000_NS21CountingInputIteratorIllEEPS6_NSA_22TransformInputIteratorIb7NonZeroIaEPalEENS0_5tupleIJPlS6_EEENSJ_IJSD_SD_EEES6_SK_JS6_EEE10hipError_tPvRmT3_T4_T5_T6_T7_T9_mT8_P12ihipStream_tbDpT10_ENKUlT_T0_E_clISt17integral_constantIbLb1EES16_EEDaS11_S12_EUlS11_E_NS1_11comp_targetILNS1_3genE10ELNS1_11target_archE1200ELNS1_3gpuE4ELNS1_3repE0EEENS1_30default_config_static_selectorELNS0_4arch9wavefront6targetE1EEEvT1_,comdat
.Lfunc_end59:
	.size	_ZN7rocprim17ROCPRIM_400000_NS6detail17trampoline_kernelINS0_14default_configENS1_25partition_config_selectorILNS1_17partition_subalgoE5ElNS0_10empty_typeEbEEZZNS1_14partition_implILS5_5ELb0ES3_mN6hipcub16HIPCUB_304000_NS21CountingInputIteratorIllEEPS6_NSA_22TransformInputIteratorIb7NonZeroIaEPalEENS0_5tupleIJPlS6_EEENSJ_IJSD_SD_EEES6_SK_JS6_EEE10hipError_tPvRmT3_T4_T5_T6_T7_T9_mT8_P12ihipStream_tbDpT10_ENKUlT_T0_E_clISt17integral_constantIbLb1EES16_EEDaS11_S12_EUlS11_E_NS1_11comp_targetILNS1_3genE10ELNS1_11target_archE1200ELNS1_3gpuE4ELNS1_3repE0EEENS1_30default_config_static_selectorELNS0_4arch9wavefront6targetE1EEEvT1_, .Lfunc_end59-_ZN7rocprim17ROCPRIM_400000_NS6detail17trampoline_kernelINS0_14default_configENS1_25partition_config_selectorILNS1_17partition_subalgoE5ElNS0_10empty_typeEbEEZZNS1_14partition_implILS5_5ELb0ES3_mN6hipcub16HIPCUB_304000_NS21CountingInputIteratorIllEEPS6_NSA_22TransformInputIteratorIb7NonZeroIaEPalEENS0_5tupleIJPlS6_EEENSJ_IJSD_SD_EEES6_SK_JS6_EEE10hipError_tPvRmT3_T4_T5_T6_T7_T9_mT8_P12ihipStream_tbDpT10_ENKUlT_T0_E_clISt17integral_constantIbLb1EES16_EEDaS11_S12_EUlS11_E_NS1_11comp_targetILNS1_3genE10ELNS1_11target_archE1200ELNS1_3gpuE4ELNS1_3repE0EEENS1_30default_config_static_selectorELNS0_4arch9wavefront6targetE1EEEvT1_
                                        ; -- End function
	.set _ZN7rocprim17ROCPRIM_400000_NS6detail17trampoline_kernelINS0_14default_configENS1_25partition_config_selectorILNS1_17partition_subalgoE5ElNS0_10empty_typeEbEEZZNS1_14partition_implILS5_5ELb0ES3_mN6hipcub16HIPCUB_304000_NS21CountingInputIteratorIllEEPS6_NSA_22TransformInputIteratorIb7NonZeroIaEPalEENS0_5tupleIJPlS6_EEENSJ_IJSD_SD_EEES6_SK_JS6_EEE10hipError_tPvRmT3_T4_T5_T6_T7_T9_mT8_P12ihipStream_tbDpT10_ENKUlT_T0_E_clISt17integral_constantIbLb1EES16_EEDaS11_S12_EUlS11_E_NS1_11comp_targetILNS1_3genE10ELNS1_11target_archE1200ELNS1_3gpuE4ELNS1_3repE0EEENS1_30default_config_static_selectorELNS0_4arch9wavefront6targetE1EEEvT1_.num_vgpr, 0
	.set _ZN7rocprim17ROCPRIM_400000_NS6detail17trampoline_kernelINS0_14default_configENS1_25partition_config_selectorILNS1_17partition_subalgoE5ElNS0_10empty_typeEbEEZZNS1_14partition_implILS5_5ELb0ES3_mN6hipcub16HIPCUB_304000_NS21CountingInputIteratorIllEEPS6_NSA_22TransformInputIteratorIb7NonZeroIaEPalEENS0_5tupleIJPlS6_EEENSJ_IJSD_SD_EEES6_SK_JS6_EEE10hipError_tPvRmT3_T4_T5_T6_T7_T9_mT8_P12ihipStream_tbDpT10_ENKUlT_T0_E_clISt17integral_constantIbLb1EES16_EEDaS11_S12_EUlS11_E_NS1_11comp_targetILNS1_3genE10ELNS1_11target_archE1200ELNS1_3gpuE4ELNS1_3repE0EEENS1_30default_config_static_selectorELNS0_4arch9wavefront6targetE1EEEvT1_.num_agpr, 0
	.set _ZN7rocprim17ROCPRIM_400000_NS6detail17trampoline_kernelINS0_14default_configENS1_25partition_config_selectorILNS1_17partition_subalgoE5ElNS0_10empty_typeEbEEZZNS1_14partition_implILS5_5ELb0ES3_mN6hipcub16HIPCUB_304000_NS21CountingInputIteratorIllEEPS6_NSA_22TransformInputIteratorIb7NonZeroIaEPalEENS0_5tupleIJPlS6_EEENSJ_IJSD_SD_EEES6_SK_JS6_EEE10hipError_tPvRmT3_T4_T5_T6_T7_T9_mT8_P12ihipStream_tbDpT10_ENKUlT_T0_E_clISt17integral_constantIbLb1EES16_EEDaS11_S12_EUlS11_E_NS1_11comp_targetILNS1_3genE10ELNS1_11target_archE1200ELNS1_3gpuE4ELNS1_3repE0EEENS1_30default_config_static_selectorELNS0_4arch9wavefront6targetE1EEEvT1_.numbered_sgpr, 0
	.set _ZN7rocprim17ROCPRIM_400000_NS6detail17trampoline_kernelINS0_14default_configENS1_25partition_config_selectorILNS1_17partition_subalgoE5ElNS0_10empty_typeEbEEZZNS1_14partition_implILS5_5ELb0ES3_mN6hipcub16HIPCUB_304000_NS21CountingInputIteratorIllEEPS6_NSA_22TransformInputIteratorIb7NonZeroIaEPalEENS0_5tupleIJPlS6_EEENSJ_IJSD_SD_EEES6_SK_JS6_EEE10hipError_tPvRmT3_T4_T5_T6_T7_T9_mT8_P12ihipStream_tbDpT10_ENKUlT_T0_E_clISt17integral_constantIbLb1EES16_EEDaS11_S12_EUlS11_E_NS1_11comp_targetILNS1_3genE10ELNS1_11target_archE1200ELNS1_3gpuE4ELNS1_3repE0EEENS1_30default_config_static_selectorELNS0_4arch9wavefront6targetE1EEEvT1_.num_named_barrier, 0
	.set _ZN7rocprim17ROCPRIM_400000_NS6detail17trampoline_kernelINS0_14default_configENS1_25partition_config_selectorILNS1_17partition_subalgoE5ElNS0_10empty_typeEbEEZZNS1_14partition_implILS5_5ELb0ES3_mN6hipcub16HIPCUB_304000_NS21CountingInputIteratorIllEEPS6_NSA_22TransformInputIteratorIb7NonZeroIaEPalEENS0_5tupleIJPlS6_EEENSJ_IJSD_SD_EEES6_SK_JS6_EEE10hipError_tPvRmT3_T4_T5_T6_T7_T9_mT8_P12ihipStream_tbDpT10_ENKUlT_T0_E_clISt17integral_constantIbLb1EES16_EEDaS11_S12_EUlS11_E_NS1_11comp_targetILNS1_3genE10ELNS1_11target_archE1200ELNS1_3gpuE4ELNS1_3repE0EEENS1_30default_config_static_selectorELNS0_4arch9wavefront6targetE1EEEvT1_.private_seg_size, 0
	.set _ZN7rocprim17ROCPRIM_400000_NS6detail17trampoline_kernelINS0_14default_configENS1_25partition_config_selectorILNS1_17partition_subalgoE5ElNS0_10empty_typeEbEEZZNS1_14partition_implILS5_5ELb0ES3_mN6hipcub16HIPCUB_304000_NS21CountingInputIteratorIllEEPS6_NSA_22TransformInputIteratorIb7NonZeroIaEPalEENS0_5tupleIJPlS6_EEENSJ_IJSD_SD_EEES6_SK_JS6_EEE10hipError_tPvRmT3_T4_T5_T6_T7_T9_mT8_P12ihipStream_tbDpT10_ENKUlT_T0_E_clISt17integral_constantIbLb1EES16_EEDaS11_S12_EUlS11_E_NS1_11comp_targetILNS1_3genE10ELNS1_11target_archE1200ELNS1_3gpuE4ELNS1_3repE0EEENS1_30default_config_static_selectorELNS0_4arch9wavefront6targetE1EEEvT1_.uses_vcc, 0
	.set _ZN7rocprim17ROCPRIM_400000_NS6detail17trampoline_kernelINS0_14default_configENS1_25partition_config_selectorILNS1_17partition_subalgoE5ElNS0_10empty_typeEbEEZZNS1_14partition_implILS5_5ELb0ES3_mN6hipcub16HIPCUB_304000_NS21CountingInputIteratorIllEEPS6_NSA_22TransformInputIteratorIb7NonZeroIaEPalEENS0_5tupleIJPlS6_EEENSJ_IJSD_SD_EEES6_SK_JS6_EEE10hipError_tPvRmT3_T4_T5_T6_T7_T9_mT8_P12ihipStream_tbDpT10_ENKUlT_T0_E_clISt17integral_constantIbLb1EES16_EEDaS11_S12_EUlS11_E_NS1_11comp_targetILNS1_3genE10ELNS1_11target_archE1200ELNS1_3gpuE4ELNS1_3repE0EEENS1_30default_config_static_selectorELNS0_4arch9wavefront6targetE1EEEvT1_.uses_flat_scratch, 0
	.set _ZN7rocprim17ROCPRIM_400000_NS6detail17trampoline_kernelINS0_14default_configENS1_25partition_config_selectorILNS1_17partition_subalgoE5ElNS0_10empty_typeEbEEZZNS1_14partition_implILS5_5ELb0ES3_mN6hipcub16HIPCUB_304000_NS21CountingInputIteratorIllEEPS6_NSA_22TransformInputIteratorIb7NonZeroIaEPalEENS0_5tupleIJPlS6_EEENSJ_IJSD_SD_EEES6_SK_JS6_EEE10hipError_tPvRmT3_T4_T5_T6_T7_T9_mT8_P12ihipStream_tbDpT10_ENKUlT_T0_E_clISt17integral_constantIbLb1EES16_EEDaS11_S12_EUlS11_E_NS1_11comp_targetILNS1_3genE10ELNS1_11target_archE1200ELNS1_3gpuE4ELNS1_3repE0EEENS1_30default_config_static_selectorELNS0_4arch9wavefront6targetE1EEEvT1_.has_dyn_sized_stack, 0
	.set _ZN7rocprim17ROCPRIM_400000_NS6detail17trampoline_kernelINS0_14default_configENS1_25partition_config_selectorILNS1_17partition_subalgoE5ElNS0_10empty_typeEbEEZZNS1_14partition_implILS5_5ELb0ES3_mN6hipcub16HIPCUB_304000_NS21CountingInputIteratorIllEEPS6_NSA_22TransformInputIteratorIb7NonZeroIaEPalEENS0_5tupleIJPlS6_EEENSJ_IJSD_SD_EEES6_SK_JS6_EEE10hipError_tPvRmT3_T4_T5_T6_T7_T9_mT8_P12ihipStream_tbDpT10_ENKUlT_T0_E_clISt17integral_constantIbLb1EES16_EEDaS11_S12_EUlS11_E_NS1_11comp_targetILNS1_3genE10ELNS1_11target_archE1200ELNS1_3gpuE4ELNS1_3repE0EEENS1_30default_config_static_selectorELNS0_4arch9wavefront6targetE1EEEvT1_.has_recursion, 0
	.set _ZN7rocprim17ROCPRIM_400000_NS6detail17trampoline_kernelINS0_14default_configENS1_25partition_config_selectorILNS1_17partition_subalgoE5ElNS0_10empty_typeEbEEZZNS1_14partition_implILS5_5ELb0ES3_mN6hipcub16HIPCUB_304000_NS21CountingInputIteratorIllEEPS6_NSA_22TransformInputIteratorIb7NonZeroIaEPalEENS0_5tupleIJPlS6_EEENSJ_IJSD_SD_EEES6_SK_JS6_EEE10hipError_tPvRmT3_T4_T5_T6_T7_T9_mT8_P12ihipStream_tbDpT10_ENKUlT_T0_E_clISt17integral_constantIbLb1EES16_EEDaS11_S12_EUlS11_E_NS1_11comp_targetILNS1_3genE10ELNS1_11target_archE1200ELNS1_3gpuE4ELNS1_3repE0EEENS1_30default_config_static_selectorELNS0_4arch9wavefront6targetE1EEEvT1_.has_indirect_call, 0
	.section	.AMDGPU.csdata,"",@progbits
; Kernel info:
; codeLenInByte = 0
; TotalNumSgprs: 6
; NumVgprs: 0
; NumAgprs: 0
; TotalNumVgprs: 0
; ScratchSize: 0
; MemoryBound: 0
; FloatMode: 240
; IeeeMode: 1
; LDSByteSize: 0 bytes/workgroup (compile time only)
; SGPRBlocks: 0
; VGPRBlocks: 0
; NumSGPRsForWavesPerEU: 6
; NumVGPRsForWavesPerEU: 1
; AccumOffset: 4
; Occupancy: 8
; WaveLimiterHint : 0
; COMPUTE_PGM_RSRC2:SCRATCH_EN: 0
; COMPUTE_PGM_RSRC2:USER_SGPR: 2
; COMPUTE_PGM_RSRC2:TRAP_HANDLER: 0
; COMPUTE_PGM_RSRC2:TGID_X_EN: 1
; COMPUTE_PGM_RSRC2:TGID_Y_EN: 0
; COMPUTE_PGM_RSRC2:TGID_Z_EN: 0
; COMPUTE_PGM_RSRC2:TIDIG_COMP_CNT: 0
; COMPUTE_PGM_RSRC3_GFX90A:ACCUM_OFFSET: 0
; COMPUTE_PGM_RSRC3_GFX90A:TG_SPLIT: 0
	.section	.text._ZN7rocprim17ROCPRIM_400000_NS6detail17trampoline_kernelINS0_14default_configENS1_25partition_config_selectorILNS1_17partition_subalgoE5ElNS0_10empty_typeEbEEZZNS1_14partition_implILS5_5ELb0ES3_mN6hipcub16HIPCUB_304000_NS21CountingInputIteratorIllEEPS6_NSA_22TransformInputIteratorIb7NonZeroIaEPalEENS0_5tupleIJPlS6_EEENSJ_IJSD_SD_EEES6_SK_JS6_EEE10hipError_tPvRmT3_T4_T5_T6_T7_T9_mT8_P12ihipStream_tbDpT10_ENKUlT_T0_E_clISt17integral_constantIbLb1EES16_EEDaS11_S12_EUlS11_E_NS1_11comp_targetILNS1_3genE9ELNS1_11target_archE1100ELNS1_3gpuE3ELNS1_3repE0EEENS1_30default_config_static_selectorELNS0_4arch9wavefront6targetE1EEEvT1_,"axG",@progbits,_ZN7rocprim17ROCPRIM_400000_NS6detail17trampoline_kernelINS0_14default_configENS1_25partition_config_selectorILNS1_17partition_subalgoE5ElNS0_10empty_typeEbEEZZNS1_14partition_implILS5_5ELb0ES3_mN6hipcub16HIPCUB_304000_NS21CountingInputIteratorIllEEPS6_NSA_22TransformInputIteratorIb7NonZeroIaEPalEENS0_5tupleIJPlS6_EEENSJ_IJSD_SD_EEES6_SK_JS6_EEE10hipError_tPvRmT3_T4_T5_T6_T7_T9_mT8_P12ihipStream_tbDpT10_ENKUlT_T0_E_clISt17integral_constantIbLb1EES16_EEDaS11_S12_EUlS11_E_NS1_11comp_targetILNS1_3genE9ELNS1_11target_archE1100ELNS1_3gpuE3ELNS1_3repE0EEENS1_30default_config_static_selectorELNS0_4arch9wavefront6targetE1EEEvT1_,comdat
	.protected	_ZN7rocprim17ROCPRIM_400000_NS6detail17trampoline_kernelINS0_14default_configENS1_25partition_config_selectorILNS1_17partition_subalgoE5ElNS0_10empty_typeEbEEZZNS1_14partition_implILS5_5ELb0ES3_mN6hipcub16HIPCUB_304000_NS21CountingInputIteratorIllEEPS6_NSA_22TransformInputIteratorIb7NonZeroIaEPalEENS0_5tupleIJPlS6_EEENSJ_IJSD_SD_EEES6_SK_JS6_EEE10hipError_tPvRmT3_T4_T5_T6_T7_T9_mT8_P12ihipStream_tbDpT10_ENKUlT_T0_E_clISt17integral_constantIbLb1EES16_EEDaS11_S12_EUlS11_E_NS1_11comp_targetILNS1_3genE9ELNS1_11target_archE1100ELNS1_3gpuE3ELNS1_3repE0EEENS1_30default_config_static_selectorELNS0_4arch9wavefront6targetE1EEEvT1_ ; -- Begin function _ZN7rocprim17ROCPRIM_400000_NS6detail17trampoline_kernelINS0_14default_configENS1_25partition_config_selectorILNS1_17partition_subalgoE5ElNS0_10empty_typeEbEEZZNS1_14partition_implILS5_5ELb0ES3_mN6hipcub16HIPCUB_304000_NS21CountingInputIteratorIllEEPS6_NSA_22TransformInputIteratorIb7NonZeroIaEPalEENS0_5tupleIJPlS6_EEENSJ_IJSD_SD_EEES6_SK_JS6_EEE10hipError_tPvRmT3_T4_T5_T6_T7_T9_mT8_P12ihipStream_tbDpT10_ENKUlT_T0_E_clISt17integral_constantIbLb1EES16_EEDaS11_S12_EUlS11_E_NS1_11comp_targetILNS1_3genE9ELNS1_11target_archE1100ELNS1_3gpuE3ELNS1_3repE0EEENS1_30default_config_static_selectorELNS0_4arch9wavefront6targetE1EEEvT1_
	.globl	_ZN7rocprim17ROCPRIM_400000_NS6detail17trampoline_kernelINS0_14default_configENS1_25partition_config_selectorILNS1_17partition_subalgoE5ElNS0_10empty_typeEbEEZZNS1_14partition_implILS5_5ELb0ES3_mN6hipcub16HIPCUB_304000_NS21CountingInputIteratorIllEEPS6_NSA_22TransformInputIteratorIb7NonZeroIaEPalEENS0_5tupleIJPlS6_EEENSJ_IJSD_SD_EEES6_SK_JS6_EEE10hipError_tPvRmT3_T4_T5_T6_T7_T9_mT8_P12ihipStream_tbDpT10_ENKUlT_T0_E_clISt17integral_constantIbLb1EES16_EEDaS11_S12_EUlS11_E_NS1_11comp_targetILNS1_3genE9ELNS1_11target_archE1100ELNS1_3gpuE3ELNS1_3repE0EEENS1_30default_config_static_selectorELNS0_4arch9wavefront6targetE1EEEvT1_
	.p2align	8
	.type	_ZN7rocprim17ROCPRIM_400000_NS6detail17trampoline_kernelINS0_14default_configENS1_25partition_config_selectorILNS1_17partition_subalgoE5ElNS0_10empty_typeEbEEZZNS1_14partition_implILS5_5ELb0ES3_mN6hipcub16HIPCUB_304000_NS21CountingInputIteratorIllEEPS6_NSA_22TransformInputIteratorIb7NonZeroIaEPalEENS0_5tupleIJPlS6_EEENSJ_IJSD_SD_EEES6_SK_JS6_EEE10hipError_tPvRmT3_T4_T5_T6_T7_T9_mT8_P12ihipStream_tbDpT10_ENKUlT_T0_E_clISt17integral_constantIbLb1EES16_EEDaS11_S12_EUlS11_E_NS1_11comp_targetILNS1_3genE9ELNS1_11target_archE1100ELNS1_3gpuE3ELNS1_3repE0EEENS1_30default_config_static_selectorELNS0_4arch9wavefront6targetE1EEEvT1_,@function
_ZN7rocprim17ROCPRIM_400000_NS6detail17trampoline_kernelINS0_14default_configENS1_25partition_config_selectorILNS1_17partition_subalgoE5ElNS0_10empty_typeEbEEZZNS1_14partition_implILS5_5ELb0ES3_mN6hipcub16HIPCUB_304000_NS21CountingInputIteratorIllEEPS6_NSA_22TransformInputIteratorIb7NonZeroIaEPalEENS0_5tupleIJPlS6_EEENSJ_IJSD_SD_EEES6_SK_JS6_EEE10hipError_tPvRmT3_T4_T5_T6_T7_T9_mT8_P12ihipStream_tbDpT10_ENKUlT_T0_E_clISt17integral_constantIbLb1EES16_EEDaS11_S12_EUlS11_E_NS1_11comp_targetILNS1_3genE9ELNS1_11target_archE1100ELNS1_3gpuE3ELNS1_3repE0EEENS1_30default_config_static_selectorELNS0_4arch9wavefront6targetE1EEEvT1_: ; @_ZN7rocprim17ROCPRIM_400000_NS6detail17trampoline_kernelINS0_14default_configENS1_25partition_config_selectorILNS1_17partition_subalgoE5ElNS0_10empty_typeEbEEZZNS1_14partition_implILS5_5ELb0ES3_mN6hipcub16HIPCUB_304000_NS21CountingInputIteratorIllEEPS6_NSA_22TransformInputIteratorIb7NonZeroIaEPalEENS0_5tupleIJPlS6_EEENSJ_IJSD_SD_EEES6_SK_JS6_EEE10hipError_tPvRmT3_T4_T5_T6_T7_T9_mT8_P12ihipStream_tbDpT10_ENKUlT_T0_E_clISt17integral_constantIbLb1EES16_EEDaS11_S12_EUlS11_E_NS1_11comp_targetILNS1_3genE9ELNS1_11target_archE1100ELNS1_3gpuE3ELNS1_3repE0EEENS1_30default_config_static_selectorELNS0_4arch9wavefront6targetE1EEEvT1_
; %bb.0:
	.section	.rodata,"a",@progbits
	.p2align	6, 0x0
	.amdhsa_kernel _ZN7rocprim17ROCPRIM_400000_NS6detail17trampoline_kernelINS0_14default_configENS1_25partition_config_selectorILNS1_17partition_subalgoE5ElNS0_10empty_typeEbEEZZNS1_14partition_implILS5_5ELb0ES3_mN6hipcub16HIPCUB_304000_NS21CountingInputIteratorIllEEPS6_NSA_22TransformInputIteratorIb7NonZeroIaEPalEENS0_5tupleIJPlS6_EEENSJ_IJSD_SD_EEES6_SK_JS6_EEE10hipError_tPvRmT3_T4_T5_T6_T7_T9_mT8_P12ihipStream_tbDpT10_ENKUlT_T0_E_clISt17integral_constantIbLb1EES16_EEDaS11_S12_EUlS11_E_NS1_11comp_targetILNS1_3genE9ELNS1_11target_archE1100ELNS1_3gpuE3ELNS1_3repE0EEENS1_30default_config_static_selectorELNS0_4arch9wavefront6targetE1EEEvT1_
		.amdhsa_group_segment_fixed_size 0
		.amdhsa_private_segment_fixed_size 0
		.amdhsa_kernarg_size 136
		.amdhsa_user_sgpr_count 2
		.amdhsa_user_sgpr_dispatch_ptr 0
		.amdhsa_user_sgpr_queue_ptr 0
		.amdhsa_user_sgpr_kernarg_segment_ptr 1
		.amdhsa_user_sgpr_dispatch_id 0
		.amdhsa_user_sgpr_kernarg_preload_length 0
		.amdhsa_user_sgpr_kernarg_preload_offset 0
		.amdhsa_user_sgpr_private_segment_size 0
		.amdhsa_uses_dynamic_stack 0
		.amdhsa_enable_private_segment 0
		.amdhsa_system_sgpr_workgroup_id_x 1
		.amdhsa_system_sgpr_workgroup_id_y 0
		.amdhsa_system_sgpr_workgroup_id_z 0
		.amdhsa_system_sgpr_workgroup_info 0
		.amdhsa_system_vgpr_workitem_id 0
		.amdhsa_next_free_vgpr 1
		.amdhsa_next_free_sgpr 0
		.amdhsa_accum_offset 4
		.amdhsa_reserve_vcc 0
		.amdhsa_float_round_mode_32 0
		.amdhsa_float_round_mode_16_64 0
		.amdhsa_float_denorm_mode_32 3
		.amdhsa_float_denorm_mode_16_64 3
		.amdhsa_dx10_clamp 1
		.amdhsa_ieee_mode 1
		.amdhsa_fp16_overflow 0
		.amdhsa_tg_split 0
		.amdhsa_exception_fp_ieee_invalid_op 0
		.amdhsa_exception_fp_denorm_src 0
		.amdhsa_exception_fp_ieee_div_zero 0
		.amdhsa_exception_fp_ieee_overflow 0
		.amdhsa_exception_fp_ieee_underflow 0
		.amdhsa_exception_fp_ieee_inexact 0
		.amdhsa_exception_int_div_zero 0
	.end_amdhsa_kernel
	.section	.text._ZN7rocprim17ROCPRIM_400000_NS6detail17trampoline_kernelINS0_14default_configENS1_25partition_config_selectorILNS1_17partition_subalgoE5ElNS0_10empty_typeEbEEZZNS1_14partition_implILS5_5ELb0ES3_mN6hipcub16HIPCUB_304000_NS21CountingInputIteratorIllEEPS6_NSA_22TransformInputIteratorIb7NonZeroIaEPalEENS0_5tupleIJPlS6_EEENSJ_IJSD_SD_EEES6_SK_JS6_EEE10hipError_tPvRmT3_T4_T5_T6_T7_T9_mT8_P12ihipStream_tbDpT10_ENKUlT_T0_E_clISt17integral_constantIbLb1EES16_EEDaS11_S12_EUlS11_E_NS1_11comp_targetILNS1_3genE9ELNS1_11target_archE1100ELNS1_3gpuE3ELNS1_3repE0EEENS1_30default_config_static_selectorELNS0_4arch9wavefront6targetE1EEEvT1_,"axG",@progbits,_ZN7rocprim17ROCPRIM_400000_NS6detail17trampoline_kernelINS0_14default_configENS1_25partition_config_selectorILNS1_17partition_subalgoE5ElNS0_10empty_typeEbEEZZNS1_14partition_implILS5_5ELb0ES3_mN6hipcub16HIPCUB_304000_NS21CountingInputIteratorIllEEPS6_NSA_22TransformInputIteratorIb7NonZeroIaEPalEENS0_5tupleIJPlS6_EEENSJ_IJSD_SD_EEES6_SK_JS6_EEE10hipError_tPvRmT3_T4_T5_T6_T7_T9_mT8_P12ihipStream_tbDpT10_ENKUlT_T0_E_clISt17integral_constantIbLb1EES16_EEDaS11_S12_EUlS11_E_NS1_11comp_targetILNS1_3genE9ELNS1_11target_archE1100ELNS1_3gpuE3ELNS1_3repE0EEENS1_30default_config_static_selectorELNS0_4arch9wavefront6targetE1EEEvT1_,comdat
.Lfunc_end60:
	.size	_ZN7rocprim17ROCPRIM_400000_NS6detail17trampoline_kernelINS0_14default_configENS1_25partition_config_selectorILNS1_17partition_subalgoE5ElNS0_10empty_typeEbEEZZNS1_14partition_implILS5_5ELb0ES3_mN6hipcub16HIPCUB_304000_NS21CountingInputIteratorIllEEPS6_NSA_22TransformInputIteratorIb7NonZeroIaEPalEENS0_5tupleIJPlS6_EEENSJ_IJSD_SD_EEES6_SK_JS6_EEE10hipError_tPvRmT3_T4_T5_T6_T7_T9_mT8_P12ihipStream_tbDpT10_ENKUlT_T0_E_clISt17integral_constantIbLb1EES16_EEDaS11_S12_EUlS11_E_NS1_11comp_targetILNS1_3genE9ELNS1_11target_archE1100ELNS1_3gpuE3ELNS1_3repE0EEENS1_30default_config_static_selectorELNS0_4arch9wavefront6targetE1EEEvT1_, .Lfunc_end60-_ZN7rocprim17ROCPRIM_400000_NS6detail17trampoline_kernelINS0_14default_configENS1_25partition_config_selectorILNS1_17partition_subalgoE5ElNS0_10empty_typeEbEEZZNS1_14partition_implILS5_5ELb0ES3_mN6hipcub16HIPCUB_304000_NS21CountingInputIteratorIllEEPS6_NSA_22TransformInputIteratorIb7NonZeroIaEPalEENS0_5tupleIJPlS6_EEENSJ_IJSD_SD_EEES6_SK_JS6_EEE10hipError_tPvRmT3_T4_T5_T6_T7_T9_mT8_P12ihipStream_tbDpT10_ENKUlT_T0_E_clISt17integral_constantIbLb1EES16_EEDaS11_S12_EUlS11_E_NS1_11comp_targetILNS1_3genE9ELNS1_11target_archE1100ELNS1_3gpuE3ELNS1_3repE0EEENS1_30default_config_static_selectorELNS0_4arch9wavefront6targetE1EEEvT1_
                                        ; -- End function
	.set _ZN7rocprim17ROCPRIM_400000_NS6detail17trampoline_kernelINS0_14default_configENS1_25partition_config_selectorILNS1_17partition_subalgoE5ElNS0_10empty_typeEbEEZZNS1_14partition_implILS5_5ELb0ES3_mN6hipcub16HIPCUB_304000_NS21CountingInputIteratorIllEEPS6_NSA_22TransformInputIteratorIb7NonZeroIaEPalEENS0_5tupleIJPlS6_EEENSJ_IJSD_SD_EEES6_SK_JS6_EEE10hipError_tPvRmT3_T4_T5_T6_T7_T9_mT8_P12ihipStream_tbDpT10_ENKUlT_T0_E_clISt17integral_constantIbLb1EES16_EEDaS11_S12_EUlS11_E_NS1_11comp_targetILNS1_3genE9ELNS1_11target_archE1100ELNS1_3gpuE3ELNS1_3repE0EEENS1_30default_config_static_selectorELNS0_4arch9wavefront6targetE1EEEvT1_.num_vgpr, 0
	.set _ZN7rocprim17ROCPRIM_400000_NS6detail17trampoline_kernelINS0_14default_configENS1_25partition_config_selectorILNS1_17partition_subalgoE5ElNS0_10empty_typeEbEEZZNS1_14partition_implILS5_5ELb0ES3_mN6hipcub16HIPCUB_304000_NS21CountingInputIteratorIllEEPS6_NSA_22TransformInputIteratorIb7NonZeroIaEPalEENS0_5tupleIJPlS6_EEENSJ_IJSD_SD_EEES6_SK_JS6_EEE10hipError_tPvRmT3_T4_T5_T6_T7_T9_mT8_P12ihipStream_tbDpT10_ENKUlT_T0_E_clISt17integral_constantIbLb1EES16_EEDaS11_S12_EUlS11_E_NS1_11comp_targetILNS1_3genE9ELNS1_11target_archE1100ELNS1_3gpuE3ELNS1_3repE0EEENS1_30default_config_static_selectorELNS0_4arch9wavefront6targetE1EEEvT1_.num_agpr, 0
	.set _ZN7rocprim17ROCPRIM_400000_NS6detail17trampoline_kernelINS0_14default_configENS1_25partition_config_selectorILNS1_17partition_subalgoE5ElNS0_10empty_typeEbEEZZNS1_14partition_implILS5_5ELb0ES3_mN6hipcub16HIPCUB_304000_NS21CountingInputIteratorIllEEPS6_NSA_22TransformInputIteratorIb7NonZeroIaEPalEENS0_5tupleIJPlS6_EEENSJ_IJSD_SD_EEES6_SK_JS6_EEE10hipError_tPvRmT3_T4_T5_T6_T7_T9_mT8_P12ihipStream_tbDpT10_ENKUlT_T0_E_clISt17integral_constantIbLb1EES16_EEDaS11_S12_EUlS11_E_NS1_11comp_targetILNS1_3genE9ELNS1_11target_archE1100ELNS1_3gpuE3ELNS1_3repE0EEENS1_30default_config_static_selectorELNS0_4arch9wavefront6targetE1EEEvT1_.numbered_sgpr, 0
	.set _ZN7rocprim17ROCPRIM_400000_NS6detail17trampoline_kernelINS0_14default_configENS1_25partition_config_selectorILNS1_17partition_subalgoE5ElNS0_10empty_typeEbEEZZNS1_14partition_implILS5_5ELb0ES3_mN6hipcub16HIPCUB_304000_NS21CountingInputIteratorIllEEPS6_NSA_22TransformInputIteratorIb7NonZeroIaEPalEENS0_5tupleIJPlS6_EEENSJ_IJSD_SD_EEES6_SK_JS6_EEE10hipError_tPvRmT3_T4_T5_T6_T7_T9_mT8_P12ihipStream_tbDpT10_ENKUlT_T0_E_clISt17integral_constantIbLb1EES16_EEDaS11_S12_EUlS11_E_NS1_11comp_targetILNS1_3genE9ELNS1_11target_archE1100ELNS1_3gpuE3ELNS1_3repE0EEENS1_30default_config_static_selectorELNS0_4arch9wavefront6targetE1EEEvT1_.num_named_barrier, 0
	.set _ZN7rocprim17ROCPRIM_400000_NS6detail17trampoline_kernelINS0_14default_configENS1_25partition_config_selectorILNS1_17partition_subalgoE5ElNS0_10empty_typeEbEEZZNS1_14partition_implILS5_5ELb0ES3_mN6hipcub16HIPCUB_304000_NS21CountingInputIteratorIllEEPS6_NSA_22TransformInputIteratorIb7NonZeroIaEPalEENS0_5tupleIJPlS6_EEENSJ_IJSD_SD_EEES6_SK_JS6_EEE10hipError_tPvRmT3_T4_T5_T6_T7_T9_mT8_P12ihipStream_tbDpT10_ENKUlT_T0_E_clISt17integral_constantIbLb1EES16_EEDaS11_S12_EUlS11_E_NS1_11comp_targetILNS1_3genE9ELNS1_11target_archE1100ELNS1_3gpuE3ELNS1_3repE0EEENS1_30default_config_static_selectorELNS0_4arch9wavefront6targetE1EEEvT1_.private_seg_size, 0
	.set _ZN7rocprim17ROCPRIM_400000_NS6detail17trampoline_kernelINS0_14default_configENS1_25partition_config_selectorILNS1_17partition_subalgoE5ElNS0_10empty_typeEbEEZZNS1_14partition_implILS5_5ELb0ES3_mN6hipcub16HIPCUB_304000_NS21CountingInputIteratorIllEEPS6_NSA_22TransformInputIteratorIb7NonZeroIaEPalEENS0_5tupleIJPlS6_EEENSJ_IJSD_SD_EEES6_SK_JS6_EEE10hipError_tPvRmT3_T4_T5_T6_T7_T9_mT8_P12ihipStream_tbDpT10_ENKUlT_T0_E_clISt17integral_constantIbLb1EES16_EEDaS11_S12_EUlS11_E_NS1_11comp_targetILNS1_3genE9ELNS1_11target_archE1100ELNS1_3gpuE3ELNS1_3repE0EEENS1_30default_config_static_selectorELNS0_4arch9wavefront6targetE1EEEvT1_.uses_vcc, 0
	.set _ZN7rocprim17ROCPRIM_400000_NS6detail17trampoline_kernelINS0_14default_configENS1_25partition_config_selectorILNS1_17partition_subalgoE5ElNS0_10empty_typeEbEEZZNS1_14partition_implILS5_5ELb0ES3_mN6hipcub16HIPCUB_304000_NS21CountingInputIteratorIllEEPS6_NSA_22TransformInputIteratorIb7NonZeroIaEPalEENS0_5tupleIJPlS6_EEENSJ_IJSD_SD_EEES6_SK_JS6_EEE10hipError_tPvRmT3_T4_T5_T6_T7_T9_mT8_P12ihipStream_tbDpT10_ENKUlT_T0_E_clISt17integral_constantIbLb1EES16_EEDaS11_S12_EUlS11_E_NS1_11comp_targetILNS1_3genE9ELNS1_11target_archE1100ELNS1_3gpuE3ELNS1_3repE0EEENS1_30default_config_static_selectorELNS0_4arch9wavefront6targetE1EEEvT1_.uses_flat_scratch, 0
	.set _ZN7rocprim17ROCPRIM_400000_NS6detail17trampoline_kernelINS0_14default_configENS1_25partition_config_selectorILNS1_17partition_subalgoE5ElNS0_10empty_typeEbEEZZNS1_14partition_implILS5_5ELb0ES3_mN6hipcub16HIPCUB_304000_NS21CountingInputIteratorIllEEPS6_NSA_22TransformInputIteratorIb7NonZeroIaEPalEENS0_5tupleIJPlS6_EEENSJ_IJSD_SD_EEES6_SK_JS6_EEE10hipError_tPvRmT3_T4_T5_T6_T7_T9_mT8_P12ihipStream_tbDpT10_ENKUlT_T0_E_clISt17integral_constantIbLb1EES16_EEDaS11_S12_EUlS11_E_NS1_11comp_targetILNS1_3genE9ELNS1_11target_archE1100ELNS1_3gpuE3ELNS1_3repE0EEENS1_30default_config_static_selectorELNS0_4arch9wavefront6targetE1EEEvT1_.has_dyn_sized_stack, 0
	.set _ZN7rocprim17ROCPRIM_400000_NS6detail17trampoline_kernelINS0_14default_configENS1_25partition_config_selectorILNS1_17partition_subalgoE5ElNS0_10empty_typeEbEEZZNS1_14partition_implILS5_5ELb0ES3_mN6hipcub16HIPCUB_304000_NS21CountingInputIteratorIllEEPS6_NSA_22TransformInputIteratorIb7NonZeroIaEPalEENS0_5tupleIJPlS6_EEENSJ_IJSD_SD_EEES6_SK_JS6_EEE10hipError_tPvRmT3_T4_T5_T6_T7_T9_mT8_P12ihipStream_tbDpT10_ENKUlT_T0_E_clISt17integral_constantIbLb1EES16_EEDaS11_S12_EUlS11_E_NS1_11comp_targetILNS1_3genE9ELNS1_11target_archE1100ELNS1_3gpuE3ELNS1_3repE0EEENS1_30default_config_static_selectorELNS0_4arch9wavefront6targetE1EEEvT1_.has_recursion, 0
	.set _ZN7rocprim17ROCPRIM_400000_NS6detail17trampoline_kernelINS0_14default_configENS1_25partition_config_selectorILNS1_17partition_subalgoE5ElNS0_10empty_typeEbEEZZNS1_14partition_implILS5_5ELb0ES3_mN6hipcub16HIPCUB_304000_NS21CountingInputIteratorIllEEPS6_NSA_22TransformInputIteratorIb7NonZeroIaEPalEENS0_5tupleIJPlS6_EEENSJ_IJSD_SD_EEES6_SK_JS6_EEE10hipError_tPvRmT3_T4_T5_T6_T7_T9_mT8_P12ihipStream_tbDpT10_ENKUlT_T0_E_clISt17integral_constantIbLb1EES16_EEDaS11_S12_EUlS11_E_NS1_11comp_targetILNS1_3genE9ELNS1_11target_archE1100ELNS1_3gpuE3ELNS1_3repE0EEENS1_30default_config_static_selectorELNS0_4arch9wavefront6targetE1EEEvT1_.has_indirect_call, 0
	.section	.AMDGPU.csdata,"",@progbits
; Kernel info:
; codeLenInByte = 0
; TotalNumSgprs: 6
; NumVgprs: 0
; NumAgprs: 0
; TotalNumVgprs: 0
; ScratchSize: 0
; MemoryBound: 0
; FloatMode: 240
; IeeeMode: 1
; LDSByteSize: 0 bytes/workgroup (compile time only)
; SGPRBlocks: 0
; VGPRBlocks: 0
; NumSGPRsForWavesPerEU: 6
; NumVGPRsForWavesPerEU: 1
; AccumOffset: 4
; Occupancy: 8
; WaveLimiterHint : 0
; COMPUTE_PGM_RSRC2:SCRATCH_EN: 0
; COMPUTE_PGM_RSRC2:USER_SGPR: 2
; COMPUTE_PGM_RSRC2:TRAP_HANDLER: 0
; COMPUTE_PGM_RSRC2:TGID_X_EN: 1
; COMPUTE_PGM_RSRC2:TGID_Y_EN: 0
; COMPUTE_PGM_RSRC2:TGID_Z_EN: 0
; COMPUTE_PGM_RSRC2:TIDIG_COMP_CNT: 0
; COMPUTE_PGM_RSRC3_GFX90A:ACCUM_OFFSET: 0
; COMPUTE_PGM_RSRC3_GFX90A:TG_SPLIT: 0
	.section	.text._ZN7rocprim17ROCPRIM_400000_NS6detail17trampoline_kernelINS0_14default_configENS1_25partition_config_selectorILNS1_17partition_subalgoE5ElNS0_10empty_typeEbEEZZNS1_14partition_implILS5_5ELb0ES3_mN6hipcub16HIPCUB_304000_NS21CountingInputIteratorIllEEPS6_NSA_22TransformInputIteratorIb7NonZeroIaEPalEENS0_5tupleIJPlS6_EEENSJ_IJSD_SD_EEES6_SK_JS6_EEE10hipError_tPvRmT3_T4_T5_T6_T7_T9_mT8_P12ihipStream_tbDpT10_ENKUlT_T0_E_clISt17integral_constantIbLb1EES16_EEDaS11_S12_EUlS11_E_NS1_11comp_targetILNS1_3genE8ELNS1_11target_archE1030ELNS1_3gpuE2ELNS1_3repE0EEENS1_30default_config_static_selectorELNS0_4arch9wavefront6targetE1EEEvT1_,"axG",@progbits,_ZN7rocprim17ROCPRIM_400000_NS6detail17trampoline_kernelINS0_14default_configENS1_25partition_config_selectorILNS1_17partition_subalgoE5ElNS0_10empty_typeEbEEZZNS1_14partition_implILS5_5ELb0ES3_mN6hipcub16HIPCUB_304000_NS21CountingInputIteratorIllEEPS6_NSA_22TransformInputIteratorIb7NonZeroIaEPalEENS0_5tupleIJPlS6_EEENSJ_IJSD_SD_EEES6_SK_JS6_EEE10hipError_tPvRmT3_T4_T5_T6_T7_T9_mT8_P12ihipStream_tbDpT10_ENKUlT_T0_E_clISt17integral_constantIbLb1EES16_EEDaS11_S12_EUlS11_E_NS1_11comp_targetILNS1_3genE8ELNS1_11target_archE1030ELNS1_3gpuE2ELNS1_3repE0EEENS1_30default_config_static_selectorELNS0_4arch9wavefront6targetE1EEEvT1_,comdat
	.protected	_ZN7rocprim17ROCPRIM_400000_NS6detail17trampoline_kernelINS0_14default_configENS1_25partition_config_selectorILNS1_17partition_subalgoE5ElNS0_10empty_typeEbEEZZNS1_14partition_implILS5_5ELb0ES3_mN6hipcub16HIPCUB_304000_NS21CountingInputIteratorIllEEPS6_NSA_22TransformInputIteratorIb7NonZeroIaEPalEENS0_5tupleIJPlS6_EEENSJ_IJSD_SD_EEES6_SK_JS6_EEE10hipError_tPvRmT3_T4_T5_T6_T7_T9_mT8_P12ihipStream_tbDpT10_ENKUlT_T0_E_clISt17integral_constantIbLb1EES16_EEDaS11_S12_EUlS11_E_NS1_11comp_targetILNS1_3genE8ELNS1_11target_archE1030ELNS1_3gpuE2ELNS1_3repE0EEENS1_30default_config_static_selectorELNS0_4arch9wavefront6targetE1EEEvT1_ ; -- Begin function _ZN7rocprim17ROCPRIM_400000_NS6detail17trampoline_kernelINS0_14default_configENS1_25partition_config_selectorILNS1_17partition_subalgoE5ElNS0_10empty_typeEbEEZZNS1_14partition_implILS5_5ELb0ES3_mN6hipcub16HIPCUB_304000_NS21CountingInputIteratorIllEEPS6_NSA_22TransformInputIteratorIb7NonZeroIaEPalEENS0_5tupleIJPlS6_EEENSJ_IJSD_SD_EEES6_SK_JS6_EEE10hipError_tPvRmT3_T4_T5_T6_T7_T9_mT8_P12ihipStream_tbDpT10_ENKUlT_T0_E_clISt17integral_constantIbLb1EES16_EEDaS11_S12_EUlS11_E_NS1_11comp_targetILNS1_3genE8ELNS1_11target_archE1030ELNS1_3gpuE2ELNS1_3repE0EEENS1_30default_config_static_selectorELNS0_4arch9wavefront6targetE1EEEvT1_
	.globl	_ZN7rocprim17ROCPRIM_400000_NS6detail17trampoline_kernelINS0_14default_configENS1_25partition_config_selectorILNS1_17partition_subalgoE5ElNS0_10empty_typeEbEEZZNS1_14partition_implILS5_5ELb0ES3_mN6hipcub16HIPCUB_304000_NS21CountingInputIteratorIllEEPS6_NSA_22TransformInputIteratorIb7NonZeroIaEPalEENS0_5tupleIJPlS6_EEENSJ_IJSD_SD_EEES6_SK_JS6_EEE10hipError_tPvRmT3_T4_T5_T6_T7_T9_mT8_P12ihipStream_tbDpT10_ENKUlT_T0_E_clISt17integral_constantIbLb1EES16_EEDaS11_S12_EUlS11_E_NS1_11comp_targetILNS1_3genE8ELNS1_11target_archE1030ELNS1_3gpuE2ELNS1_3repE0EEENS1_30default_config_static_selectorELNS0_4arch9wavefront6targetE1EEEvT1_
	.p2align	8
	.type	_ZN7rocprim17ROCPRIM_400000_NS6detail17trampoline_kernelINS0_14default_configENS1_25partition_config_selectorILNS1_17partition_subalgoE5ElNS0_10empty_typeEbEEZZNS1_14partition_implILS5_5ELb0ES3_mN6hipcub16HIPCUB_304000_NS21CountingInputIteratorIllEEPS6_NSA_22TransformInputIteratorIb7NonZeroIaEPalEENS0_5tupleIJPlS6_EEENSJ_IJSD_SD_EEES6_SK_JS6_EEE10hipError_tPvRmT3_T4_T5_T6_T7_T9_mT8_P12ihipStream_tbDpT10_ENKUlT_T0_E_clISt17integral_constantIbLb1EES16_EEDaS11_S12_EUlS11_E_NS1_11comp_targetILNS1_3genE8ELNS1_11target_archE1030ELNS1_3gpuE2ELNS1_3repE0EEENS1_30default_config_static_selectorELNS0_4arch9wavefront6targetE1EEEvT1_,@function
_ZN7rocprim17ROCPRIM_400000_NS6detail17trampoline_kernelINS0_14default_configENS1_25partition_config_selectorILNS1_17partition_subalgoE5ElNS0_10empty_typeEbEEZZNS1_14partition_implILS5_5ELb0ES3_mN6hipcub16HIPCUB_304000_NS21CountingInputIteratorIllEEPS6_NSA_22TransformInputIteratorIb7NonZeroIaEPalEENS0_5tupleIJPlS6_EEENSJ_IJSD_SD_EEES6_SK_JS6_EEE10hipError_tPvRmT3_T4_T5_T6_T7_T9_mT8_P12ihipStream_tbDpT10_ENKUlT_T0_E_clISt17integral_constantIbLb1EES16_EEDaS11_S12_EUlS11_E_NS1_11comp_targetILNS1_3genE8ELNS1_11target_archE1030ELNS1_3gpuE2ELNS1_3repE0EEENS1_30default_config_static_selectorELNS0_4arch9wavefront6targetE1EEEvT1_: ; @_ZN7rocprim17ROCPRIM_400000_NS6detail17trampoline_kernelINS0_14default_configENS1_25partition_config_selectorILNS1_17partition_subalgoE5ElNS0_10empty_typeEbEEZZNS1_14partition_implILS5_5ELb0ES3_mN6hipcub16HIPCUB_304000_NS21CountingInputIteratorIllEEPS6_NSA_22TransformInputIteratorIb7NonZeroIaEPalEENS0_5tupleIJPlS6_EEENSJ_IJSD_SD_EEES6_SK_JS6_EEE10hipError_tPvRmT3_T4_T5_T6_T7_T9_mT8_P12ihipStream_tbDpT10_ENKUlT_T0_E_clISt17integral_constantIbLb1EES16_EEDaS11_S12_EUlS11_E_NS1_11comp_targetILNS1_3genE8ELNS1_11target_archE1030ELNS1_3gpuE2ELNS1_3repE0EEENS1_30default_config_static_selectorELNS0_4arch9wavefront6targetE1EEEvT1_
; %bb.0:
	.section	.rodata,"a",@progbits
	.p2align	6, 0x0
	.amdhsa_kernel _ZN7rocprim17ROCPRIM_400000_NS6detail17trampoline_kernelINS0_14default_configENS1_25partition_config_selectorILNS1_17partition_subalgoE5ElNS0_10empty_typeEbEEZZNS1_14partition_implILS5_5ELb0ES3_mN6hipcub16HIPCUB_304000_NS21CountingInputIteratorIllEEPS6_NSA_22TransformInputIteratorIb7NonZeroIaEPalEENS0_5tupleIJPlS6_EEENSJ_IJSD_SD_EEES6_SK_JS6_EEE10hipError_tPvRmT3_T4_T5_T6_T7_T9_mT8_P12ihipStream_tbDpT10_ENKUlT_T0_E_clISt17integral_constantIbLb1EES16_EEDaS11_S12_EUlS11_E_NS1_11comp_targetILNS1_3genE8ELNS1_11target_archE1030ELNS1_3gpuE2ELNS1_3repE0EEENS1_30default_config_static_selectorELNS0_4arch9wavefront6targetE1EEEvT1_
		.amdhsa_group_segment_fixed_size 0
		.amdhsa_private_segment_fixed_size 0
		.amdhsa_kernarg_size 136
		.amdhsa_user_sgpr_count 2
		.amdhsa_user_sgpr_dispatch_ptr 0
		.amdhsa_user_sgpr_queue_ptr 0
		.amdhsa_user_sgpr_kernarg_segment_ptr 1
		.amdhsa_user_sgpr_dispatch_id 0
		.amdhsa_user_sgpr_kernarg_preload_length 0
		.amdhsa_user_sgpr_kernarg_preload_offset 0
		.amdhsa_user_sgpr_private_segment_size 0
		.amdhsa_uses_dynamic_stack 0
		.amdhsa_enable_private_segment 0
		.amdhsa_system_sgpr_workgroup_id_x 1
		.amdhsa_system_sgpr_workgroup_id_y 0
		.amdhsa_system_sgpr_workgroup_id_z 0
		.amdhsa_system_sgpr_workgroup_info 0
		.amdhsa_system_vgpr_workitem_id 0
		.amdhsa_next_free_vgpr 1
		.amdhsa_next_free_sgpr 0
		.amdhsa_accum_offset 4
		.amdhsa_reserve_vcc 0
		.amdhsa_float_round_mode_32 0
		.amdhsa_float_round_mode_16_64 0
		.amdhsa_float_denorm_mode_32 3
		.amdhsa_float_denorm_mode_16_64 3
		.amdhsa_dx10_clamp 1
		.amdhsa_ieee_mode 1
		.amdhsa_fp16_overflow 0
		.amdhsa_tg_split 0
		.amdhsa_exception_fp_ieee_invalid_op 0
		.amdhsa_exception_fp_denorm_src 0
		.amdhsa_exception_fp_ieee_div_zero 0
		.amdhsa_exception_fp_ieee_overflow 0
		.amdhsa_exception_fp_ieee_underflow 0
		.amdhsa_exception_fp_ieee_inexact 0
		.amdhsa_exception_int_div_zero 0
	.end_amdhsa_kernel
	.section	.text._ZN7rocprim17ROCPRIM_400000_NS6detail17trampoline_kernelINS0_14default_configENS1_25partition_config_selectorILNS1_17partition_subalgoE5ElNS0_10empty_typeEbEEZZNS1_14partition_implILS5_5ELb0ES3_mN6hipcub16HIPCUB_304000_NS21CountingInputIteratorIllEEPS6_NSA_22TransformInputIteratorIb7NonZeroIaEPalEENS0_5tupleIJPlS6_EEENSJ_IJSD_SD_EEES6_SK_JS6_EEE10hipError_tPvRmT3_T4_T5_T6_T7_T9_mT8_P12ihipStream_tbDpT10_ENKUlT_T0_E_clISt17integral_constantIbLb1EES16_EEDaS11_S12_EUlS11_E_NS1_11comp_targetILNS1_3genE8ELNS1_11target_archE1030ELNS1_3gpuE2ELNS1_3repE0EEENS1_30default_config_static_selectorELNS0_4arch9wavefront6targetE1EEEvT1_,"axG",@progbits,_ZN7rocprim17ROCPRIM_400000_NS6detail17trampoline_kernelINS0_14default_configENS1_25partition_config_selectorILNS1_17partition_subalgoE5ElNS0_10empty_typeEbEEZZNS1_14partition_implILS5_5ELb0ES3_mN6hipcub16HIPCUB_304000_NS21CountingInputIteratorIllEEPS6_NSA_22TransformInputIteratorIb7NonZeroIaEPalEENS0_5tupleIJPlS6_EEENSJ_IJSD_SD_EEES6_SK_JS6_EEE10hipError_tPvRmT3_T4_T5_T6_T7_T9_mT8_P12ihipStream_tbDpT10_ENKUlT_T0_E_clISt17integral_constantIbLb1EES16_EEDaS11_S12_EUlS11_E_NS1_11comp_targetILNS1_3genE8ELNS1_11target_archE1030ELNS1_3gpuE2ELNS1_3repE0EEENS1_30default_config_static_selectorELNS0_4arch9wavefront6targetE1EEEvT1_,comdat
.Lfunc_end61:
	.size	_ZN7rocprim17ROCPRIM_400000_NS6detail17trampoline_kernelINS0_14default_configENS1_25partition_config_selectorILNS1_17partition_subalgoE5ElNS0_10empty_typeEbEEZZNS1_14partition_implILS5_5ELb0ES3_mN6hipcub16HIPCUB_304000_NS21CountingInputIteratorIllEEPS6_NSA_22TransformInputIteratorIb7NonZeroIaEPalEENS0_5tupleIJPlS6_EEENSJ_IJSD_SD_EEES6_SK_JS6_EEE10hipError_tPvRmT3_T4_T5_T6_T7_T9_mT8_P12ihipStream_tbDpT10_ENKUlT_T0_E_clISt17integral_constantIbLb1EES16_EEDaS11_S12_EUlS11_E_NS1_11comp_targetILNS1_3genE8ELNS1_11target_archE1030ELNS1_3gpuE2ELNS1_3repE0EEENS1_30default_config_static_selectorELNS0_4arch9wavefront6targetE1EEEvT1_, .Lfunc_end61-_ZN7rocprim17ROCPRIM_400000_NS6detail17trampoline_kernelINS0_14default_configENS1_25partition_config_selectorILNS1_17partition_subalgoE5ElNS0_10empty_typeEbEEZZNS1_14partition_implILS5_5ELb0ES3_mN6hipcub16HIPCUB_304000_NS21CountingInputIteratorIllEEPS6_NSA_22TransformInputIteratorIb7NonZeroIaEPalEENS0_5tupleIJPlS6_EEENSJ_IJSD_SD_EEES6_SK_JS6_EEE10hipError_tPvRmT3_T4_T5_T6_T7_T9_mT8_P12ihipStream_tbDpT10_ENKUlT_T0_E_clISt17integral_constantIbLb1EES16_EEDaS11_S12_EUlS11_E_NS1_11comp_targetILNS1_3genE8ELNS1_11target_archE1030ELNS1_3gpuE2ELNS1_3repE0EEENS1_30default_config_static_selectorELNS0_4arch9wavefront6targetE1EEEvT1_
                                        ; -- End function
	.set _ZN7rocprim17ROCPRIM_400000_NS6detail17trampoline_kernelINS0_14default_configENS1_25partition_config_selectorILNS1_17partition_subalgoE5ElNS0_10empty_typeEbEEZZNS1_14partition_implILS5_5ELb0ES3_mN6hipcub16HIPCUB_304000_NS21CountingInputIteratorIllEEPS6_NSA_22TransformInputIteratorIb7NonZeroIaEPalEENS0_5tupleIJPlS6_EEENSJ_IJSD_SD_EEES6_SK_JS6_EEE10hipError_tPvRmT3_T4_T5_T6_T7_T9_mT8_P12ihipStream_tbDpT10_ENKUlT_T0_E_clISt17integral_constantIbLb1EES16_EEDaS11_S12_EUlS11_E_NS1_11comp_targetILNS1_3genE8ELNS1_11target_archE1030ELNS1_3gpuE2ELNS1_3repE0EEENS1_30default_config_static_selectorELNS0_4arch9wavefront6targetE1EEEvT1_.num_vgpr, 0
	.set _ZN7rocprim17ROCPRIM_400000_NS6detail17trampoline_kernelINS0_14default_configENS1_25partition_config_selectorILNS1_17partition_subalgoE5ElNS0_10empty_typeEbEEZZNS1_14partition_implILS5_5ELb0ES3_mN6hipcub16HIPCUB_304000_NS21CountingInputIteratorIllEEPS6_NSA_22TransformInputIteratorIb7NonZeroIaEPalEENS0_5tupleIJPlS6_EEENSJ_IJSD_SD_EEES6_SK_JS6_EEE10hipError_tPvRmT3_T4_T5_T6_T7_T9_mT8_P12ihipStream_tbDpT10_ENKUlT_T0_E_clISt17integral_constantIbLb1EES16_EEDaS11_S12_EUlS11_E_NS1_11comp_targetILNS1_3genE8ELNS1_11target_archE1030ELNS1_3gpuE2ELNS1_3repE0EEENS1_30default_config_static_selectorELNS0_4arch9wavefront6targetE1EEEvT1_.num_agpr, 0
	.set _ZN7rocprim17ROCPRIM_400000_NS6detail17trampoline_kernelINS0_14default_configENS1_25partition_config_selectorILNS1_17partition_subalgoE5ElNS0_10empty_typeEbEEZZNS1_14partition_implILS5_5ELb0ES3_mN6hipcub16HIPCUB_304000_NS21CountingInputIteratorIllEEPS6_NSA_22TransformInputIteratorIb7NonZeroIaEPalEENS0_5tupleIJPlS6_EEENSJ_IJSD_SD_EEES6_SK_JS6_EEE10hipError_tPvRmT3_T4_T5_T6_T7_T9_mT8_P12ihipStream_tbDpT10_ENKUlT_T0_E_clISt17integral_constantIbLb1EES16_EEDaS11_S12_EUlS11_E_NS1_11comp_targetILNS1_3genE8ELNS1_11target_archE1030ELNS1_3gpuE2ELNS1_3repE0EEENS1_30default_config_static_selectorELNS0_4arch9wavefront6targetE1EEEvT1_.numbered_sgpr, 0
	.set _ZN7rocprim17ROCPRIM_400000_NS6detail17trampoline_kernelINS0_14default_configENS1_25partition_config_selectorILNS1_17partition_subalgoE5ElNS0_10empty_typeEbEEZZNS1_14partition_implILS5_5ELb0ES3_mN6hipcub16HIPCUB_304000_NS21CountingInputIteratorIllEEPS6_NSA_22TransformInputIteratorIb7NonZeroIaEPalEENS0_5tupleIJPlS6_EEENSJ_IJSD_SD_EEES6_SK_JS6_EEE10hipError_tPvRmT3_T4_T5_T6_T7_T9_mT8_P12ihipStream_tbDpT10_ENKUlT_T0_E_clISt17integral_constantIbLb1EES16_EEDaS11_S12_EUlS11_E_NS1_11comp_targetILNS1_3genE8ELNS1_11target_archE1030ELNS1_3gpuE2ELNS1_3repE0EEENS1_30default_config_static_selectorELNS0_4arch9wavefront6targetE1EEEvT1_.num_named_barrier, 0
	.set _ZN7rocprim17ROCPRIM_400000_NS6detail17trampoline_kernelINS0_14default_configENS1_25partition_config_selectorILNS1_17partition_subalgoE5ElNS0_10empty_typeEbEEZZNS1_14partition_implILS5_5ELb0ES3_mN6hipcub16HIPCUB_304000_NS21CountingInputIteratorIllEEPS6_NSA_22TransformInputIteratorIb7NonZeroIaEPalEENS0_5tupleIJPlS6_EEENSJ_IJSD_SD_EEES6_SK_JS6_EEE10hipError_tPvRmT3_T4_T5_T6_T7_T9_mT8_P12ihipStream_tbDpT10_ENKUlT_T0_E_clISt17integral_constantIbLb1EES16_EEDaS11_S12_EUlS11_E_NS1_11comp_targetILNS1_3genE8ELNS1_11target_archE1030ELNS1_3gpuE2ELNS1_3repE0EEENS1_30default_config_static_selectorELNS0_4arch9wavefront6targetE1EEEvT1_.private_seg_size, 0
	.set _ZN7rocprim17ROCPRIM_400000_NS6detail17trampoline_kernelINS0_14default_configENS1_25partition_config_selectorILNS1_17partition_subalgoE5ElNS0_10empty_typeEbEEZZNS1_14partition_implILS5_5ELb0ES3_mN6hipcub16HIPCUB_304000_NS21CountingInputIteratorIllEEPS6_NSA_22TransformInputIteratorIb7NonZeroIaEPalEENS0_5tupleIJPlS6_EEENSJ_IJSD_SD_EEES6_SK_JS6_EEE10hipError_tPvRmT3_T4_T5_T6_T7_T9_mT8_P12ihipStream_tbDpT10_ENKUlT_T0_E_clISt17integral_constantIbLb1EES16_EEDaS11_S12_EUlS11_E_NS1_11comp_targetILNS1_3genE8ELNS1_11target_archE1030ELNS1_3gpuE2ELNS1_3repE0EEENS1_30default_config_static_selectorELNS0_4arch9wavefront6targetE1EEEvT1_.uses_vcc, 0
	.set _ZN7rocprim17ROCPRIM_400000_NS6detail17trampoline_kernelINS0_14default_configENS1_25partition_config_selectorILNS1_17partition_subalgoE5ElNS0_10empty_typeEbEEZZNS1_14partition_implILS5_5ELb0ES3_mN6hipcub16HIPCUB_304000_NS21CountingInputIteratorIllEEPS6_NSA_22TransformInputIteratorIb7NonZeroIaEPalEENS0_5tupleIJPlS6_EEENSJ_IJSD_SD_EEES6_SK_JS6_EEE10hipError_tPvRmT3_T4_T5_T6_T7_T9_mT8_P12ihipStream_tbDpT10_ENKUlT_T0_E_clISt17integral_constantIbLb1EES16_EEDaS11_S12_EUlS11_E_NS1_11comp_targetILNS1_3genE8ELNS1_11target_archE1030ELNS1_3gpuE2ELNS1_3repE0EEENS1_30default_config_static_selectorELNS0_4arch9wavefront6targetE1EEEvT1_.uses_flat_scratch, 0
	.set _ZN7rocprim17ROCPRIM_400000_NS6detail17trampoline_kernelINS0_14default_configENS1_25partition_config_selectorILNS1_17partition_subalgoE5ElNS0_10empty_typeEbEEZZNS1_14partition_implILS5_5ELb0ES3_mN6hipcub16HIPCUB_304000_NS21CountingInputIteratorIllEEPS6_NSA_22TransformInputIteratorIb7NonZeroIaEPalEENS0_5tupleIJPlS6_EEENSJ_IJSD_SD_EEES6_SK_JS6_EEE10hipError_tPvRmT3_T4_T5_T6_T7_T9_mT8_P12ihipStream_tbDpT10_ENKUlT_T0_E_clISt17integral_constantIbLb1EES16_EEDaS11_S12_EUlS11_E_NS1_11comp_targetILNS1_3genE8ELNS1_11target_archE1030ELNS1_3gpuE2ELNS1_3repE0EEENS1_30default_config_static_selectorELNS0_4arch9wavefront6targetE1EEEvT1_.has_dyn_sized_stack, 0
	.set _ZN7rocprim17ROCPRIM_400000_NS6detail17trampoline_kernelINS0_14default_configENS1_25partition_config_selectorILNS1_17partition_subalgoE5ElNS0_10empty_typeEbEEZZNS1_14partition_implILS5_5ELb0ES3_mN6hipcub16HIPCUB_304000_NS21CountingInputIteratorIllEEPS6_NSA_22TransformInputIteratorIb7NonZeroIaEPalEENS0_5tupleIJPlS6_EEENSJ_IJSD_SD_EEES6_SK_JS6_EEE10hipError_tPvRmT3_T4_T5_T6_T7_T9_mT8_P12ihipStream_tbDpT10_ENKUlT_T0_E_clISt17integral_constantIbLb1EES16_EEDaS11_S12_EUlS11_E_NS1_11comp_targetILNS1_3genE8ELNS1_11target_archE1030ELNS1_3gpuE2ELNS1_3repE0EEENS1_30default_config_static_selectorELNS0_4arch9wavefront6targetE1EEEvT1_.has_recursion, 0
	.set _ZN7rocprim17ROCPRIM_400000_NS6detail17trampoline_kernelINS0_14default_configENS1_25partition_config_selectorILNS1_17partition_subalgoE5ElNS0_10empty_typeEbEEZZNS1_14partition_implILS5_5ELb0ES3_mN6hipcub16HIPCUB_304000_NS21CountingInputIteratorIllEEPS6_NSA_22TransformInputIteratorIb7NonZeroIaEPalEENS0_5tupleIJPlS6_EEENSJ_IJSD_SD_EEES6_SK_JS6_EEE10hipError_tPvRmT3_T4_T5_T6_T7_T9_mT8_P12ihipStream_tbDpT10_ENKUlT_T0_E_clISt17integral_constantIbLb1EES16_EEDaS11_S12_EUlS11_E_NS1_11comp_targetILNS1_3genE8ELNS1_11target_archE1030ELNS1_3gpuE2ELNS1_3repE0EEENS1_30default_config_static_selectorELNS0_4arch9wavefront6targetE1EEEvT1_.has_indirect_call, 0
	.section	.AMDGPU.csdata,"",@progbits
; Kernel info:
; codeLenInByte = 0
; TotalNumSgprs: 6
; NumVgprs: 0
; NumAgprs: 0
; TotalNumVgprs: 0
; ScratchSize: 0
; MemoryBound: 0
; FloatMode: 240
; IeeeMode: 1
; LDSByteSize: 0 bytes/workgroup (compile time only)
; SGPRBlocks: 0
; VGPRBlocks: 0
; NumSGPRsForWavesPerEU: 6
; NumVGPRsForWavesPerEU: 1
; AccumOffset: 4
; Occupancy: 8
; WaveLimiterHint : 0
; COMPUTE_PGM_RSRC2:SCRATCH_EN: 0
; COMPUTE_PGM_RSRC2:USER_SGPR: 2
; COMPUTE_PGM_RSRC2:TRAP_HANDLER: 0
; COMPUTE_PGM_RSRC2:TGID_X_EN: 1
; COMPUTE_PGM_RSRC2:TGID_Y_EN: 0
; COMPUTE_PGM_RSRC2:TGID_Z_EN: 0
; COMPUTE_PGM_RSRC2:TIDIG_COMP_CNT: 0
; COMPUTE_PGM_RSRC3_GFX90A:ACCUM_OFFSET: 0
; COMPUTE_PGM_RSRC3_GFX90A:TG_SPLIT: 0
	.section	.text._ZN7rocprim17ROCPRIM_400000_NS6detail31init_lookback_scan_state_kernelINS1_19lookback_scan_stateImLb1ELb1EEENS1_16block_id_wrapperIjLb0EEEEEvT_jT0_jPNS7_10value_typeE,"axG",@progbits,_ZN7rocprim17ROCPRIM_400000_NS6detail31init_lookback_scan_state_kernelINS1_19lookback_scan_stateImLb1ELb1EEENS1_16block_id_wrapperIjLb0EEEEEvT_jT0_jPNS7_10value_typeE,comdat
	.protected	_ZN7rocprim17ROCPRIM_400000_NS6detail31init_lookback_scan_state_kernelINS1_19lookback_scan_stateImLb1ELb1EEENS1_16block_id_wrapperIjLb0EEEEEvT_jT0_jPNS7_10value_typeE ; -- Begin function _ZN7rocprim17ROCPRIM_400000_NS6detail31init_lookback_scan_state_kernelINS1_19lookback_scan_stateImLb1ELb1EEENS1_16block_id_wrapperIjLb0EEEEEvT_jT0_jPNS7_10value_typeE
	.globl	_ZN7rocprim17ROCPRIM_400000_NS6detail31init_lookback_scan_state_kernelINS1_19lookback_scan_stateImLb1ELb1EEENS1_16block_id_wrapperIjLb0EEEEEvT_jT0_jPNS7_10value_typeE
	.p2align	8
	.type	_ZN7rocprim17ROCPRIM_400000_NS6detail31init_lookback_scan_state_kernelINS1_19lookback_scan_stateImLb1ELb1EEENS1_16block_id_wrapperIjLb0EEEEEvT_jT0_jPNS7_10value_typeE,@function
_ZN7rocprim17ROCPRIM_400000_NS6detail31init_lookback_scan_state_kernelINS1_19lookback_scan_stateImLb1ELb1EEENS1_16block_id_wrapperIjLb0EEEEEvT_jT0_jPNS7_10value_typeE: ; @_ZN7rocprim17ROCPRIM_400000_NS6detail31init_lookback_scan_state_kernelINS1_19lookback_scan_stateImLb1ELb1EEENS1_16block_id_wrapperIjLb0EEEEEvT_jT0_jPNS7_10value_typeE
; %bb.0:
	s_load_dword s3, s[0:1], 0x2c
	s_load_dwordx2 s[6:7], s[0:1], 0x18
	s_load_dwordx2 s[4:5], s[0:1], 0x0
	s_load_dword s12, s[0:1], 0x8
	s_waitcnt lgkmcnt(0)
	s_and_b32 s3, s3, 0xffff
	s_mul_i32 s2, s2, s3
	s_cmp_eq_u64 s[6:7], 0
	v_add_u32_e32 v0, s2, v0
	s_cbranch_scc1 .LBB62_10
; %bb.1:
	s_load_dword s2, s[0:1], 0x10
	s_mov_b32 s3, 0
	s_waitcnt lgkmcnt(0)
	s_cmp_lt_u32 s2, s12
	s_cselect_b32 s0, s2, 0
	v_cmp_eq_u32_e32 vcc, s0, v0
	s_and_saveexec_b64 s[0:1], vcc
	s_cbranch_execz .LBB62_9
; %bb.2:
	s_add_i32 s2, s2, 64
	s_lshl_b64 s[2:3], s[2:3], 4
	s_add_u32 s10, s4, s2
	s_addc_u32 s11, s5, s3
	v_mov_b64_e32 v[2:3], s[10:11]
	;;#ASMSTART
	global_load_dwordx4 v[2:5], v[2:3] off sc1	
s_waitcnt vmcnt(0)
	;;#ASMEND
	v_mov_b32_e32 v7, 0
	v_and_b32_e32 v6, 0xff, v4
	s_mov_b64 s[8:9], 0
	v_cmp_eq_u64_e32 vcc, 0, v[6:7]
	s_and_saveexec_b64 s[2:3], vcc
	s_cbranch_execz .LBB62_8
; %bb.3:
	s_mov_b32 s13, 1
	v_mov_b64_e32 v[8:9], s[10:11]
.LBB62_4:                               ; =>This Loop Header: Depth=1
                                        ;     Child Loop BB62_5 Depth 2
	s_mov_b32 s10, s13
.LBB62_5:                               ;   Parent Loop BB62_4 Depth=1
                                        ; =>  This Inner Loop Header: Depth=2
	s_add_i32 s10, s10, -1
	s_cmp_eq_u32 s10, 0
	s_sleep 1
	s_cbranch_scc0 .LBB62_5
; %bb.6:                                ;   in Loop: Header=BB62_4 Depth=1
	s_cmp_lt_u32 s13, 32
	s_cselect_b64 s[10:11], -1, 0
	s_cmp_lg_u64 s[10:11], 0
	;;#ASMSTART
	global_load_dwordx4 v[2:5], v[8:9] off sc1	
s_waitcnt vmcnt(0)
	;;#ASMEND
	s_addc_u32 s13, s13, 0
	v_and_b32_e32 v6, 0xff, v4
	v_cmp_ne_u64_e32 vcc, 0, v[6:7]
	s_or_b64 s[8:9], vcc, s[8:9]
	s_andn2_b64 exec, exec, s[8:9]
	s_cbranch_execnz .LBB62_4
; %bb.7:
	s_or_b64 exec, exec, s[8:9]
.LBB62_8:
	s_or_b64 exec, exec, s[2:3]
	v_mov_b32_e32 v1, 0
	global_store_dwordx2 v1, v[2:3], s[6:7]
.LBB62_9:
	s_or_b64 exec, exec, s[0:1]
.LBB62_10:
	v_cmp_gt_u32_e32 vcc, s12, v0
	s_and_saveexec_b64 s[0:1], vcc
	s_cbranch_execnz .LBB62_13
; %bb.11:
	s_or_b64 exec, exec, s[0:1]
	v_cmp_gt_u32_e32 vcc, 64, v0
	s_and_saveexec_b64 s[0:1], vcc
	s_cbranch_execnz .LBB62_14
.LBB62_12:
	s_endpgm
.LBB62_13:
	v_add_u32_e32 v2, 64, v0
	v_mov_b32_e32 v3, 0
	v_lshl_add_u64 v[6:7], v[2:3], 4, s[4:5]
	v_mov_b32_e32 v2, v3
	v_mov_b32_e32 v4, v3
	;; [unrolled: 1-line block ×3, first 2 shown]
	global_store_dwordx4 v[6:7], v[2:5], off
	s_or_b64 exec, exec, s[0:1]
	v_cmp_gt_u32_e32 vcc, 64, v0
	s_and_saveexec_b64 s[0:1], vcc
	s_cbranch_execz .LBB62_12
.LBB62_14:
	v_mov_b32_e32 v1, 0
	v_lshl_add_u64 v[4:5], v[0:1], 4, s[4:5]
	v_mov_b32_e32 v2, 0xff
	v_mov_b32_e32 v0, v1
	;; [unrolled: 1-line block ×3, first 2 shown]
	global_store_dwordx4 v[4:5], v[0:3], off
	s_endpgm
	.section	.rodata,"a",@progbits
	.p2align	6, 0x0
	.amdhsa_kernel _ZN7rocprim17ROCPRIM_400000_NS6detail31init_lookback_scan_state_kernelINS1_19lookback_scan_stateImLb1ELb1EEENS1_16block_id_wrapperIjLb0EEEEEvT_jT0_jPNS7_10value_typeE
		.amdhsa_group_segment_fixed_size 0
		.amdhsa_private_segment_fixed_size 0
		.amdhsa_kernarg_size 288
		.amdhsa_user_sgpr_count 2
		.amdhsa_user_sgpr_dispatch_ptr 0
		.amdhsa_user_sgpr_queue_ptr 0
		.amdhsa_user_sgpr_kernarg_segment_ptr 1
		.amdhsa_user_sgpr_dispatch_id 0
		.amdhsa_user_sgpr_kernarg_preload_length 0
		.amdhsa_user_sgpr_kernarg_preload_offset 0
		.amdhsa_user_sgpr_private_segment_size 0
		.amdhsa_uses_dynamic_stack 0
		.amdhsa_enable_private_segment 0
		.amdhsa_system_sgpr_workgroup_id_x 1
		.amdhsa_system_sgpr_workgroup_id_y 0
		.amdhsa_system_sgpr_workgroup_id_z 0
		.amdhsa_system_sgpr_workgroup_info 0
		.amdhsa_system_vgpr_workitem_id 0
		.amdhsa_next_free_vgpr 10
		.amdhsa_next_free_sgpr 14
		.amdhsa_accum_offset 12
		.amdhsa_reserve_vcc 1
		.amdhsa_float_round_mode_32 0
		.amdhsa_float_round_mode_16_64 0
		.amdhsa_float_denorm_mode_32 3
		.amdhsa_float_denorm_mode_16_64 3
		.amdhsa_dx10_clamp 1
		.amdhsa_ieee_mode 1
		.amdhsa_fp16_overflow 0
		.amdhsa_tg_split 0
		.amdhsa_exception_fp_ieee_invalid_op 0
		.amdhsa_exception_fp_denorm_src 0
		.amdhsa_exception_fp_ieee_div_zero 0
		.amdhsa_exception_fp_ieee_overflow 0
		.amdhsa_exception_fp_ieee_underflow 0
		.amdhsa_exception_fp_ieee_inexact 0
		.amdhsa_exception_int_div_zero 0
	.end_amdhsa_kernel
	.section	.text._ZN7rocprim17ROCPRIM_400000_NS6detail31init_lookback_scan_state_kernelINS1_19lookback_scan_stateImLb1ELb1EEENS1_16block_id_wrapperIjLb0EEEEEvT_jT0_jPNS7_10value_typeE,"axG",@progbits,_ZN7rocprim17ROCPRIM_400000_NS6detail31init_lookback_scan_state_kernelINS1_19lookback_scan_stateImLb1ELb1EEENS1_16block_id_wrapperIjLb0EEEEEvT_jT0_jPNS7_10value_typeE,comdat
.Lfunc_end62:
	.size	_ZN7rocprim17ROCPRIM_400000_NS6detail31init_lookback_scan_state_kernelINS1_19lookback_scan_stateImLb1ELb1EEENS1_16block_id_wrapperIjLb0EEEEEvT_jT0_jPNS7_10value_typeE, .Lfunc_end62-_ZN7rocprim17ROCPRIM_400000_NS6detail31init_lookback_scan_state_kernelINS1_19lookback_scan_stateImLb1ELb1EEENS1_16block_id_wrapperIjLb0EEEEEvT_jT0_jPNS7_10value_typeE
                                        ; -- End function
	.set _ZN7rocprim17ROCPRIM_400000_NS6detail31init_lookback_scan_state_kernelINS1_19lookback_scan_stateImLb1ELb1EEENS1_16block_id_wrapperIjLb0EEEEEvT_jT0_jPNS7_10value_typeE.num_vgpr, 10
	.set _ZN7rocprim17ROCPRIM_400000_NS6detail31init_lookback_scan_state_kernelINS1_19lookback_scan_stateImLb1ELb1EEENS1_16block_id_wrapperIjLb0EEEEEvT_jT0_jPNS7_10value_typeE.num_agpr, 0
	.set _ZN7rocprim17ROCPRIM_400000_NS6detail31init_lookback_scan_state_kernelINS1_19lookback_scan_stateImLb1ELb1EEENS1_16block_id_wrapperIjLb0EEEEEvT_jT0_jPNS7_10value_typeE.numbered_sgpr, 14
	.set _ZN7rocprim17ROCPRIM_400000_NS6detail31init_lookback_scan_state_kernelINS1_19lookback_scan_stateImLb1ELb1EEENS1_16block_id_wrapperIjLb0EEEEEvT_jT0_jPNS7_10value_typeE.num_named_barrier, 0
	.set _ZN7rocprim17ROCPRIM_400000_NS6detail31init_lookback_scan_state_kernelINS1_19lookback_scan_stateImLb1ELb1EEENS1_16block_id_wrapperIjLb0EEEEEvT_jT0_jPNS7_10value_typeE.private_seg_size, 0
	.set _ZN7rocprim17ROCPRIM_400000_NS6detail31init_lookback_scan_state_kernelINS1_19lookback_scan_stateImLb1ELb1EEENS1_16block_id_wrapperIjLb0EEEEEvT_jT0_jPNS7_10value_typeE.uses_vcc, 1
	.set _ZN7rocprim17ROCPRIM_400000_NS6detail31init_lookback_scan_state_kernelINS1_19lookback_scan_stateImLb1ELb1EEENS1_16block_id_wrapperIjLb0EEEEEvT_jT0_jPNS7_10value_typeE.uses_flat_scratch, 0
	.set _ZN7rocprim17ROCPRIM_400000_NS6detail31init_lookback_scan_state_kernelINS1_19lookback_scan_stateImLb1ELb1EEENS1_16block_id_wrapperIjLb0EEEEEvT_jT0_jPNS7_10value_typeE.has_dyn_sized_stack, 0
	.set _ZN7rocprim17ROCPRIM_400000_NS6detail31init_lookback_scan_state_kernelINS1_19lookback_scan_stateImLb1ELb1EEENS1_16block_id_wrapperIjLb0EEEEEvT_jT0_jPNS7_10value_typeE.has_recursion, 0
	.set _ZN7rocprim17ROCPRIM_400000_NS6detail31init_lookback_scan_state_kernelINS1_19lookback_scan_stateImLb1ELb1EEENS1_16block_id_wrapperIjLb0EEEEEvT_jT0_jPNS7_10value_typeE.has_indirect_call, 0
	.section	.AMDGPU.csdata,"",@progbits
; Kernel info:
; codeLenInByte = 424
; TotalNumSgprs: 20
; NumVgprs: 10
; NumAgprs: 0
; TotalNumVgprs: 10
; ScratchSize: 0
; MemoryBound: 0
; FloatMode: 240
; IeeeMode: 1
; LDSByteSize: 0 bytes/workgroup (compile time only)
; SGPRBlocks: 2
; VGPRBlocks: 1
; NumSGPRsForWavesPerEU: 20
; NumVGPRsForWavesPerEU: 10
; AccumOffset: 12
; Occupancy: 8
; WaveLimiterHint : 0
; COMPUTE_PGM_RSRC2:SCRATCH_EN: 0
; COMPUTE_PGM_RSRC2:USER_SGPR: 2
; COMPUTE_PGM_RSRC2:TRAP_HANDLER: 0
; COMPUTE_PGM_RSRC2:TGID_X_EN: 1
; COMPUTE_PGM_RSRC2:TGID_Y_EN: 0
; COMPUTE_PGM_RSRC2:TGID_Z_EN: 0
; COMPUTE_PGM_RSRC2:TIDIG_COMP_CNT: 0
; COMPUTE_PGM_RSRC3_GFX90A:ACCUM_OFFSET: 2
; COMPUTE_PGM_RSRC3_GFX90A:TG_SPLIT: 0
	.section	.text._ZN7rocprim17ROCPRIM_400000_NS6detail17trampoline_kernelINS0_14default_configENS1_25partition_config_selectorILNS1_17partition_subalgoE5ElNS0_10empty_typeEbEEZZNS1_14partition_implILS5_5ELb0ES3_mN6hipcub16HIPCUB_304000_NS21CountingInputIteratorIllEEPS6_NSA_22TransformInputIteratorIb7NonZeroIaEPalEENS0_5tupleIJPlS6_EEENSJ_IJSD_SD_EEES6_SK_JS6_EEE10hipError_tPvRmT3_T4_T5_T6_T7_T9_mT8_P12ihipStream_tbDpT10_ENKUlT_T0_E_clISt17integral_constantIbLb1EES15_IbLb0EEEEDaS11_S12_EUlS11_E_NS1_11comp_targetILNS1_3genE0ELNS1_11target_archE4294967295ELNS1_3gpuE0ELNS1_3repE0EEENS1_30default_config_static_selectorELNS0_4arch9wavefront6targetE1EEEvT1_,"axG",@progbits,_ZN7rocprim17ROCPRIM_400000_NS6detail17trampoline_kernelINS0_14default_configENS1_25partition_config_selectorILNS1_17partition_subalgoE5ElNS0_10empty_typeEbEEZZNS1_14partition_implILS5_5ELb0ES3_mN6hipcub16HIPCUB_304000_NS21CountingInputIteratorIllEEPS6_NSA_22TransformInputIteratorIb7NonZeroIaEPalEENS0_5tupleIJPlS6_EEENSJ_IJSD_SD_EEES6_SK_JS6_EEE10hipError_tPvRmT3_T4_T5_T6_T7_T9_mT8_P12ihipStream_tbDpT10_ENKUlT_T0_E_clISt17integral_constantIbLb1EES15_IbLb0EEEEDaS11_S12_EUlS11_E_NS1_11comp_targetILNS1_3genE0ELNS1_11target_archE4294967295ELNS1_3gpuE0ELNS1_3repE0EEENS1_30default_config_static_selectorELNS0_4arch9wavefront6targetE1EEEvT1_,comdat
	.protected	_ZN7rocprim17ROCPRIM_400000_NS6detail17trampoline_kernelINS0_14default_configENS1_25partition_config_selectorILNS1_17partition_subalgoE5ElNS0_10empty_typeEbEEZZNS1_14partition_implILS5_5ELb0ES3_mN6hipcub16HIPCUB_304000_NS21CountingInputIteratorIllEEPS6_NSA_22TransformInputIteratorIb7NonZeroIaEPalEENS0_5tupleIJPlS6_EEENSJ_IJSD_SD_EEES6_SK_JS6_EEE10hipError_tPvRmT3_T4_T5_T6_T7_T9_mT8_P12ihipStream_tbDpT10_ENKUlT_T0_E_clISt17integral_constantIbLb1EES15_IbLb0EEEEDaS11_S12_EUlS11_E_NS1_11comp_targetILNS1_3genE0ELNS1_11target_archE4294967295ELNS1_3gpuE0ELNS1_3repE0EEENS1_30default_config_static_selectorELNS0_4arch9wavefront6targetE1EEEvT1_ ; -- Begin function _ZN7rocprim17ROCPRIM_400000_NS6detail17trampoline_kernelINS0_14default_configENS1_25partition_config_selectorILNS1_17partition_subalgoE5ElNS0_10empty_typeEbEEZZNS1_14partition_implILS5_5ELb0ES3_mN6hipcub16HIPCUB_304000_NS21CountingInputIteratorIllEEPS6_NSA_22TransformInputIteratorIb7NonZeroIaEPalEENS0_5tupleIJPlS6_EEENSJ_IJSD_SD_EEES6_SK_JS6_EEE10hipError_tPvRmT3_T4_T5_T6_T7_T9_mT8_P12ihipStream_tbDpT10_ENKUlT_T0_E_clISt17integral_constantIbLb1EES15_IbLb0EEEEDaS11_S12_EUlS11_E_NS1_11comp_targetILNS1_3genE0ELNS1_11target_archE4294967295ELNS1_3gpuE0ELNS1_3repE0EEENS1_30default_config_static_selectorELNS0_4arch9wavefront6targetE1EEEvT1_
	.globl	_ZN7rocprim17ROCPRIM_400000_NS6detail17trampoline_kernelINS0_14default_configENS1_25partition_config_selectorILNS1_17partition_subalgoE5ElNS0_10empty_typeEbEEZZNS1_14partition_implILS5_5ELb0ES3_mN6hipcub16HIPCUB_304000_NS21CountingInputIteratorIllEEPS6_NSA_22TransformInputIteratorIb7NonZeroIaEPalEENS0_5tupleIJPlS6_EEENSJ_IJSD_SD_EEES6_SK_JS6_EEE10hipError_tPvRmT3_T4_T5_T6_T7_T9_mT8_P12ihipStream_tbDpT10_ENKUlT_T0_E_clISt17integral_constantIbLb1EES15_IbLb0EEEEDaS11_S12_EUlS11_E_NS1_11comp_targetILNS1_3genE0ELNS1_11target_archE4294967295ELNS1_3gpuE0ELNS1_3repE0EEENS1_30default_config_static_selectorELNS0_4arch9wavefront6targetE1EEEvT1_
	.p2align	8
	.type	_ZN7rocprim17ROCPRIM_400000_NS6detail17trampoline_kernelINS0_14default_configENS1_25partition_config_selectorILNS1_17partition_subalgoE5ElNS0_10empty_typeEbEEZZNS1_14partition_implILS5_5ELb0ES3_mN6hipcub16HIPCUB_304000_NS21CountingInputIteratorIllEEPS6_NSA_22TransformInputIteratorIb7NonZeroIaEPalEENS0_5tupleIJPlS6_EEENSJ_IJSD_SD_EEES6_SK_JS6_EEE10hipError_tPvRmT3_T4_T5_T6_T7_T9_mT8_P12ihipStream_tbDpT10_ENKUlT_T0_E_clISt17integral_constantIbLb1EES15_IbLb0EEEEDaS11_S12_EUlS11_E_NS1_11comp_targetILNS1_3genE0ELNS1_11target_archE4294967295ELNS1_3gpuE0ELNS1_3repE0EEENS1_30default_config_static_selectorELNS0_4arch9wavefront6targetE1EEEvT1_,@function
_ZN7rocprim17ROCPRIM_400000_NS6detail17trampoline_kernelINS0_14default_configENS1_25partition_config_selectorILNS1_17partition_subalgoE5ElNS0_10empty_typeEbEEZZNS1_14partition_implILS5_5ELb0ES3_mN6hipcub16HIPCUB_304000_NS21CountingInputIteratorIllEEPS6_NSA_22TransformInputIteratorIb7NonZeroIaEPalEENS0_5tupleIJPlS6_EEENSJ_IJSD_SD_EEES6_SK_JS6_EEE10hipError_tPvRmT3_T4_T5_T6_T7_T9_mT8_P12ihipStream_tbDpT10_ENKUlT_T0_E_clISt17integral_constantIbLb1EES15_IbLb0EEEEDaS11_S12_EUlS11_E_NS1_11comp_targetILNS1_3genE0ELNS1_11target_archE4294967295ELNS1_3gpuE0ELNS1_3repE0EEENS1_30default_config_static_selectorELNS0_4arch9wavefront6targetE1EEEvT1_: ; @_ZN7rocprim17ROCPRIM_400000_NS6detail17trampoline_kernelINS0_14default_configENS1_25partition_config_selectorILNS1_17partition_subalgoE5ElNS0_10empty_typeEbEEZZNS1_14partition_implILS5_5ELb0ES3_mN6hipcub16HIPCUB_304000_NS21CountingInputIteratorIllEEPS6_NSA_22TransformInputIteratorIb7NonZeroIaEPalEENS0_5tupleIJPlS6_EEENSJ_IJSD_SD_EEES6_SK_JS6_EEE10hipError_tPvRmT3_T4_T5_T6_T7_T9_mT8_P12ihipStream_tbDpT10_ENKUlT_T0_E_clISt17integral_constantIbLb1EES15_IbLb0EEEEDaS11_S12_EUlS11_E_NS1_11comp_targetILNS1_3genE0ELNS1_11target_archE4294967295ELNS1_3gpuE0ELNS1_3repE0EEENS1_30default_config_static_selectorELNS0_4arch9wavefront6targetE1EEEvT1_
; %bb.0:
	s_endpgm
	.section	.rodata,"a",@progbits
	.p2align	6, 0x0
	.amdhsa_kernel _ZN7rocprim17ROCPRIM_400000_NS6detail17trampoline_kernelINS0_14default_configENS1_25partition_config_selectorILNS1_17partition_subalgoE5ElNS0_10empty_typeEbEEZZNS1_14partition_implILS5_5ELb0ES3_mN6hipcub16HIPCUB_304000_NS21CountingInputIteratorIllEEPS6_NSA_22TransformInputIteratorIb7NonZeroIaEPalEENS0_5tupleIJPlS6_EEENSJ_IJSD_SD_EEES6_SK_JS6_EEE10hipError_tPvRmT3_T4_T5_T6_T7_T9_mT8_P12ihipStream_tbDpT10_ENKUlT_T0_E_clISt17integral_constantIbLb1EES15_IbLb0EEEEDaS11_S12_EUlS11_E_NS1_11comp_targetILNS1_3genE0ELNS1_11target_archE4294967295ELNS1_3gpuE0ELNS1_3repE0EEENS1_30default_config_static_selectorELNS0_4arch9wavefront6targetE1EEEvT1_
		.amdhsa_group_segment_fixed_size 0
		.amdhsa_private_segment_fixed_size 0
		.amdhsa_kernarg_size 120
		.amdhsa_user_sgpr_count 2
		.amdhsa_user_sgpr_dispatch_ptr 0
		.amdhsa_user_sgpr_queue_ptr 0
		.amdhsa_user_sgpr_kernarg_segment_ptr 1
		.amdhsa_user_sgpr_dispatch_id 0
		.amdhsa_user_sgpr_kernarg_preload_length 0
		.amdhsa_user_sgpr_kernarg_preload_offset 0
		.amdhsa_user_sgpr_private_segment_size 0
		.amdhsa_uses_dynamic_stack 0
		.amdhsa_enable_private_segment 0
		.amdhsa_system_sgpr_workgroup_id_x 1
		.amdhsa_system_sgpr_workgroup_id_y 0
		.amdhsa_system_sgpr_workgroup_id_z 0
		.amdhsa_system_sgpr_workgroup_info 0
		.amdhsa_system_vgpr_workitem_id 0
		.amdhsa_next_free_vgpr 1
		.amdhsa_next_free_sgpr 0
		.amdhsa_accum_offset 4
		.amdhsa_reserve_vcc 0
		.amdhsa_float_round_mode_32 0
		.amdhsa_float_round_mode_16_64 0
		.amdhsa_float_denorm_mode_32 3
		.amdhsa_float_denorm_mode_16_64 3
		.amdhsa_dx10_clamp 1
		.amdhsa_ieee_mode 1
		.amdhsa_fp16_overflow 0
		.amdhsa_tg_split 0
		.amdhsa_exception_fp_ieee_invalid_op 0
		.amdhsa_exception_fp_denorm_src 0
		.amdhsa_exception_fp_ieee_div_zero 0
		.amdhsa_exception_fp_ieee_overflow 0
		.amdhsa_exception_fp_ieee_underflow 0
		.amdhsa_exception_fp_ieee_inexact 0
		.amdhsa_exception_int_div_zero 0
	.end_amdhsa_kernel
	.section	.text._ZN7rocprim17ROCPRIM_400000_NS6detail17trampoline_kernelINS0_14default_configENS1_25partition_config_selectorILNS1_17partition_subalgoE5ElNS0_10empty_typeEbEEZZNS1_14partition_implILS5_5ELb0ES3_mN6hipcub16HIPCUB_304000_NS21CountingInputIteratorIllEEPS6_NSA_22TransformInputIteratorIb7NonZeroIaEPalEENS0_5tupleIJPlS6_EEENSJ_IJSD_SD_EEES6_SK_JS6_EEE10hipError_tPvRmT3_T4_T5_T6_T7_T9_mT8_P12ihipStream_tbDpT10_ENKUlT_T0_E_clISt17integral_constantIbLb1EES15_IbLb0EEEEDaS11_S12_EUlS11_E_NS1_11comp_targetILNS1_3genE0ELNS1_11target_archE4294967295ELNS1_3gpuE0ELNS1_3repE0EEENS1_30default_config_static_selectorELNS0_4arch9wavefront6targetE1EEEvT1_,"axG",@progbits,_ZN7rocprim17ROCPRIM_400000_NS6detail17trampoline_kernelINS0_14default_configENS1_25partition_config_selectorILNS1_17partition_subalgoE5ElNS0_10empty_typeEbEEZZNS1_14partition_implILS5_5ELb0ES3_mN6hipcub16HIPCUB_304000_NS21CountingInputIteratorIllEEPS6_NSA_22TransformInputIteratorIb7NonZeroIaEPalEENS0_5tupleIJPlS6_EEENSJ_IJSD_SD_EEES6_SK_JS6_EEE10hipError_tPvRmT3_T4_T5_T6_T7_T9_mT8_P12ihipStream_tbDpT10_ENKUlT_T0_E_clISt17integral_constantIbLb1EES15_IbLb0EEEEDaS11_S12_EUlS11_E_NS1_11comp_targetILNS1_3genE0ELNS1_11target_archE4294967295ELNS1_3gpuE0ELNS1_3repE0EEENS1_30default_config_static_selectorELNS0_4arch9wavefront6targetE1EEEvT1_,comdat
.Lfunc_end63:
	.size	_ZN7rocprim17ROCPRIM_400000_NS6detail17trampoline_kernelINS0_14default_configENS1_25partition_config_selectorILNS1_17partition_subalgoE5ElNS0_10empty_typeEbEEZZNS1_14partition_implILS5_5ELb0ES3_mN6hipcub16HIPCUB_304000_NS21CountingInputIteratorIllEEPS6_NSA_22TransformInputIteratorIb7NonZeroIaEPalEENS0_5tupleIJPlS6_EEENSJ_IJSD_SD_EEES6_SK_JS6_EEE10hipError_tPvRmT3_T4_T5_T6_T7_T9_mT8_P12ihipStream_tbDpT10_ENKUlT_T0_E_clISt17integral_constantIbLb1EES15_IbLb0EEEEDaS11_S12_EUlS11_E_NS1_11comp_targetILNS1_3genE0ELNS1_11target_archE4294967295ELNS1_3gpuE0ELNS1_3repE0EEENS1_30default_config_static_selectorELNS0_4arch9wavefront6targetE1EEEvT1_, .Lfunc_end63-_ZN7rocprim17ROCPRIM_400000_NS6detail17trampoline_kernelINS0_14default_configENS1_25partition_config_selectorILNS1_17partition_subalgoE5ElNS0_10empty_typeEbEEZZNS1_14partition_implILS5_5ELb0ES3_mN6hipcub16HIPCUB_304000_NS21CountingInputIteratorIllEEPS6_NSA_22TransformInputIteratorIb7NonZeroIaEPalEENS0_5tupleIJPlS6_EEENSJ_IJSD_SD_EEES6_SK_JS6_EEE10hipError_tPvRmT3_T4_T5_T6_T7_T9_mT8_P12ihipStream_tbDpT10_ENKUlT_T0_E_clISt17integral_constantIbLb1EES15_IbLb0EEEEDaS11_S12_EUlS11_E_NS1_11comp_targetILNS1_3genE0ELNS1_11target_archE4294967295ELNS1_3gpuE0ELNS1_3repE0EEENS1_30default_config_static_selectorELNS0_4arch9wavefront6targetE1EEEvT1_
                                        ; -- End function
	.set _ZN7rocprim17ROCPRIM_400000_NS6detail17trampoline_kernelINS0_14default_configENS1_25partition_config_selectorILNS1_17partition_subalgoE5ElNS0_10empty_typeEbEEZZNS1_14partition_implILS5_5ELb0ES3_mN6hipcub16HIPCUB_304000_NS21CountingInputIteratorIllEEPS6_NSA_22TransformInputIteratorIb7NonZeroIaEPalEENS0_5tupleIJPlS6_EEENSJ_IJSD_SD_EEES6_SK_JS6_EEE10hipError_tPvRmT3_T4_T5_T6_T7_T9_mT8_P12ihipStream_tbDpT10_ENKUlT_T0_E_clISt17integral_constantIbLb1EES15_IbLb0EEEEDaS11_S12_EUlS11_E_NS1_11comp_targetILNS1_3genE0ELNS1_11target_archE4294967295ELNS1_3gpuE0ELNS1_3repE0EEENS1_30default_config_static_selectorELNS0_4arch9wavefront6targetE1EEEvT1_.num_vgpr, 0
	.set _ZN7rocprim17ROCPRIM_400000_NS6detail17trampoline_kernelINS0_14default_configENS1_25partition_config_selectorILNS1_17partition_subalgoE5ElNS0_10empty_typeEbEEZZNS1_14partition_implILS5_5ELb0ES3_mN6hipcub16HIPCUB_304000_NS21CountingInputIteratorIllEEPS6_NSA_22TransformInputIteratorIb7NonZeroIaEPalEENS0_5tupleIJPlS6_EEENSJ_IJSD_SD_EEES6_SK_JS6_EEE10hipError_tPvRmT3_T4_T5_T6_T7_T9_mT8_P12ihipStream_tbDpT10_ENKUlT_T0_E_clISt17integral_constantIbLb1EES15_IbLb0EEEEDaS11_S12_EUlS11_E_NS1_11comp_targetILNS1_3genE0ELNS1_11target_archE4294967295ELNS1_3gpuE0ELNS1_3repE0EEENS1_30default_config_static_selectorELNS0_4arch9wavefront6targetE1EEEvT1_.num_agpr, 0
	.set _ZN7rocprim17ROCPRIM_400000_NS6detail17trampoline_kernelINS0_14default_configENS1_25partition_config_selectorILNS1_17partition_subalgoE5ElNS0_10empty_typeEbEEZZNS1_14partition_implILS5_5ELb0ES3_mN6hipcub16HIPCUB_304000_NS21CountingInputIteratorIllEEPS6_NSA_22TransformInputIteratorIb7NonZeroIaEPalEENS0_5tupleIJPlS6_EEENSJ_IJSD_SD_EEES6_SK_JS6_EEE10hipError_tPvRmT3_T4_T5_T6_T7_T9_mT8_P12ihipStream_tbDpT10_ENKUlT_T0_E_clISt17integral_constantIbLb1EES15_IbLb0EEEEDaS11_S12_EUlS11_E_NS1_11comp_targetILNS1_3genE0ELNS1_11target_archE4294967295ELNS1_3gpuE0ELNS1_3repE0EEENS1_30default_config_static_selectorELNS0_4arch9wavefront6targetE1EEEvT1_.numbered_sgpr, 0
	.set _ZN7rocprim17ROCPRIM_400000_NS6detail17trampoline_kernelINS0_14default_configENS1_25partition_config_selectorILNS1_17partition_subalgoE5ElNS0_10empty_typeEbEEZZNS1_14partition_implILS5_5ELb0ES3_mN6hipcub16HIPCUB_304000_NS21CountingInputIteratorIllEEPS6_NSA_22TransformInputIteratorIb7NonZeroIaEPalEENS0_5tupleIJPlS6_EEENSJ_IJSD_SD_EEES6_SK_JS6_EEE10hipError_tPvRmT3_T4_T5_T6_T7_T9_mT8_P12ihipStream_tbDpT10_ENKUlT_T0_E_clISt17integral_constantIbLb1EES15_IbLb0EEEEDaS11_S12_EUlS11_E_NS1_11comp_targetILNS1_3genE0ELNS1_11target_archE4294967295ELNS1_3gpuE0ELNS1_3repE0EEENS1_30default_config_static_selectorELNS0_4arch9wavefront6targetE1EEEvT1_.num_named_barrier, 0
	.set _ZN7rocprim17ROCPRIM_400000_NS6detail17trampoline_kernelINS0_14default_configENS1_25partition_config_selectorILNS1_17partition_subalgoE5ElNS0_10empty_typeEbEEZZNS1_14partition_implILS5_5ELb0ES3_mN6hipcub16HIPCUB_304000_NS21CountingInputIteratorIllEEPS6_NSA_22TransformInputIteratorIb7NonZeroIaEPalEENS0_5tupleIJPlS6_EEENSJ_IJSD_SD_EEES6_SK_JS6_EEE10hipError_tPvRmT3_T4_T5_T6_T7_T9_mT8_P12ihipStream_tbDpT10_ENKUlT_T0_E_clISt17integral_constantIbLb1EES15_IbLb0EEEEDaS11_S12_EUlS11_E_NS1_11comp_targetILNS1_3genE0ELNS1_11target_archE4294967295ELNS1_3gpuE0ELNS1_3repE0EEENS1_30default_config_static_selectorELNS0_4arch9wavefront6targetE1EEEvT1_.private_seg_size, 0
	.set _ZN7rocprim17ROCPRIM_400000_NS6detail17trampoline_kernelINS0_14default_configENS1_25partition_config_selectorILNS1_17partition_subalgoE5ElNS0_10empty_typeEbEEZZNS1_14partition_implILS5_5ELb0ES3_mN6hipcub16HIPCUB_304000_NS21CountingInputIteratorIllEEPS6_NSA_22TransformInputIteratorIb7NonZeroIaEPalEENS0_5tupleIJPlS6_EEENSJ_IJSD_SD_EEES6_SK_JS6_EEE10hipError_tPvRmT3_T4_T5_T6_T7_T9_mT8_P12ihipStream_tbDpT10_ENKUlT_T0_E_clISt17integral_constantIbLb1EES15_IbLb0EEEEDaS11_S12_EUlS11_E_NS1_11comp_targetILNS1_3genE0ELNS1_11target_archE4294967295ELNS1_3gpuE0ELNS1_3repE0EEENS1_30default_config_static_selectorELNS0_4arch9wavefront6targetE1EEEvT1_.uses_vcc, 0
	.set _ZN7rocprim17ROCPRIM_400000_NS6detail17trampoline_kernelINS0_14default_configENS1_25partition_config_selectorILNS1_17partition_subalgoE5ElNS0_10empty_typeEbEEZZNS1_14partition_implILS5_5ELb0ES3_mN6hipcub16HIPCUB_304000_NS21CountingInputIteratorIllEEPS6_NSA_22TransformInputIteratorIb7NonZeroIaEPalEENS0_5tupleIJPlS6_EEENSJ_IJSD_SD_EEES6_SK_JS6_EEE10hipError_tPvRmT3_T4_T5_T6_T7_T9_mT8_P12ihipStream_tbDpT10_ENKUlT_T0_E_clISt17integral_constantIbLb1EES15_IbLb0EEEEDaS11_S12_EUlS11_E_NS1_11comp_targetILNS1_3genE0ELNS1_11target_archE4294967295ELNS1_3gpuE0ELNS1_3repE0EEENS1_30default_config_static_selectorELNS0_4arch9wavefront6targetE1EEEvT1_.uses_flat_scratch, 0
	.set _ZN7rocprim17ROCPRIM_400000_NS6detail17trampoline_kernelINS0_14default_configENS1_25partition_config_selectorILNS1_17partition_subalgoE5ElNS0_10empty_typeEbEEZZNS1_14partition_implILS5_5ELb0ES3_mN6hipcub16HIPCUB_304000_NS21CountingInputIteratorIllEEPS6_NSA_22TransformInputIteratorIb7NonZeroIaEPalEENS0_5tupleIJPlS6_EEENSJ_IJSD_SD_EEES6_SK_JS6_EEE10hipError_tPvRmT3_T4_T5_T6_T7_T9_mT8_P12ihipStream_tbDpT10_ENKUlT_T0_E_clISt17integral_constantIbLb1EES15_IbLb0EEEEDaS11_S12_EUlS11_E_NS1_11comp_targetILNS1_3genE0ELNS1_11target_archE4294967295ELNS1_3gpuE0ELNS1_3repE0EEENS1_30default_config_static_selectorELNS0_4arch9wavefront6targetE1EEEvT1_.has_dyn_sized_stack, 0
	.set _ZN7rocprim17ROCPRIM_400000_NS6detail17trampoline_kernelINS0_14default_configENS1_25partition_config_selectorILNS1_17partition_subalgoE5ElNS0_10empty_typeEbEEZZNS1_14partition_implILS5_5ELb0ES3_mN6hipcub16HIPCUB_304000_NS21CountingInputIteratorIllEEPS6_NSA_22TransformInputIteratorIb7NonZeroIaEPalEENS0_5tupleIJPlS6_EEENSJ_IJSD_SD_EEES6_SK_JS6_EEE10hipError_tPvRmT3_T4_T5_T6_T7_T9_mT8_P12ihipStream_tbDpT10_ENKUlT_T0_E_clISt17integral_constantIbLb1EES15_IbLb0EEEEDaS11_S12_EUlS11_E_NS1_11comp_targetILNS1_3genE0ELNS1_11target_archE4294967295ELNS1_3gpuE0ELNS1_3repE0EEENS1_30default_config_static_selectorELNS0_4arch9wavefront6targetE1EEEvT1_.has_recursion, 0
	.set _ZN7rocprim17ROCPRIM_400000_NS6detail17trampoline_kernelINS0_14default_configENS1_25partition_config_selectorILNS1_17partition_subalgoE5ElNS0_10empty_typeEbEEZZNS1_14partition_implILS5_5ELb0ES3_mN6hipcub16HIPCUB_304000_NS21CountingInputIteratorIllEEPS6_NSA_22TransformInputIteratorIb7NonZeroIaEPalEENS0_5tupleIJPlS6_EEENSJ_IJSD_SD_EEES6_SK_JS6_EEE10hipError_tPvRmT3_T4_T5_T6_T7_T9_mT8_P12ihipStream_tbDpT10_ENKUlT_T0_E_clISt17integral_constantIbLb1EES15_IbLb0EEEEDaS11_S12_EUlS11_E_NS1_11comp_targetILNS1_3genE0ELNS1_11target_archE4294967295ELNS1_3gpuE0ELNS1_3repE0EEENS1_30default_config_static_selectorELNS0_4arch9wavefront6targetE1EEEvT1_.has_indirect_call, 0
	.section	.AMDGPU.csdata,"",@progbits
; Kernel info:
; codeLenInByte = 4
; TotalNumSgprs: 6
; NumVgprs: 0
; NumAgprs: 0
; TotalNumVgprs: 0
; ScratchSize: 0
; MemoryBound: 0
; FloatMode: 240
; IeeeMode: 1
; LDSByteSize: 0 bytes/workgroup (compile time only)
; SGPRBlocks: 0
; VGPRBlocks: 0
; NumSGPRsForWavesPerEU: 6
; NumVGPRsForWavesPerEU: 1
; AccumOffset: 4
; Occupancy: 8
; WaveLimiterHint : 0
; COMPUTE_PGM_RSRC2:SCRATCH_EN: 0
; COMPUTE_PGM_RSRC2:USER_SGPR: 2
; COMPUTE_PGM_RSRC2:TRAP_HANDLER: 0
; COMPUTE_PGM_RSRC2:TGID_X_EN: 1
; COMPUTE_PGM_RSRC2:TGID_Y_EN: 0
; COMPUTE_PGM_RSRC2:TGID_Z_EN: 0
; COMPUTE_PGM_RSRC2:TIDIG_COMP_CNT: 0
; COMPUTE_PGM_RSRC3_GFX90A:ACCUM_OFFSET: 0
; COMPUTE_PGM_RSRC3_GFX90A:TG_SPLIT: 0
	.section	.text._ZN7rocprim17ROCPRIM_400000_NS6detail17trampoline_kernelINS0_14default_configENS1_25partition_config_selectorILNS1_17partition_subalgoE5ElNS0_10empty_typeEbEEZZNS1_14partition_implILS5_5ELb0ES3_mN6hipcub16HIPCUB_304000_NS21CountingInputIteratorIllEEPS6_NSA_22TransformInputIteratorIb7NonZeroIaEPalEENS0_5tupleIJPlS6_EEENSJ_IJSD_SD_EEES6_SK_JS6_EEE10hipError_tPvRmT3_T4_T5_T6_T7_T9_mT8_P12ihipStream_tbDpT10_ENKUlT_T0_E_clISt17integral_constantIbLb1EES15_IbLb0EEEEDaS11_S12_EUlS11_E_NS1_11comp_targetILNS1_3genE5ELNS1_11target_archE942ELNS1_3gpuE9ELNS1_3repE0EEENS1_30default_config_static_selectorELNS0_4arch9wavefront6targetE1EEEvT1_,"axG",@progbits,_ZN7rocprim17ROCPRIM_400000_NS6detail17trampoline_kernelINS0_14default_configENS1_25partition_config_selectorILNS1_17partition_subalgoE5ElNS0_10empty_typeEbEEZZNS1_14partition_implILS5_5ELb0ES3_mN6hipcub16HIPCUB_304000_NS21CountingInputIteratorIllEEPS6_NSA_22TransformInputIteratorIb7NonZeroIaEPalEENS0_5tupleIJPlS6_EEENSJ_IJSD_SD_EEES6_SK_JS6_EEE10hipError_tPvRmT3_T4_T5_T6_T7_T9_mT8_P12ihipStream_tbDpT10_ENKUlT_T0_E_clISt17integral_constantIbLb1EES15_IbLb0EEEEDaS11_S12_EUlS11_E_NS1_11comp_targetILNS1_3genE5ELNS1_11target_archE942ELNS1_3gpuE9ELNS1_3repE0EEENS1_30default_config_static_selectorELNS0_4arch9wavefront6targetE1EEEvT1_,comdat
	.protected	_ZN7rocprim17ROCPRIM_400000_NS6detail17trampoline_kernelINS0_14default_configENS1_25partition_config_selectorILNS1_17partition_subalgoE5ElNS0_10empty_typeEbEEZZNS1_14partition_implILS5_5ELb0ES3_mN6hipcub16HIPCUB_304000_NS21CountingInputIteratorIllEEPS6_NSA_22TransformInputIteratorIb7NonZeroIaEPalEENS0_5tupleIJPlS6_EEENSJ_IJSD_SD_EEES6_SK_JS6_EEE10hipError_tPvRmT3_T4_T5_T6_T7_T9_mT8_P12ihipStream_tbDpT10_ENKUlT_T0_E_clISt17integral_constantIbLb1EES15_IbLb0EEEEDaS11_S12_EUlS11_E_NS1_11comp_targetILNS1_3genE5ELNS1_11target_archE942ELNS1_3gpuE9ELNS1_3repE0EEENS1_30default_config_static_selectorELNS0_4arch9wavefront6targetE1EEEvT1_ ; -- Begin function _ZN7rocprim17ROCPRIM_400000_NS6detail17trampoline_kernelINS0_14default_configENS1_25partition_config_selectorILNS1_17partition_subalgoE5ElNS0_10empty_typeEbEEZZNS1_14partition_implILS5_5ELb0ES3_mN6hipcub16HIPCUB_304000_NS21CountingInputIteratorIllEEPS6_NSA_22TransformInputIteratorIb7NonZeroIaEPalEENS0_5tupleIJPlS6_EEENSJ_IJSD_SD_EEES6_SK_JS6_EEE10hipError_tPvRmT3_T4_T5_T6_T7_T9_mT8_P12ihipStream_tbDpT10_ENKUlT_T0_E_clISt17integral_constantIbLb1EES15_IbLb0EEEEDaS11_S12_EUlS11_E_NS1_11comp_targetILNS1_3genE5ELNS1_11target_archE942ELNS1_3gpuE9ELNS1_3repE0EEENS1_30default_config_static_selectorELNS0_4arch9wavefront6targetE1EEEvT1_
	.globl	_ZN7rocprim17ROCPRIM_400000_NS6detail17trampoline_kernelINS0_14default_configENS1_25partition_config_selectorILNS1_17partition_subalgoE5ElNS0_10empty_typeEbEEZZNS1_14partition_implILS5_5ELb0ES3_mN6hipcub16HIPCUB_304000_NS21CountingInputIteratorIllEEPS6_NSA_22TransformInputIteratorIb7NonZeroIaEPalEENS0_5tupleIJPlS6_EEENSJ_IJSD_SD_EEES6_SK_JS6_EEE10hipError_tPvRmT3_T4_T5_T6_T7_T9_mT8_P12ihipStream_tbDpT10_ENKUlT_T0_E_clISt17integral_constantIbLb1EES15_IbLb0EEEEDaS11_S12_EUlS11_E_NS1_11comp_targetILNS1_3genE5ELNS1_11target_archE942ELNS1_3gpuE9ELNS1_3repE0EEENS1_30default_config_static_selectorELNS0_4arch9wavefront6targetE1EEEvT1_
	.p2align	8
	.type	_ZN7rocprim17ROCPRIM_400000_NS6detail17trampoline_kernelINS0_14default_configENS1_25partition_config_selectorILNS1_17partition_subalgoE5ElNS0_10empty_typeEbEEZZNS1_14partition_implILS5_5ELb0ES3_mN6hipcub16HIPCUB_304000_NS21CountingInputIteratorIllEEPS6_NSA_22TransformInputIteratorIb7NonZeroIaEPalEENS0_5tupleIJPlS6_EEENSJ_IJSD_SD_EEES6_SK_JS6_EEE10hipError_tPvRmT3_T4_T5_T6_T7_T9_mT8_P12ihipStream_tbDpT10_ENKUlT_T0_E_clISt17integral_constantIbLb1EES15_IbLb0EEEEDaS11_S12_EUlS11_E_NS1_11comp_targetILNS1_3genE5ELNS1_11target_archE942ELNS1_3gpuE9ELNS1_3repE0EEENS1_30default_config_static_selectorELNS0_4arch9wavefront6targetE1EEEvT1_,@function
_ZN7rocprim17ROCPRIM_400000_NS6detail17trampoline_kernelINS0_14default_configENS1_25partition_config_selectorILNS1_17partition_subalgoE5ElNS0_10empty_typeEbEEZZNS1_14partition_implILS5_5ELb0ES3_mN6hipcub16HIPCUB_304000_NS21CountingInputIteratorIllEEPS6_NSA_22TransformInputIteratorIb7NonZeroIaEPalEENS0_5tupleIJPlS6_EEENSJ_IJSD_SD_EEES6_SK_JS6_EEE10hipError_tPvRmT3_T4_T5_T6_T7_T9_mT8_P12ihipStream_tbDpT10_ENKUlT_T0_E_clISt17integral_constantIbLb1EES15_IbLb0EEEEDaS11_S12_EUlS11_E_NS1_11comp_targetILNS1_3genE5ELNS1_11target_archE942ELNS1_3gpuE9ELNS1_3repE0EEENS1_30default_config_static_selectorELNS0_4arch9wavefront6targetE1EEEvT1_: ; @_ZN7rocprim17ROCPRIM_400000_NS6detail17trampoline_kernelINS0_14default_configENS1_25partition_config_selectorILNS1_17partition_subalgoE5ElNS0_10empty_typeEbEEZZNS1_14partition_implILS5_5ELb0ES3_mN6hipcub16HIPCUB_304000_NS21CountingInputIteratorIllEEPS6_NSA_22TransformInputIteratorIb7NonZeroIaEPalEENS0_5tupleIJPlS6_EEENSJ_IJSD_SD_EEES6_SK_JS6_EEE10hipError_tPvRmT3_T4_T5_T6_T7_T9_mT8_P12ihipStream_tbDpT10_ENKUlT_T0_E_clISt17integral_constantIbLb1EES15_IbLb0EEEEDaS11_S12_EUlS11_E_NS1_11comp_targetILNS1_3genE5ELNS1_11target_archE942ELNS1_3gpuE9ELNS1_3repE0EEENS1_30default_config_static_selectorELNS0_4arch9wavefront6targetE1EEEvT1_
; %bb.0:
	.section	.rodata,"a",@progbits
	.p2align	6, 0x0
	.amdhsa_kernel _ZN7rocprim17ROCPRIM_400000_NS6detail17trampoline_kernelINS0_14default_configENS1_25partition_config_selectorILNS1_17partition_subalgoE5ElNS0_10empty_typeEbEEZZNS1_14partition_implILS5_5ELb0ES3_mN6hipcub16HIPCUB_304000_NS21CountingInputIteratorIllEEPS6_NSA_22TransformInputIteratorIb7NonZeroIaEPalEENS0_5tupleIJPlS6_EEENSJ_IJSD_SD_EEES6_SK_JS6_EEE10hipError_tPvRmT3_T4_T5_T6_T7_T9_mT8_P12ihipStream_tbDpT10_ENKUlT_T0_E_clISt17integral_constantIbLb1EES15_IbLb0EEEEDaS11_S12_EUlS11_E_NS1_11comp_targetILNS1_3genE5ELNS1_11target_archE942ELNS1_3gpuE9ELNS1_3repE0EEENS1_30default_config_static_selectorELNS0_4arch9wavefront6targetE1EEEvT1_
		.amdhsa_group_segment_fixed_size 0
		.amdhsa_private_segment_fixed_size 0
		.amdhsa_kernarg_size 120
		.amdhsa_user_sgpr_count 2
		.amdhsa_user_sgpr_dispatch_ptr 0
		.amdhsa_user_sgpr_queue_ptr 0
		.amdhsa_user_sgpr_kernarg_segment_ptr 1
		.amdhsa_user_sgpr_dispatch_id 0
		.amdhsa_user_sgpr_kernarg_preload_length 0
		.amdhsa_user_sgpr_kernarg_preload_offset 0
		.amdhsa_user_sgpr_private_segment_size 0
		.amdhsa_uses_dynamic_stack 0
		.amdhsa_enable_private_segment 0
		.amdhsa_system_sgpr_workgroup_id_x 1
		.amdhsa_system_sgpr_workgroup_id_y 0
		.amdhsa_system_sgpr_workgroup_id_z 0
		.amdhsa_system_sgpr_workgroup_info 0
		.amdhsa_system_vgpr_workitem_id 0
		.amdhsa_next_free_vgpr 1
		.amdhsa_next_free_sgpr 0
		.amdhsa_accum_offset 4
		.amdhsa_reserve_vcc 0
		.amdhsa_float_round_mode_32 0
		.amdhsa_float_round_mode_16_64 0
		.amdhsa_float_denorm_mode_32 3
		.amdhsa_float_denorm_mode_16_64 3
		.amdhsa_dx10_clamp 1
		.amdhsa_ieee_mode 1
		.amdhsa_fp16_overflow 0
		.amdhsa_tg_split 0
		.amdhsa_exception_fp_ieee_invalid_op 0
		.amdhsa_exception_fp_denorm_src 0
		.amdhsa_exception_fp_ieee_div_zero 0
		.amdhsa_exception_fp_ieee_overflow 0
		.amdhsa_exception_fp_ieee_underflow 0
		.amdhsa_exception_fp_ieee_inexact 0
		.amdhsa_exception_int_div_zero 0
	.end_amdhsa_kernel
	.section	.text._ZN7rocprim17ROCPRIM_400000_NS6detail17trampoline_kernelINS0_14default_configENS1_25partition_config_selectorILNS1_17partition_subalgoE5ElNS0_10empty_typeEbEEZZNS1_14partition_implILS5_5ELb0ES3_mN6hipcub16HIPCUB_304000_NS21CountingInputIteratorIllEEPS6_NSA_22TransformInputIteratorIb7NonZeroIaEPalEENS0_5tupleIJPlS6_EEENSJ_IJSD_SD_EEES6_SK_JS6_EEE10hipError_tPvRmT3_T4_T5_T6_T7_T9_mT8_P12ihipStream_tbDpT10_ENKUlT_T0_E_clISt17integral_constantIbLb1EES15_IbLb0EEEEDaS11_S12_EUlS11_E_NS1_11comp_targetILNS1_3genE5ELNS1_11target_archE942ELNS1_3gpuE9ELNS1_3repE0EEENS1_30default_config_static_selectorELNS0_4arch9wavefront6targetE1EEEvT1_,"axG",@progbits,_ZN7rocprim17ROCPRIM_400000_NS6detail17trampoline_kernelINS0_14default_configENS1_25partition_config_selectorILNS1_17partition_subalgoE5ElNS0_10empty_typeEbEEZZNS1_14partition_implILS5_5ELb0ES3_mN6hipcub16HIPCUB_304000_NS21CountingInputIteratorIllEEPS6_NSA_22TransformInputIteratorIb7NonZeroIaEPalEENS0_5tupleIJPlS6_EEENSJ_IJSD_SD_EEES6_SK_JS6_EEE10hipError_tPvRmT3_T4_T5_T6_T7_T9_mT8_P12ihipStream_tbDpT10_ENKUlT_T0_E_clISt17integral_constantIbLb1EES15_IbLb0EEEEDaS11_S12_EUlS11_E_NS1_11comp_targetILNS1_3genE5ELNS1_11target_archE942ELNS1_3gpuE9ELNS1_3repE0EEENS1_30default_config_static_selectorELNS0_4arch9wavefront6targetE1EEEvT1_,comdat
.Lfunc_end64:
	.size	_ZN7rocprim17ROCPRIM_400000_NS6detail17trampoline_kernelINS0_14default_configENS1_25partition_config_selectorILNS1_17partition_subalgoE5ElNS0_10empty_typeEbEEZZNS1_14partition_implILS5_5ELb0ES3_mN6hipcub16HIPCUB_304000_NS21CountingInputIteratorIllEEPS6_NSA_22TransformInputIteratorIb7NonZeroIaEPalEENS0_5tupleIJPlS6_EEENSJ_IJSD_SD_EEES6_SK_JS6_EEE10hipError_tPvRmT3_T4_T5_T6_T7_T9_mT8_P12ihipStream_tbDpT10_ENKUlT_T0_E_clISt17integral_constantIbLb1EES15_IbLb0EEEEDaS11_S12_EUlS11_E_NS1_11comp_targetILNS1_3genE5ELNS1_11target_archE942ELNS1_3gpuE9ELNS1_3repE0EEENS1_30default_config_static_selectorELNS0_4arch9wavefront6targetE1EEEvT1_, .Lfunc_end64-_ZN7rocprim17ROCPRIM_400000_NS6detail17trampoline_kernelINS0_14default_configENS1_25partition_config_selectorILNS1_17partition_subalgoE5ElNS0_10empty_typeEbEEZZNS1_14partition_implILS5_5ELb0ES3_mN6hipcub16HIPCUB_304000_NS21CountingInputIteratorIllEEPS6_NSA_22TransformInputIteratorIb7NonZeroIaEPalEENS0_5tupleIJPlS6_EEENSJ_IJSD_SD_EEES6_SK_JS6_EEE10hipError_tPvRmT3_T4_T5_T6_T7_T9_mT8_P12ihipStream_tbDpT10_ENKUlT_T0_E_clISt17integral_constantIbLb1EES15_IbLb0EEEEDaS11_S12_EUlS11_E_NS1_11comp_targetILNS1_3genE5ELNS1_11target_archE942ELNS1_3gpuE9ELNS1_3repE0EEENS1_30default_config_static_selectorELNS0_4arch9wavefront6targetE1EEEvT1_
                                        ; -- End function
	.set _ZN7rocprim17ROCPRIM_400000_NS6detail17trampoline_kernelINS0_14default_configENS1_25partition_config_selectorILNS1_17partition_subalgoE5ElNS0_10empty_typeEbEEZZNS1_14partition_implILS5_5ELb0ES3_mN6hipcub16HIPCUB_304000_NS21CountingInputIteratorIllEEPS6_NSA_22TransformInputIteratorIb7NonZeroIaEPalEENS0_5tupleIJPlS6_EEENSJ_IJSD_SD_EEES6_SK_JS6_EEE10hipError_tPvRmT3_T4_T5_T6_T7_T9_mT8_P12ihipStream_tbDpT10_ENKUlT_T0_E_clISt17integral_constantIbLb1EES15_IbLb0EEEEDaS11_S12_EUlS11_E_NS1_11comp_targetILNS1_3genE5ELNS1_11target_archE942ELNS1_3gpuE9ELNS1_3repE0EEENS1_30default_config_static_selectorELNS0_4arch9wavefront6targetE1EEEvT1_.num_vgpr, 0
	.set _ZN7rocprim17ROCPRIM_400000_NS6detail17trampoline_kernelINS0_14default_configENS1_25partition_config_selectorILNS1_17partition_subalgoE5ElNS0_10empty_typeEbEEZZNS1_14partition_implILS5_5ELb0ES3_mN6hipcub16HIPCUB_304000_NS21CountingInputIteratorIllEEPS6_NSA_22TransformInputIteratorIb7NonZeroIaEPalEENS0_5tupleIJPlS6_EEENSJ_IJSD_SD_EEES6_SK_JS6_EEE10hipError_tPvRmT3_T4_T5_T6_T7_T9_mT8_P12ihipStream_tbDpT10_ENKUlT_T0_E_clISt17integral_constantIbLb1EES15_IbLb0EEEEDaS11_S12_EUlS11_E_NS1_11comp_targetILNS1_3genE5ELNS1_11target_archE942ELNS1_3gpuE9ELNS1_3repE0EEENS1_30default_config_static_selectorELNS0_4arch9wavefront6targetE1EEEvT1_.num_agpr, 0
	.set _ZN7rocprim17ROCPRIM_400000_NS6detail17trampoline_kernelINS0_14default_configENS1_25partition_config_selectorILNS1_17partition_subalgoE5ElNS0_10empty_typeEbEEZZNS1_14partition_implILS5_5ELb0ES3_mN6hipcub16HIPCUB_304000_NS21CountingInputIteratorIllEEPS6_NSA_22TransformInputIteratorIb7NonZeroIaEPalEENS0_5tupleIJPlS6_EEENSJ_IJSD_SD_EEES6_SK_JS6_EEE10hipError_tPvRmT3_T4_T5_T6_T7_T9_mT8_P12ihipStream_tbDpT10_ENKUlT_T0_E_clISt17integral_constantIbLb1EES15_IbLb0EEEEDaS11_S12_EUlS11_E_NS1_11comp_targetILNS1_3genE5ELNS1_11target_archE942ELNS1_3gpuE9ELNS1_3repE0EEENS1_30default_config_static_selectorELNS0_4arch9wavefront6targetE1EEEvT1_.numbered_sgpr, 0
	.set _ZN7rocprim17ROCPRIM_400000_NS6detail17trampoline_kernelINS0_14default_configENS1_25partition_config_selectorILNS1_17partition_subalgoE5ElNS0_10empty_typeEbEEZZNS1_14partition_implILS5_5ELb0ES3_mN6hipcub16HIPCUB_304000_NS21CountingInputIteratorIllEEPS6_NSA_22TransformInputIteratorIb7NonZeroIaEPalEENS0_5tupleIJPlS6_EEENSJ_IJSD_SD_EEES6_SK_JS6_EEE10hipError_tPvRmT3_T4_T5_T6_T7_T9_mT8_P12ihipStream_tbDpT10_ENKUlT_T0_E_clISt17integral_constantIbLb1EES15_IbLb0EEEEDaS11_S12_EUlS11_E_NS1_11comp_targetILNS1_3genE5ELNS1_11target_archE942ELNS1_3gpuE9ELNS1_3repE0EEENS1_30default_config_static_selectorELNS0_4arch9wavefront6targetE1EEEvT1_.num_named_barrier, 0
	.set _ZN7rocprim17ROCPRIM_400000_NS6detail17trampoline_kernelINS0_14default_configENS1_25partition_config_selectorILNS1_17partition_subalgoE5ElNS0_10empty_typeEbEEZZNS1_14partition_implILS5_5ELb0ES3_mN6hipcub16HIPCUB_304000_NS21CountingInputIteratorIllEEPS6_NSA_22TransformInputIteratorIb7NonZeroIaEPalEENS0_5tupleIJPlS6_EEENSJ_IJSD_SD_EEES6_SK_JS6_EEE10hipError_tPvRmT3_T4_T5_T6_T7_T9_mT8_P12ihipStream_tbDpT10_ENKUlT_T0_E_clISt17integral_constantIbLb1EES15_IbLb0EEEEDaS11_S12_EUlS11_E_NS1_11comp_targetILNS1_3genE5ELNS1_11target_archE942ELNS1_3gpuE9ELNS1_3repE0EEENS1_30default_config_static_selectorELNS0_4arch9wavefront6targetE1EEEvT1_.private_seg_size, 0
	.set _ZN7rocprim17ROCPRIM_400000_NS6detail17trampoline_kernelINS0_14default_configENS1_25partition_config_selectorILNS1_17partition_subalgoE5ElNS0_10empty_typeEbEEZZNS1_14partition_implILS5_5ELb0ES3_mN6hipcub16HIPCUB_304000_NS21CountingInputIteratorIllEEPS6_NSA_22TransformInputIteratorIb7NonZeroIaEPalEENS0_5tupleIJPlS6_EEENSJ_IJSD_SD_EEES6_SK_JS6_EEE10hipError_tPvRmT3_T4_T5_T6_T7_T9_mT8_P12ihipStream_tbDpT10_ENKUlT_T0_E_clISt17integral_constantIbLb1EES15_IbLb0EEEEDaS11_S12_EUlS11_E_NS1_11comp_targetILNS1_3genE5ELNS1_11target_archE942ELNS1_3gpuE9ELNS1_3repE0EEENS1_30default_config_static_selectorELNS0_4arch9wavefront6targetE1EEEvT1_.uses_vcc, 0
	.set _ZN7rocprim17ROCPRIM_400000_NS6detail17trampoline_kernelINS0_14default_configENS1_25partition_config_selectorILNS1_17partition_subalgoE5ElNS0_10empty_typeEbEEZZNS1_14partition_implILS5_5ELb0ES3_mN6hipcub16HIPCUB_304000_NS21CountingInputIteratorIllEEPS6_NSA_22TransformInputIteratorIb7NonZeroIaEPalEENS0_5tupleIJPlS6_EEENSJ_IJSD_SD_EEES6_SK_JS6_EEE10hipError_tPvRmT3_T4_T5_T6_T7_T9_mT8_P12ihipStream_tbDpT10_ENKUlT_T0_E_clISt17integral_constantIbLb1EES15_IbLb0EEEEDaS11_S12_EUlS11_E_NS1_11comp_targetILNS1_3genE5ELNS1_11target_archE942ELNS1_3gpuE9ELNS1_3repE0EEENS1_30default_config_static_selectorELNS0_4arch9wavefront6targetE1EEEvT1_.uses_flat_scratch, 0
	.set _ZN7rocprim17ROCPRIM_400000_NS6detail17trampoline_kernelINS0_14default_configENS1_25partition_config_selectorILNS1_17partition_subalgoE5ElNS0_10empty_typeEbEEZZNS1_14partition_implILS5_5ELb0ES3_mN6hipcub16HIPCUB_304000_NS21CountingInputIteratorIllEEPS6_NSA_22TransformInputIteratorIb7NonZeroIaEPalEENS0_5tupleIJPlS6_EEENSJ_IJSD_SD_EEES6_SK_JS6_EEE10hipError_tPvRmT3_T4_T5_T6_T7_T9_mT8_P12ihipStream_tbDpT10_ENKUlT_T0_E_clISt17integral_constantIbLb1EES15_IbLb0EEEEDaS11_S12_EUlS11_E_NS1_11comp_targetILNS1_3genE5ELNS1_11target_archE942ELNS1_3gpuE9ELNS1_3repE0EEENS1_30default_config_static_selectorELNS0_4arch9wavefront6targetE1EEEvT1_.has_dyn_sized_stack, 0
	.set _ZN7rocprim17ROCPRIM_400000_NS6detail17trampoline_kernelINS0_14default_configENS1_25partition_config_selectorILNS1_17partition_subalgoE5ElNS0_10empty_typeEbEEZZNS1_14partition_implILS5_5ELb0ES3_mN6hipcub16HIPCUB_304000_NS21CountingInputIteratorIllEEPS6_NSA_22TransformInputIteratorIb7NonZeroIaEPalEENS0_5tupleIJPlS6_EEENSJ_IJSD_SD_EEES6_SK_JS6_EEE10hipError_tPvRmT3_T4_T5_T6_T7_T9_mT8_P12ihipStream_tbDpT10_ENKUlT_T0_E_clISt17integral_constantIbLb1EES15_IbLb0EEEEDaS11_S12_EUlS11_E_NS1_11comp_targetILNS1_3genE5ELNS1_11target_archE942ELNS1_3gpuE9ELNS1_3repE0EEENS1_30default_config_static_selectorELNS0_4arch9wavefront6targetE1EEEvT1_.has_recursion, 0
	.set _ZN7rocprim17ROCPRIM_400000_NS6detail17trampoline_kernelINS0_14default_configENS1_25partition_config_selectorILNS1_17partition_subalgoE5ElNS0_10empty_typeEbEEZZNS1_14partition_implILS5_5ELb0ES3_mN6hipcub16HIPCUB_304000_NS21CountingInputIteratorIllEEPS6_NSA_22TransformInputIteratorIb7NonZeroIaEPalEENS0_5tupleIJPlS6_EEENSJ_IJSD_SD_EEES6_SK_JS6_EEE10hipError_tPvRmT3_T4_T5_T6_T7_T9_mT8_P12ihipStream_tbDpT10_ENKUlT_T0_E_clISt17integral_constantIbLb1EES15_IbLb0EEEEDaS11_S12_EUlS11_E_NS1_11comp_targetILNS1_3genE5ELNS1_11target_archE942ELNS1_3gpuE9ELNS1_3repE0EEENS1_30default_config_static_selectorELNS0_4arch9wavefront6targetE1EEEvT1_.has_indirect_call, 0
	.section	.AMDGPU.csdata,"",@progbits
; Kernel info:
; codeLenInByte = 0
; TotalNumSgprs: 6
; NumVgprs: 0
; NumAgprs: 0
; TotalNumVgprs: 0
; ScratchSize: 0
; MemoryBound: 0
; FloatMode: 240
; IeeeMode: 1
; LDSByteSize: 0 bytes/workgroup (compile time only)
; SGPRBlocks: 0
; VGPRBlocks: 0
; NumSGPRsForWavesPerEU: 6
; NumVGPRsForWavesPerEU: 1
; AccumOffset: 4
; Occupancy: 8
; WaveLimiterHint : 0
; COMPUTE_PGM_RSRC2:SCRATCH_EN: 0
; COMPUTE_PGM_RSRC2:USER_SGPR: 2
; COMPUTE_PGM_RSRC2:TRAP_HANDLER: 0
; COMPUTE_PGM_RSRC2:TGID_X_EN: 1
; COMPUTE_PGM_RSRC2:TGID_Y_EN: 0
; COMPUTE_PGM_RSRC2:TGID_Z_EN: 0
; COMPUTE_PGM_RSRC2:TIDIG_COMP_CNT: 0
; COMPUTE_PGM_RSRC3_GFX90A:ACCUM_OFFSET: 0
; COMPUTE_PGM_RSRC3_GFX90A:TG_SPLIT: 0
	.section	.text._ZN7rocprim17ROCPRIM_400000_NS6detail17trampoline_kernelINS0_14default_configENS1_25partition_config_selectorILNS1_17partition_subalgoE5ElNS0_10empty_typeEbEEZZNS1_14partition_implILS5_5ELb0ES3_mN6hipcub16HIPCUB_304000_NS21CountingInputIteratorIllEEPS6_NSA_22TransformInputIteratorIb7NonZeroIaEPalEENS0_5tupleIJPlS6_EEENSJ_IJSD_SD_EEES6_SK_JS6_EEE10hipError_tPvRmT3_T4_T5_T6_T7_T9_mT8_P12ihipStream_tbDpT10_ENKUlT_T0_E_clISt17integral_constantIbLb1EES15_IbLb0EEEEDaS11_S12_EUlS11_E_NS1_11comp_targetILNS1_3genE4ELNS1_11target_archE910ELNS1_3gpuE8ELNS1_3repE0EEENS1_30default_config_static_selectorELNS0_4arch9wavefront6targetE1EEEvT1_,"axG",@progbits,_ZN7rocprim17ROCPRIM_400000_NS6detail17trampoline_kernelINS0_14default_configENS1_25partition_config_selectorILNS1_17partition_subalgoE5ElNS0_10empty_typeEbEEZZNS1_14partition_implILS5_5ELb0ES3_mN6hipcub16HIPCUB_304000_NS21CountingInputIteratorIllEEPS6_NSA_22TransformInputIteratorIb7NonZeroIaEPalEENS0_5tupleIJPlS6_EEENSJ_IJSD_SD_EEES6_SK_JS6_EEE10hipError_tPvRmT3_T4_T5_T6_T7_T9_mT8_P12ihipStream_tbDpT10_ENKUlT_T0_E_clISt17integral_constantIbLb1EES15_IbLb0EEEEDaS11_S12_EUlS11_E_NS1_11comp_targetILNS1_3genE4ELNS1_11target_archE910ELNS1_3gpuE8ELNS1_3repE0EEENS1_30default_config_static_selectorELNS0_4arch9wavefront6targetE1EEEvT1_,comdat
	.protected	_ZN7rocprim17ROCPRIM_400000_NS6detail17trampoline_kernelINS0_14default_configENS1_25partition_config_selectorILNS1_17partition_subalgoE5ElNS0_10empty_typeEbEEZZNS1_14partition_implILS5_5ELb0ES3_mN6hipcub16HIPCUB_304000_NS21CountingInputIteratorIllEEPS6_NSA_22TransformInputIteratorIb7NonZeroIaEPalEENS0_5tupleIJPlS6_EEENSJ_IJSD_SD_EEES6_SK_JS6_EEE10hipError_tPvRmT3_T4_T5_T6_T7_T9_mT8_P12ihipStream_tbDpT10_ENKUlT_T0_E_clISt17integral_constantIbLb1EES15_IbLb0EEEEDaS11_S12_EUlS11_E_NS1_11comp_targetILNS1_3genE4ELNS1_11target_archE910ELNS1_3gpuE8ELNS1_3repE0EEENS1_30default_config_static_selectorELNS0_4arch9wavefront6targetE1EEEvT1_ ; -- Begin function _ZN7rocprim17ROCPRIM_400000_NS6detail17trampoline_kernelINS0_14default_configENS1_25partition_config_selectorILNS1_17partition_subalgoE5ElNS0_10empty_typeEbEEZZNS1_14partition_implILS5_5ELb0ES3_mN6hipcub16HIPCUB_304000_NS21CountingInputIteratorIllEEPS6_NSA_22TransformInputIteratorIb7NonZeroIaEPalEENS0_5tupleIJPlS6_EEENSJ_IJSD_SD_EEES6_SK_JS6_EEE10hipError_tPvRmT3_T4_T5_T6_T7_T9_mT8_P12ihipStream_tbDpT10_ENKUlT_T0_E_clISt17integral_constantIbLb1EES15_IbLb0EEEEDaS11_S12_EUlS11_E_NS1_11comp_targetILNS1_3genE4ELNS1_11target_archE910ELNS1_3gpuE8ELNS1_3repE0EEENS1_30default_config_static_selectorELNS0_4arch9wavefront6targetE1EEEvT1_
	.globl	_ZN7rocprim17ROCPRIM_400000_NS6detail17trampoline_kernelINS0_14default_configENS1_25partition_config_selectorILNS1_17partition_subalgoE5ElNS0_10empty_typeEbEEZZNS1_14partition_implILS5_5ELb0ES3_mN6hipcub16HIPCUB_304000_NS21CountingInputIteratorIllEEPS6_NSA_22TransformInputIteratorIb7NonZeroIaEPalEENS0_5tupleIJPlS6_EEENSJ_IJSD_SD_EEES6_SK_JS6_EEE10hipError_tPvRmT3_T4_T5_T6_T7_T9_mT8_P12ihipStream_tbDpT10_ENKUlT_T0_E_clISt17integral_constantIbLb1EES15_IbLb0EEEEDaS11_S12_EUlS11_E_NS1_11comp_targetILNS1_3genE4ELNS1_11target_archE910ELNS1_3gpuE8ELNS1_3repE0EEENS1_30default_config_static_selectorELNS0_4arch9wavefront6targetE1EEEvT1_
	.p2align	8
	.type	_ZN7rocprim17ROCPRIM_400000_NS6detail17trampoline_kernelINS0_14default_configENS1_25partition_config_selectorILNS1_17partition_subalgoE5ElNS0_10empty_typeEbEEZZNS1_14partition_implILS5_5ELb0ES3_mN6hipcub16HIPCUB_304000_NS21CountingInputIteratorIllEEPS6_NSA_22TransformInputIteratorIb7NonZeroIaEPalEENS0_5tupleIJPlS6_EEENSJ_IJSD_SD_EEES6_SK_JS6_EEE10hipError_tPvRmT3_T4_T5_T6_T7_T9_mT8_P12ihipStream_tbDpT10_ENKUlT_T0_E_clISt17integral_constantIbLb1EES15_IbLb0EEEEDaS11_S12_EUlS11_E_NS1_11comp_targetILNS1_3genE4ELNS1_11target_archE910ELNS1_3gpuE8ELNS1_3repE0EEENS1_30default_config_static_selectorELNS0_4arch9wavefront6targetE1EEEvT1_,@function
_ZN7rocprim17ROCPRIM_400000_NS6detail17trampoline_kernelINS0_14default_configENS1_25partition_config_selectorILNS1_17partition_subalgoE5ElNS0_10empty_typeEbEEZZNS1_14partition_implILS5_5ELb0ES3_mN6hipcub16HIPCUB_304000_NS21CountingInputIteratorIllEEPS6_NSA_22TransformInputIteratorIb7NonZeroIaEPalEENS0_5tupleIJPlS6_EEENSJ_IJSD_SD_EEES6_SK_JS6_EEE10hipError_tPvRmT3_T4_T5_T6_T7_T9_mT8_P12ihipStream_tbDpT10_ENKUlT_T0_E_clISt17integral_constantIbLb1EES15_IbLb0EEEEDaS11_S12_EUlS11_E_NS1_11comp_targetILNS1_3genE4ELNS1_11target_archE910ELNS1_3gpuE8ELNS1_3repE0EEENS1_30default_config_static_selectorELNS0_4arch9wavefront6targetE1EEEvT1_: ; @_ZN7rocprim17ROCPRIM_400000_NS6detail17trampoline_kernelINS0_14default_configENS1_25partition_config_selectorILNS1_17partition_subalgoE5ElNS0_10empty_typeEbEEZZNS1_14partition_implILS5_5ELb0ES3_mN6hipcub16HIPCUB_304000_NS21CountingInputIteratorIllEEPS6_NSA_22TransformInputIteratorIb7NonZeroIaEPalEENS0_5tupleIJPlS6_EEENSJ_IJSD_SD_EEES6_SK_JS6_EEE10hipError_tPvRmT3_T4_T5_T6_T7_T9_mT8_P12ihipStream_tbDpT10_ENKUlT_T0_E_clISt17integral_constantIbLb1EES15_IbLb0EEEEDaS11_S12_EUlS11_E_NS1_11comp_targetILNS1_3genE4ELNS1_11target_archE910ELNS1_3gpuE8ELNS1_3repE0EEENS1_30default_config_static_selectorELNS0_4arch9wavefront6targetE1EEEvT1_
; %bb.0:
	.section	.rodata,"a",@progbits
	.p2align	6, 0x0
	.amdhsa_kernel _ZN7rocprim17ROCPRIM_400000_NS6detail17trampoline_kernelINS0_14default_configENS1_25partition_config_selectorILNS1_17partition_subalgoE5ElNS0_10empty_typeEbEEZZNS1_14partition_implILS5_5ELb0ES3_mN6hipcub16HIPCUB_304000_NS21CountingInputIteratorIllEEPS6_NSA_22TransformInputIteratorIb7NonZeroIaEPalEENS0_5tupleIJPlS6_EEENSJ_IJSD_SD_EEES6_SK_JS6_EEE10hipError_tPvRmT3_T4_T5_T6_T7_T9_mT8_P12ihipStream_tbDpT10_ENKUlT_T0_E_clISt17integral_constantIbLb1EES15_IbLb0EEEEDaS11_S12_EUlS11_E_NS1_11comp_targetILNS1_3genE4ELNS1_11target_archE910ELNS1_3gpuE8ELNS1_3repE0EEENS1_30default_config_static_selectorELNS0_4arch9wavefront6targetE1EEEvT1_
		.amdhsa_group_segment_fixed_size 0
		.amdhsa_private_segment_fixed_size 0
		.amdhsa_kernarg_size 120
		.amdhsa_user_sgpr_count 2
		.amdhsa_user_sgpr_dispatch_ptr 0
		.amdhsa_user_sgpr_queue_ptr 0
		.amdhsa_user_sgpr_kernarg_segment_ptr 1
		.amdhsa_user_sgpr_dispatch_id 0
		.amdhsa_user_sgpr_kernarg_preload_length 0
		.amdhsa_user_sgpr_kernarg_preload_offset 0
		.amdhsa_user_sgpr_private_segment_size 0
		.amdhsa_uses_dynamic_stack 0
		.amdhsa_enable_private_segment 0
		.amdhsa_system_sgpr_workgroup_id_x 1
		.amdhsa_system_sgpr_workgroup_id_y 0
		.amdhsa_system_sgpr_workgroup_id_z 0
		.amdhsa_system_sgpr_workgroup_info 0
		.amdhsa_system_vgpr_workitem_id 0
		.amdhsa_next_free_vgpr 1
		.amdhsa_next_free_sgpr 0
		.amdhsa_accum_offset 4
		.amdhsa_reserve_vcc 0
		.amdhsa_float_round_mode_32 0
		.amdhsa_float_round_mode_16_64 0
		.amdhsa_float_denorm_mode_32 3
		.amdhsa_float_denorm_mode_16_64 3
		.amdhsa_dx10_clamp 1
		.amdhsa_ieee_mode 1
		.amdhsa_fp16_overflow 0
		.amdhsa_tg_split 0
		.amdhsa_exception_fp_ieee_invalid_op 0
		.amdhsa_exception_fp_denorm_src 0
		.amdhsa_exception_fp_ieee_div_zero 0
		.amdhsa_exception_fp_ieee_overflow 0
		.amdhsa_exception_fp_ieee_underflow 0
		.amdhsa_exception_fp_ieee_inexact 0
		.amdhsa_exception_int_div_zero 0
	.end_amdhsa_kernel
	.section	.text._ZN7rocprim17ROCPRIM_400000_NS6detail17trampoline_kernelINS0_14default_configENS1_25partition_config_selectorILNS1_17partition_subalgoE5ElNS0_10empty_typeEbEEZZNS1_14partition_implILS5_5ELb0ES3_mN6hipcub16HIPCUB_304000_NS21CountingInputIteratorIllEEPS6_NSA_22TransformInputIteratorIb7NonZeroIaEPalEENS0_5tupleIJPlS6_EEENSJ_IJSD_SD_EEES6_SK_JS6_EEE10hipError_tPvRmT3_T4_T5_T6_T7_T9_mT8_P12ihipStream_tbDpT10_ENKUlT_T0_E_clISt17integral_constantIbLb1EES15_IbLb0EEEEDaS11_S12_EUlS11_E_NS1_11comp_targetILNS1_3genE4ELNS1_11target_archE910ELNS1_3gpuE8ELNS1_3repE0EEENS1_30default_config_static_selectorELNS0_4arch9wavefront6targetE1EEEvT1_,"axG",@progbits,_ZN7rocprim17ROCPRIM_400000_NS6detail17trampoline_kernelINS0_14default_configENS1_25partition_config_selectorILNS1_17partition_subalgoE5ElNS0_10empty_typeEbEEZZNS1_14partition_implILS5_5ELb0ES3_mN6hipcub16HIPCUB_304000_NS21CountingInputIteratorIllEEPS6_NSA_22TransformInputIteratorIb7NonZeroIaEPalEENS0_5tupleIJPlS6_EEENSJ_IJSD_SD_EEES6_SK_JS6_EEE10hipError_tPvRmT3_T4_T5_T6_T7_T9_mT8_P12ihipStream_tbDpT10_ENKUlT_T0_E_clISt17integral_constantIbLb1EES15_IbLb0EEEEDaS11_S12_EUlS11_E_NS1_11comp_targetILNS1_3genE4ELNS1_11target_archE910ELNS1_3gpuE8ELNS1_3repE0EEENS1_30default_config_static_selectorELNS0_4arch9wavefront6targetE1EEEvT1_,comdat
.Lfunc_end65:
	.size	_ZN7rocprim17ROCPRIM_400000_NS6detail17trampoline_kernelINS0_14default_configENS1_25partition_config_selectorILNS1_17partition_subalgoE5ElNS0_10empty_typeEbEEZZNS1_14partition_implILS5_5ELb0ES3_mN6hipcub16HIPCUB_304000_NS21CountingInputIteratorIllEEPS6_NSA_22TransformInputIteratorIb7NonZeroIaEPalEENS0_5tupleIJPlS6_EEENSJ_IJSD_SD_EEES6_SK_JS6_EEE10hipError_tPvRmT3_T4_T5_T6_T7_T9_mT8_P12ihipStream_tbDpT10_ENKUlT_T0_E_clISt17integral_constantIbLb1EES15_IbLb0EEEEDaS11_S12_EUlS11_E_NS1_11comp_targetILNS1_3genE4ELNS1_11target_archE910ELNS1_3gpuE8ELNS1_3repE0EEENS1_30default_config_static_selectorELNS0_4arch9wavefront6targetE1EEEvT1_, .Lfunc_end65-_ZN7rocprim17ROCPRIM_400000_NS6detail17trampoline_kernelINS0_14default_configENS1_25partition_config_selectorILNS1_17partition_subalgoE5ElNS0_10empty_typeEbEEZZNS1_14partition_implILS5_5ELb0ES3_mN6hipcub16HIPCUB_304000_NS21CountingInputIteratorIllEEPS6_NSA_22TransformInputIteratorIb7NonZeroIaEPalEENS0_5tupleIJPlS6_EEENSJ_IJSD_SD_EEES6_SK_JS6_EEE10hipError_tPvRmT3_T4_T5_T6_T7_T9_mT8_P12ihipStream_tbDpT10_ENKUlT_T0_E_clISt17integral_constantIbLb1EES15_IbLb0EEEEDaS11_S12_EUlS11_E_NS1_11comp_targetILNS1_3genE4ELNS1_11target_archE910ELNS1_3gpuE8ELNS1_3repE0EEENS1_30default_config_static_selectorELNS0_4arch9wavefront6targetE1EEEvT1_
                                        ; -- End function
	.set _ZN7rocprim17ROCPRIM_400000_NS6detail17trampoline_kernelINS0_14default_configENS1_25partition_config_selectorILNS1_17partition_subalgoE5ElNS0_10empty_typeEbEEZZNS1_14partition_implILS5_5ELb0ES3_mN6hipcub16HIPCUB_304000_NS21CountingInputIteratorIllEEPS6_NSA_22TransformInputIteratorIb7NonZeroIaEPalEENS0_5tupleIJPlS6_EEENSJ_IJSD_SD_EEES6_SK_JS6_EEE10hipError_tPvRmT3_T4_T5_T6_T7_T9_mT8_P12ihipStream_tbDpT10_ENKUlT_T0_E_clISt17integral_constantIbLb1EES15_IbLb0EEEEDaS11_S12_EUlS11_E_NS1_11comp_targetILNS1_3genE4ELNS1_11target_archE910ELNS1_3gpuE8ELNS1_3repE0EEENS1_30default_config_static_selectorELNS0_4arch9wavefront6targetE1EEEvT1_.num_vgpr, 0
	.set _ZN7rocprim17ROCPRIM_400000_NS6detail17trampoline_kernelINS0_14default_configENS1_25partition_config_selectorILNS1_17partition_subalgoE5ElNS0_10empty_typeEbEEZZNS1_14partition_implILS5_5ELb0ES3_mN6hipcub16HIPCUB_304000_NS21CountingInputIteratorIllEEPS6_NSA_22TransformInputIteratorIb7NonZeroIaEPalEENS0_5tupleIJPlS6_EEENSJ_IJSD_SD_EEES6_SK_JS6_EEE10hipError_tPvRmT3_T4_T5_T6_T7_T9_mT8_P12ihipStream_tbDpT10_ENKUlT_T0_E_clISt17integral_constantIbLb1EES15_IbLb0EEEEDaS11_S12_EUlS11_E_NS1_11comp_targetILNS1_3genE4ELNS1_11target_archE910ELNS1_3gpuE8ELNS1_3repE0EEENS1_30default_config_static_selectorELNS0_4arch9wavefront6targetE1EEEvT1_.num_agpr, 0
	.set _ZN7rocprim17ROCPRIM_400000_NS6detail17trampoline_kernelINS0_14default_configENS1_25partition_config_selectorILNS1_17partition_subalgoE5ElNS0_10empty_typeEbEEZZNS1_14partition_implILS5_5ELb0ES3_mN6hipcub16HIPCUB_304000_NS21CountingInputIteratorIllEEPS6_NSA_22TransformInputIteratorIb7NonZeroIaEPalEENS0_5tupleIJPlS6_EEENSJ_IJSD_SD_EEES6_SK_JS6_EEE10hipError_tPvRmT3_T4_T5_T6_T7_T9_mT8_P12ihipStream_tbDpT10_ENKUlT_T0_E_clISt17integral_constantIbLb1EES15_IbLb0EEEEDaS11_S12_EUlS11_E_NS1_11comp_targetILNS1_3genE4ELNS1_11target_archE910ELNS1_3gpuE8ELNS1_3repE0EEENS1_30default_config_static_selectorELNS0_4arch9wavefront6targetE1EEEvT1_.numbered_sgpr, 0
	.set _ZN7rocprim17ROCPRIM_400000_NS6detail17trampoline_kernelINS0_14default_configENS1_25partition_config_selectorILNS1_17partition_subalgoE5ElNS0_10empty_typeEbEEZZNS1_14partition_implILS5_5ELb0ES3_mN6hipcub16HIPCUB_304000_NS21CountingInputIteratorIllEEPS6_NSA_22TransformInputIteratorIb7NonZeroIaEPalEENS0_5tupleIJPlS6_EEENSJ_IJSD_SD_EEES6_SK_JS6_EEE10hipError_tPvRmT3_T4_T5_T6_T7_T9_mT8_P12ihipStream_tbDpT10_ENKUlT_T0_E_clISt17integral_constantIbLb1EES15_IbLb0EEEEDaS11_S12_EUlS11_E_NS1_11comp_targetILNS1_3genE4ELNS1_11target_archE910ELNS1_3gpuE8ELNS1_3repE0EEENS1_30default_config_static_selectorELNS0_4arch9wavefront6targetE1EEEvT1_.num_named_barrier, 0
	.set _ZN7rocprim17ROCPRIM_400000_NS6detail17trampoline_kernelINS0_14default_configENS1_25partition_config_selectorILNS1_17partition_subalgoE5ElNS0_10empty_typeEbEEZZNS1_14partition_implILS5_5ELb0ES3_mN6hipcub16HIPCUB_304000_NS21CountingInputIteratorIllEEPS6_NSA_22TransformInputIteratorIb7NonZeroIaEPalEENS0_5tupleIJPlS6_EEENSJ_IJSD_SD_EEES6_SK_JS6_EEE10hipError_tPvRmT3_T4_T5_T6_T7_T9_mT8_P12ihipStream_tbDpT10_ENKUlT_T0_E_clISt17integral_constantIbLb1EES15_IbLb0EEEEDaS11_S12_EUlS11_E_NS1_11comp_targetILNS1_3genE4ELNS1_11target_archE910ELNS1_3gpuE8ELNS1_3repE0EEENS1_30default_config_static_selectorELNS0_4arch9wavefront6targetE1EEEvT1_.private_seg_size, 0
	.set _ZN7rocprim17ROCPRIM_400000_NS6detail17trampoline_kernelINS0_14default_configENS1_25partition_config_selectorILNS1_17partition_subalgoE5ElNS0_10empty_typeEbEEZZNS1_14partition_implILS5_5ELb0ES3_mN6hipcub16HIPCUB_304000_NS21CountingInputIteratorIllEEPS6_NSA_22TransformInputIteratorIb7NonZeroIaEPalEENS0_5tupleIJPlS6_EEENSJ_IJSD_SD_EEES6_SK_JS6_EEE10hipError_tPvRmT3_T4_T5_T6_T7_T9_mT8_P12ihipStream_tbDpT10_ENKUlT_T0_E_clISt17integral_constantIbLb1EES15_IbLb0EEEEDaS11_S12_EUlS11_E_NS1_11comp_targetILNS1_3genE4ELNS1_11target_archE910ELNS1_3gpuE8ELNS1_3repE0EEENS1_30default_config_static_selectorELNS0_4arch9wavefront6targetE1EEEvT1_.uses_vcc, 0
	.set _ZN7rocprim17ROCPRIM_400000_NS6detail17trampoline_kernelINS0_14default_configENS1_25partition_config_selectorILNS1_17partition_subalgoE5ElNS0_10empty_typeEbEEZZNS1_14partition_implILS5_5ELb0ES3_mN6hipcub16HIPCUB_304000_NS21CountingInputIteratorIllEEPS6_NSA_22TransformInputIteratorIb7NonZeroIaEPalEENS0_5tupleIJPlS6_EEENSJ_IJSD_SD_EEES6_SK_JS6_EEE10hipError_tPvRmT3_T4_T5_T6_T7_T9_mT8_P12ihipStream_tbDpT10_ENKUlT_T0_E_clISt17integral_constantIbLb1EES15_IbLb0EEEEDaS11_S12_EUlS11_E_NS1_11comp_targetILNS1_3genE4ELNS1_11target_archE910ELNS1_3gpuE8ELNS1_3repE0EEENS1_30default_config_static_selectorELNS0_4arch9wavefront6targetE1EEEvT1_.uses_flat_scratch, 0
	.set _ZN7rocprim17ROCPRIM_400000_NS6detail17trampoline_kernelINS0_14default_configENS1_25partition_config_selectorILNS1_17partition_subalgoE5ElNS0_10empty_typeEbEEZZNS1_14partition_implILS5_5ELb0ES3_mN6hipcub16HIPCUB_304000_NS21CountingInputIteratorIllEEPS6_NSA_22TransformInputIteratorIb7NonZeroIaEPalEENS0_5tupleIJPlS6_EEENSJ_IJSD_SD_EEES6_SK_JS6_EEE10hipError_tPvRmT3_T4_T5_T6_T7_T9_mT8_P12ihipStream_tbDpT10_ENKUlT_T0_E_clISt17integral_constantIbLb1EES15_IbLb0EEEEDaS11_S12_EUlS11_E_NS1_11comp_targetILNS1_3genE4ELNS1_11target_archE910ELNS1_3gpuE8ELNS1_3repE0EEENS1_30default_config_static_selectorELNS0_4arch9wavefront6targetE1EEEvT1_.has_dyn_sized_stack, 0
	.set _ZN7rocprim17ROCPRIM_400000_NS6detail17trampoline_kernelINS0_14default_configENS1_25partition_config_selectorILNS1_17partition_subalgoE5ElNS0_10empty_typeEbEEZZNS1_14partition_implILS5_5ELb0ES3_mN6hipcub16HIPCUB_304000_NS21CountingInputIteratorIllEEPS6_NSA_22TransformInputIteratorIb7NonZeroIaEPalEENS0_5tupleIJPlS6_EEENSJ_IJSD_SD_EEES6_SK_JS6_EEE10hipError_tPvRmT3_T4_T5_T6_T7_T9_mT8_P12ihipStream_tbDpT10_ENKUlT_T0_E_clISt17integral_constantIbLb1EES15_IbLb0EEEEDaS11_S12_EUlS11_E_NS1_11comp_targetILNS1_3genE4ELNS1_11target_archE910ELNS1_3gpuE8ELNS1_3repE0EEENS1_30default_config_static_selectorELNS0_4arch9wavefront6targetE1EEEvT1_.has_recursion, 0
	.set _ZN7rocprim17ROCPRIM_400000_NS6detail17trampoline_kernelINS0_14default_configENS1_25partition_config_selectorILNS1_17partition_subalgoE5ElNS0_10empty_typeEbEEZZNS1_14partition_implILS5_5ELb0ES3_mN6hipcub16HIPCUB_304000_NS21CountingInputIteratorIllEEPS6_NSA_22TransformInputIteratorIb7NonZeroIaEPalEENS0_5tupleIJPlS6_EEENSJ_IJSD_SD_EEES6_SK_JS6_EEE10hipError_tPvRmT3_T4_T5_T6_T7_T9_mT8_P12ihipStream_tbDpT10_ENKUlT_T0_E_clISt17integral_constantIbLb1EES15_IbLb0EEEEDaS11_S12_EUlS11_E_NS1_11comp_targetILNS1_3genE4ELNS1_11target_archE910ELNS1_3gpuE8ELNS1_3repE0EEENS1_30default_config_static_selectorELNS0_4arch9wavefront6targetE1EEEvT1_.has_indirect_call, 0
	.section	.AMDGPU.csdata,"",@progbits
; Kernel info:
; codeLenInByte = 0
; TotalNumSgprs: 6
; NumVgprs: 0
; NumAgprs: 0
; TotalNumVgprs: 0
; ScratchSize: 0
; MemoryBound: 0
; FloatMode: 240
; IeeeMode: 1
; LDSByteSize: 0 bytes/workgroup (compile time only)
; SGPRBlocks: 0
; VGPRBlocks: 0
; NumSGPRsForWavesPerEU: 6
; NumVGPRsForWavesPerEU: 1
; AccumOffset: 4
; Occupancy: 8
; WaveLimiterHint : 0
; COMPUTE_PGM_RSRC2:SCRATCH_EN: 0
; COMPUTE_PGM_RSRC2:USER_SGPR: 2
; COMPUTE_PGM_RSRC2:TRAP_HANDLER: 0
; COMPUTE_PGM_RSRC2:TGID_X_EN: 1
; COMPUTE_PGM_RSRC2:TGID_Y_EN: 0
; COMPUTE_PGM_RSRC2:TGID_Z_EN: 0
; COMPUTE_PGM_RSRC2:TIDIG_COMP_CNT: 0
; COMPUTE_PGM_RSRC3_GFX90A:ACCUM_OFFSET: 0
; COMPUTE_PGM_RSRC3_GFX90A:TG_SPLIT: 0
	.section	.text._ZN7rocprim17ROCPRIM_400000_NS6detail17trampoline_kernelINS0_14default_configENS1_25partition_config_selectorILNS1_17partition_subalgoE5ElNS0_10empty_typeEbEEZZNS1_14partition_implILS5_5ELb0ES3_mN6hipcub16HIPCUB_304000_NS21CountingInputIteratorIllEEPS6_NSA_22TransformInputIteratorIb7NonZeroIaEPalEENS0_5tupleIJPlS6_EEENSJ_IJSD_SD_EEES6_SK_JS6_EEE10hipError_tPvRmT3_T4_T5_T6_T7_T9_mT8_P12ihipStream_tbDpT10_ENKUlT_T0_E_clISt17integral_constantIbLb1EES15_IbLb0EEEEDaS11_S12_EUlS11_E_NS1_11comp_targetILNS1_3genE3ELNS1_11target_archE908ELNS1_3gpuE7ELNS1_3repE0EEENS1_30default_config_static_selectorELNS0_4arch9wavefront6targetE1EEEvT1_,"axG",@progbits,_ZN7rocprim17ROCPRIM_400000_NS6detail17trampoline_kernelINS0_14default_configENS1_25partition_config_selectorILNS1_17partition_subalgoE5ElNS0_10empty_typeEbEEZZNS1_14partition_implILS5_5ELb0ES3_mN6hipcub16HIPCUB_304000_NS21CountingInputIteratorIllEEPS6_NSA_22TransformInputIteratorIb7NonZeroIaEPalEENS0_5tupleIJPlS6_EEENSJ_IJSD_SD_EEES6_SK_JS6_EEE10hipError_tPvRmT3_T4_T5_T6_T7_T9_mT8_P12ihipStream_tbDpT10_ENKUlT_T0_E_clISt17integral_constantIbLb1EES15_IbLb0EEEEDaS11_S12_EUlS11_E_NS1_11comp_targetILNS1_3genE3ELNS1_11target_archE908ELNS1_3gpuE7ELNS1_3repE0EEENS1_30default_config_static_selectorELNS0_4arch9wavefront6targetE1EEEvT1_,comdat
	.protected	_ZN7rocprim17ROCPRIM_400000_NS6detail17trampoline_kernelINS0_14default_configENS1_25partition_config_selectorILNS1_17partition_subalgoE5ElNS0_10empty_typeEbEEZZNS1_14partition_implILS5_5ELb0ES3_mN6hipcub16HIPCUB_304000_NS21CountingInputIteratorIllEEPS6_NSA_22TransformInputIteratorIb7NonZeroIaEPalEENS0_5tupleIJPlS6_EEENSJ_IJSD_SD_EEES6_SK_JS6_EEE10hipError_tPvRmT3_T4_T5_T6_T7_T9_mT8_P12ihipStream_tbDpT10_ENKUlT_T0_E_clISt17integral_constantIbLb1EES15_IbLb0EEEEDaS11_S12_EUlS11_E_NS1_11comp_targetILNS1_3genE3ELNS1_11target_archE908ELNS1_3gpuE7ELNS1_3repE0EEENS1_30default_config_static_selectorELNS0_4arch9wavefront6targetE1EEEvT1_ ; -- Begin function _ZN7rocprim17ROCPRIM_400000_NS6detail17trampoline_kernelINS0_14default_configENS1_25partition_config_selectorILNS1_17partition_subalgoE5ElNS0_10empty_typeEbEEZZNS1_14partition_implILS5_5ELb0ES3_mN6hipcub16HIPCUB_304000_NS21CountingInputIteratorIllEEPS6_NSA_22TransformInputIteratorIb7NonZeroIaEPalEENS0_5tupleIJPlS6_EEENSJ_IJSD_SD_EEES6_SK_JS6_EEE10hipError_tPvRmT3_T4_T5_T6_T7_T9_mT8_P12ihipStream_tbDpT10_ENKUlT_T0_E_clISt17integral_constantIbLb1EES15_IbLb0EEEEDaS11_S12_EUlS11_E_NS1_11comp_targetILNS1_3genE3ELNS1_11target_archE908ELNS1_3gpuE7ELNS1_3repE0EEENS1_30default_config_static_selectorELNS0_4arch9wavefront6targetE1EEEvT1_
	.globl	_ZN7rocprim17ROCPRIM_400000_NS6detail17trampoline_kernelINS0_14default_configENS1_25partition_config_selectorILNS1_17partition_subalgoE5ElNS0_10empty_typeEbEEZZNS1_14partition_implILS5_5ELb0ES3_mN6hipcub16HIPCUB_304000_NS21CountingInputIteratorIllEEPS6_NSA_22TransformInputIteratorIb7NonZeroIaEPalEENS0_5tupleIJPlS6_EEENSJ_IJSD_SD_EEES6_SK_JS6_EEE10hipError_tPvRmT3_T4_T5_T6_T7_T9_mT8_P12ihipStream_tbDpT10_ENKUlT_T0_E_clISt17integral_constantIbLb1EES15_IbLb0EEEEDaS11_S12_EUlS11_E_NS1_11comp_targetILNS1_3genE3ELNS1_11target_archE908ELNS1_3gpuE7ELNS1_3repE0EEENS1_30default_config_static_selectorELNS0_4arch9wavefront6targetE1EEEvT1_
	.p2align	8
	.type	_ZN7rocprim17ROCPRIM_400000_NS6detail17trampoline_kernelINS0_14default_configENS1_25partition_config_selectorILNS1_17partition_subalgoE5ElNS0_10empty_typeEbEEZZNS1_14partition_implILS5_5ELb0ES3_mN6hipcub16HIPCUB_304000_NS21CountingInputIteratorIllEEPS6_NSA_22TransformInputIteratorIb7NonZeroIaEPalEENS0_5tupleIJPlS6_EEENSJ_IJSD_SD_EEES6_SK_JS6_EEE10hipError_tPvRmT3_T4_T5_T6_T7_T9_mT8_P12ihipStream_tbDpT10_ENKUlT_T0_E_clISt17integral_constantIbLb1EES15_IbLb0EEEEDaS11_S12_EUlS11_E_NS1_11comp_targetILNS1_3genE3ELNS1_11target_archE908ELNS1_3gpuE7ELNS1_3repE0EEENS1_30default_config_static_selectorELNS0_4arch9wavefront6targetE1EEEvT1_,@function
_ZN7rocprim17ROCPRIM_400000_NS6detail17trampoline_kernelINS0_14default_configENS1_25partition_config_selectorILNS1_17partition_subalgoE5ElNS0_10empty_typeEbEEZZNS1_14partition_implILS5_5ELb0ES3_mN6hipcub16HIPCUB_304000_NS21CountingInputIteratorIllEEPS6_NSA_22TransformInputIteratorIb7NonZeroIaEPalEENS0_5tupleIJPlS6_EEENSJ_IJSD_SD_EEES6_SK_JS6_EEE10hipError_tPvRmT3_T4_T5_T6_T7_T9_mT8_P12ihipStream_tbDpT10_ENKUlT_T0_E_clISt17integral_constantIbLb1EES15_IbLb0EEEEDaS11_S12_EUlS11_E_NS1_11comp_targetILNS1_3genE3ELNS1_11target_archE908ELNS1_3gpuE7ELNS1_3repE0EEENS1_30default_config_static_selectorELNS0_4arch9wavefront6targetE1EEEvT1_: ; @_ZN7rocprim17ROCPRIM_400000_NS6detail17trampoline_kernelINS0_14default_configENS1_25partition_config_selectorILNS1_17partition_subalgoE5ElNS0_10empty_typeEbEEZZNS1_14partition_implILS5_5ELb0ES3_mN6hipcub16HIPCUB_304000_NS21CountingInputIteratorIllEEPS6_NSA_22TransformInputIteratorIb7NonZeroIaEPalEENS0_5tupleIJPlS6_EEENSJ_IJSD_SD_EEES6_SK_JS6_EEE10hipError_tPvRmT3_T4_T5_T6_T7_T9_mT8_P12ihipStream_tbDpT10_ENKUlT_T0_E_clISt17integral_constantIbLb1EES15_IbLb0EEEEDaS11_S12_EUlS11_E_NS1_11comp_targetILNS1_3genE3ELNS1_11target_archE908ELNS1_3gpuE7ELNS1_3repE0EEENS1_30default_config_static_selectorELNS0_4arch9wavefront6targetE1EEEvT1_
; %bb.0:
	.section	.rodata,"a",@progbits
	.p2align	6, 0x0
	.amdhsa_kernel _ZN7rocprim17ROCPRIM_400000_NS6detail17trampoline_kernelINS0_14default_configENS1_25partition_config_selectorILNS1_17partition_subalgoE5ElNS0_10empty_typeEbEEZZNS1_14partition_implILS5_5ELb0ES3_mN6hipcub16HIPCUB_304000_NS21CountingInputIteratorIllEEPS6_NSA_22TransformInputIteratorIb7NonZeroIaEPalEENS0_5tupleIJPlS6_EEENSJ_IJSD_SD_EEES6_SK_JS6_EEE10hipError_tPvRmT3_T4_T5_T6_T7_T9_mT8_P12ihipStream_tbDpT10_ENKUlT_T0_E_clISt17integral_constantIbLb1EES15_IbLb0EEEEDaS11_S12_EUlS11_E_NS1_11comp_targetILNS1_3genE3ELNS1_11target_archE908ELNS1_3gpuE7ELNS1_3repE0EEENS1_30default_config_static_selectorELNS0_4arch9wavefront6targetE1EEEvT1_
		.amdhsa_group_segment_fixed_size 0
		.amdhsa_private_segment_fixed_size 0
		.amdhsa_kernarg_size 120
		.amdhsa_user_sgpr_count 2
		.amdhsa_user_sgpr_dispatch_ptr 0
		.amdhsa_user_sgpr_queue_ptr 0
		.amdhsa_user_sgpr_kernarg_segment_ptr 1
		.amdhsa_user_sgpr_dispatch_id 0
		.amdhsa_user_sgpr_kernarg_preload_length 0
		.amdhsa_user_sgpr_kernarg_preload_offset 0
		.amdhsa_user_sgpr_private_segment_size 0
		.amdhsa_uses_dynamic_stack 0
		.amdhsa_enable_private_segment 0
		.amdhsa_system_sgpr_workgroup_id_x 1
		.amdhsa_system_sgpr_workgroup_id_y 0
		.amdhsa_system_sgpr_workgroup_id_z 0
		.amdhsa_system_sgpr_workgroup_info 0
		.amdhsa_system_vgpr_workitem_id 0
		.amdhsa_next_free_vgpr 1
		.amdhsa_next_free_sgpr 0
		.amdhsa_accum_offset 4
		.amdhsa_reserve_vcc 0
		.amdhsa_float_round_mode_32 0
		.amdhsa_float_round_mode_16_64 0
		.amdhsa_float_denorm_mode_32 3
		.amdhsa_float_denorm_mode_16_64 3
		.amdhsa_dx10_clamp 1
		.amdhsa_ieee_mode 1
		.amdhsa_fp16_overflow 0
		.amdhsa_tg_split 0
		.amdhsa_exception_fp_ieee_invalid_op 0
		.amdhsa_exception_fp_denorm_src 0
		.amdhsa_exception_fp_ieee_div_zero 0
		.amdhsa_exception_fp_ieee_overflow 0
		.amdhsa_exception_fp_ieee_underflow 0
		.amdhsa_exception_fp_ieee_inexact 0
		.amdhsa_exception_int_div_zero 0
	.end_amdhsa_kernel
	.section	.text._ZN7rocprim17ROCPRIM_400000_NS6detail17trampoline_kernelINS0_14default_configENS1_25partition_config_selectorILNS1_17partition_subalgoE5ElNS0_10empty_typeEbEEZZNS1_14partition_implILS5_5ELb0ES3_mN6hipcub16HIPCUB_304000_NS21CountingInputIteratorIllEEPS6_NSA_22TransformInputIteratorIb7NonZeroIaEPalEENS0_5tupleIJPlS6_EEENSJ_IJSD_SD_EEES6_SK_JS6_EEE10hipError_tPvRmT3_T4_T5_T6_T7_T9_mT8_P12ihipStream_tbDpT10_ENKUlT_T0_E_clISt17integral_constantIbLb1EES15_IbLb0EEEEDaS11_S12_EUlS11_E_NS1_11comp_targetILNS1_3genE3ELNS1_11target_archE908ELNS1_3gpuE7ELNS1_3repE0EEENS1_30default_config_static_selectorELNS0_4arch9wavefront6targetE1EEEvT1_,"axG",@progbits,_ZN7rocprim17ROCPRIM_400000_NS6detail17trampoline_kernelINS0_14default_configENS1_25partition_config_selectorILNS1_17partition_subalgoE5ElNS0_10empty_typeEbEEZZNS1_14partition_implILS5_5ELb0ES3_mN6hipcub16HIPCUB_304000_NS21CountingInputIteratorIllEEPS6_NSA_22TransformInputIteratorIb7NonZeroIaEPalEENS0_5tupleIJPlS6_EEENSJ_IJSD_SD_EEES6_SK_JS6_EEE10hipError_tPvRmT3_T4_T5_T6_T7_T9_mT8_P12ihipStream_tbDpT10_ENKUlT_T0_E_clISt17integral_constantIbLb1EES15_IbLb0EEEEDaS11_S12_EUlS11_E_NS1_11comp_targetILNS1_3genE3ELNS1_11target_archE908ELNS1_3gpuE7ELNS1_3repE0EEENS1_30default_config_static_selectorELNS0_4arch9wavefront6targetE1EEEvT1_,comdat
.Lfunc_end66:
	.size	_ZN7rocprim17ROCPRIM_400000_NS6detail17trampoline_kernelINS0_14default_configENS1_25partition_config_selectorILNS1_17partition_subalgoE5ElNS0_10empty_typeEbEEZZNS1_14partition_implILS5_5ELb0ES3_mN6hipcub16HIPCUB_304000_NS21CountingInputIteratorIllEEPS6_NSA_22TransformInputIteratorIb7NonZeroIaEPalEENS0_5tupleIJPlS6_EEENSJ_IJSD_SD_EEES6_SK_JS6_EEE10hipError_tPvRmT3_T4_T5_T6_T7_T9_mT8_P12ihipStream_tbDpT10_ENKUlT_T0_E_clISt17integral_constantIbLb1EES15_IbLb0EEEEDaS11_S12_EUlS11_E_NS1_11comp_targetILNS1_3genE3ELNS1_11target_archE908ELNS1_3gpuE7ELNS1_3repE0EEENS1_30default_config_static_selectorELNS0_4arch9wavefront6targetE1EEEvT1_, .Lfunc_end66-_ZN7rocprim17ROCPRIM_400000_NS6detail17trampoline_kernelINS0_14default_configENS1_25partition_config_selectorILNS1_17partition_subalgoE5ElNS0_10empty_typeEbEEZZNS1_14partition_implILS5_5ELb0ES3_mN6hipcub16HIPCUB_304000_NS21CountingInputIteratorIllEEPS6_NSA_22TransformInputIteratorIb7NonZeroIaEPalEENS0_5tupleIJPlS6_EEENSJ_IJSD_SD_EEES6_SK_JS6_EEE10hipError_tPvRmT3_T4_T5_T6_T7_T9_mT8_P12ihipStream_tbDpT10_ENKUlT_T0_E_clISt17integral_constantIbLb1EES15_IbLb0EEEEDaS11_S12_EUlS11_E_NS1_11comp_targetILNS1_3genE3ELNS1_11target_archE908ELNS1_3gpuE7ELNS1_3repE0EEENS1_30default_config_static_selectorELNS0_4arch9wavefront6targetE1EEEvT1_
                                        ; -- End function
	.set _ZN7rocprim17ROCPRIM_400000_NS6detail17trampoline_kernelINS0_14default_configENS1_25partition_config_selectorILNS1_17partition_subalgoE5ElNS0_10empty_typeEbEEZZNS1_14partition_implILS5_5ELb0ES3_mN6hipcub16HIPCUB_304000_NS21CountingInputIteratorIllEEPS6_NSA_22TransformInputIteratorIb7NonZeroIaEPalEENS0_5tupleIJPlS6_EEENSJ_IJSD_SD_EEES6_SK_JS6_EEE10hipError_tPvRmT3_T4_T5_T6_T7_T9_mT8_P12ihipStream_tbDpT10_ENKUlT_T0_E_clISt17integral_constantIbLb1EES15_IbLb0EEEEDaS11_S12_EUlS11_E_NS1_11comp_targetILNS1_3genE3ELNS1_11target_archE908ELNS1_3gpuE7ELNS1_3repE0EEENS1_30default_config_static_selectorELNS0_4arch9wavefront6targetE1EEEvT1_.num_vgpr, 0
	.set _ZN7rocprim17ROCPRIM_400000_NS6detail17trampoline_kernelINS0_14default_configENS1_25partition_config_selectorILNS1_17partition_subalgoE5ElNS0_10empty_typeEbEEZZNS1_14partition_implILS5_5ELb0ES3_mN6hipcub16HIPCUB_304000_NS21CountingInputIteratorIllEEPS6_NSA_22TransformInputIteratorIb7NonZeroIaEPalEENS0_5tupleIJPlS6_EEENSJ_IJSD_SD_EEES6_SK_JS6_EEE10hipError_tPvRmT3_T4_T5_T6_T7_T9_mT8_P12ihipStream_tbDpT10_ENKUlT_T0_E_clISt17integral_constantIbLb1EES15_IbLb0EEEEDaS11_S12_EUlS11_E_NS1_11comp_targetILNS1_3genE3ELNS1_11target_archE908ELNS1_3gpuE7ELNS1_3repE0EEENS1_30default_config_static_selectorELNS0_4arch9wavefront6targetE1EEEvT1_.num_agpr, 0
	.set _ZN7rocprim17ROCPRIM_400000_NS6detail17trampoline_kernelINS0_14default_configENS1_25partition_config_selectorILNS1_17partition_subalgoE5ElNS0_10empty_typeEbEEZZNS1_14partition_implILS5_5ELb0ES3_mN6hipcub16HIPCUB_304000_NS21CountingInputIteratorIllEEPS6_NSA_22TransformInputIteratorIb7NonZeroIaEPalEENS0_5tupleIJPlS6_EEENSJ_IJSD_SD_EEES6_SK_JS6_EEE10hipError_tPvRmT3_T4_T5_T6_T7_T9_mT8_P12ihipStream_tbDpT10_ENKUlT_T0_E_clISt17integral_constantIbLb1EES15_IbLb0EEEEDaS11_S12_EUlS11_E_NS1_11comp_targetILNS1_3genE3ELNS1_11target_archE908ELNS1_3gpuE7ELNS1_3repE0EEENS1_30default_config_static_selectorELNS0_4arch9wavefront6targetE1EEEvT1_.numbered_sgpr, 0
	.set _ZN7rocprim17ROCPRIM_400000_NS6detail17trampoline_kernelINS0_14default_configENS1_25partition_config_selectorILNS1_17partition_subalgoE5ElNS0_10empty_typeEbEEZZNS1_14partition_implILS5_5ELb0ES3_mN6hipcub16HIPCUB_304000_NS21CountingInputIteratorIllEEPS6_NSA_22TransformInputIteratorIb7NonZeroIaEPalEENS0_5tupleIJPlS6_EEENSJ_IJSD_SD_EEES6_SK_JS6_EEE10hipError_tPvRmT3_T4_T5_T6_T7_T9_mT8_P12ihipStream_tbDpT10_ENKUlT_T0_E_clISt17integral_constantIbLb1EES15_IbLb0EEEEDaS11_S12_EUlS11_E_NS1_11comp_targetILNS1_3genE3ELNS1_11target_archE908ELNS1_3gpuE7ELNS1_3repE0EEENS1_30default_config_static_selectorELNS0_4arch9wavefront6targetE1EEEvT1_.num_named_barrier, 0
	.set _ZN7rocprim17ROCPRIM_400000_NS6detail17trampoline_kernelINS0_14default_configENS1_25partition_config_selectorILNS1_17partition_subalgoE5ElNS0_10empty_typeEbEEZZNS1_14partition_implILS5_5ELb0ES3_mN6hipcub16HIPCUB_304000_NS21CountingInputIteratorIllEEPS6_NSA_22TransformInputIteratorIb7NonZeroIaEPalEENS0_5tupleIJPlS6_EEENSJ_IJSD_SD_EEES6_SK_JS6_EEE10hipError_tPvRmT3_T4_T5_T6_T7_T9_mT8_P12ihipStream_tbDpT10_ENKUlT_T0_E_clISt17integral_constantIbLb1EES15_IbLb0EEEEDaS11_S12_EUlS11_E_NS1_11comp_targetILNS1_3genE3ELNS1_11target_archE908ELNS1_3gpuE7ELNS1_3repE0EEENS1_30default_config_static_selectorELNS0_4arch9wavefront6targetE1EEEvT1_.private_seg_size, 0
	.set _ZN7rocprim17ROCPRIM_400000_NS6detail17trampoline_kernelINS0_14default_configENS1_25partition_config_selectorILNS1_17partition_subalgoE5ElNS0_10empty_typeEbEEZZNS1_14partition_implILS5_5ELb0ES3_mN6hipcub16HIPCUB_304000_NS21CountingInputIteratorIllEEPS6_NSA_22TransformInputIteratorIb7NonZeroIaEPalEENS0_5tupleIJPlS6_EEENSJ_IJSD_SD_EEES6_SK_JS6_EEE10hipError_tPvRmT3_T4_T5_T6_T7_T9_mT8_P12ihipStream_tbDpT10_ENKUlT_T0_E_clISt17integral_constantIbLb1EES15_IbLb0EEEEDaS11_S12_EUlS11_E_NS1_11comp_targetILNS1_3genE3ELNS1_11target_archE908ELNS1_3gpuE7ELNS1_3repE0EEENS1_30default_config_static_selectorELNS0_4arch9wavefront6targetE1EEEvT1_.uses_vcc, 0
	.set _ZN7rocprim17ROCPRIM_400000_NS6detail17trampoline_kernelINS0_14default_configENS1_25partition_config_selectorILNS1_17partition_subalgoE5ElNS0_10empty_typeEbEEZZNS1_14partition_implILS5_5ELb0ES3_mN6hipcub16HIPCUB_304000_NS21CountingInputIteratorIllEEPS6_NSA_22TransformInputIteratorIb7NonZeroIaEPalEENS0_5tupleIJPlS6_EEENSJ_IJSD_SD_EEES6_SK_JS6_EEE10hipError_tPvRmT3_T4_T5_T6_T7_T9_mT8_P12ihipStream_tbDpT10_ENKUlT_T0_E_clISt17integral_constantIbLb1EES15_IbLb0EEEEDaS11_S12_EUlS11_E_NS1_11comp_targetILNS1_3genE3ELNS1_11target_archE908ELNS1_3gpuE7ELNS1_3repE0EEENS1_30default_config_static_selectorELNS0_4arch9wavefront6targetE1EEEvT1_.uses_flat_scratch, 0
	.set _ZN7rocprim17ROCPRIM_400000_NS6detail17trampoline_kernelINS0_14default_configENS1_25partition_config_selectorILNS1_17partition_subalgoE5ElNS0_10empty_typeEbEEZZNS1_14partition_implILS5_5ELb0ES3_mN6hipcub16HIPCUB_304000_NS21CountingInputIteratorIllEEPS6_NSA_22TransformInputIteratorIb7NonZeroIaEPalEENS0_5tupleIJPlS6_EEENSJ_IJSD_SD_EEES6_SK_JS6_EEE10hipError_tPvRmT3_T4_T5_T6_T7_T9_mT8_P12ihipStream_tbDpT10_ENKUlT_T0_E_clISt17integral_constantIbLb1EES15_IbLb0EEEEDaS11_S12_EUlS11_E_NS1_11comp_targetILNS1_3genE3ELNS1_11target_archE908ELNS1_3gpuE7ELNS1_3repE0EEENS1_30default_config_static_selectorELNS0_4arch9wavefront6targetE1EEEvT1_.has_dyn_sized_stack, 0
	.set _ZN7rocprim17ROCPRIM_400000_NS6detail17trampoline_kernelINS0_14default_configENS1_25partition_config_selectorILNS1_17partition_subalgoE5ElNS0_10empty_typeEbEEZZNS1_14partition_implILS5_5ELb0ES3_mN6hipcub16HIPCUB_304000_NS21CountingInputIteratorIllEEPS6_NSA_22TransformInputIteratorIb7NonZeroIaEPalEENS0_5tupleIJPlS6_EEENSJ_IJSD_SD_EEES6_SK_JS6_EEE10hipError_tPvRmT3_T4_T5_T6_T7_T9_mT8_P12ihipStream_tbDpT10_ENKUlT_T0_E_clISt17integral_constantIbLb1EES15_IbLb0EEEEDaS11_S12_EUlS11_E_NS1_11comp_targetILNS1_3genE3ELNS1_11target_archE908ELNS1_3gpuE7ELNS1_3repE0EEENS1_30default_config_static_selectorELNS0_4arch9wavefront6targetE1EEEvT1_.has_recursion, 0
	.set _ZN7rocprim17ROCPRIM_400000_NS6detail17trampoline_kernelINS0_14default_configENS1_25partition_config_selectorILNS1_17partition_subalgoE5ElNS0_10empty_typeEbEEZZNS1_14partition_implILS5_5ELb0ES3_mN6hipcub16HIPCUB_304000_NS21CountingInputIteratorIllEEPS6_NSA_22TransformInputIteratorIb7NonZeroIaEPalEENS0_5tupleIJPlS6_EEENSJ_IJSD_SD_EEES6_SK_JS6_EEE10hipError_tPvRmT3_T4_T5_T6_T7_T9_mT8_P12ihipStream_tbDpT10_ENKUlT_T0_E_clISt17integral_constantIbLb1EES15_IbLb0EEEEDaS11_S12_EUlS11_E_NS1_11comp_targetILNS1_3genE3ELNS1_11target_archE908ELNS1_3gpuE7ELNS1_3repE0EEENS1_30default_config_static_selectorELNS0_4arch9wavefront6targetE1EEEvT1_.has_indirect_call, 0
	.section	.AMDGPU.csdata,"",@progbits
; Kernel info:
; codeLenInByte = 0
; TotalNumSgprs: 6
; NumVgprs: 0
; NumAgprs: 0
; TotalNumVgprs: 0
; ScratchSize: 0
; MemoryBound: 0
; FloatMode: 240
; IeeeMode: 1
; LDSByteSize: 0 bytes/workgroup (compile time only)
; SGPRBlocks: 0
; VGPRBlocks: 0
; NumSGPRsForWavesPerEU: 6
; NumVGPRsForWavesPerEU: 1
; AccumOffset: 4
; Occupancy: 8
; WaveLimiterHint : 0
; COMPUTE_PGM_RSRC2:SCRATCH_EN: 0
; COMPUTE_PGM_RSRC2:USER_SGPR: 2
; COMPUTE_PGM_RSRC2:TRAP_HANDLER: 0
; COMPUTE_PGM_RSRC2:TGID_X_EN: 1
; COMPUTE_PGM_RSRC2:TGID_Y_EN: 0
; COMPUTE_PGM_RSRC2:TGID_Z_EN: 0
; COMPUTE_PGM_RSRC2:TIDIG_COMP_CNT: 0
; COMPUTE_PGM_RSRC3_GFX90A:ACCUM_OFFSET: 0
; COMPUTE_PGM_RSRC3_GFX90A:TG_SPLIT: 0
	.section	.text._ZN7rocprim17ROCPRIM_400000_NS6detail17trampoline_kernelINS0_14default_configENS1_25partition_config_selectorILNS1_17partition_subalgoE5ElNS0_10empty_typeEbEEZZNS1_14partition_implILS5_5ELb0ES3_mN6hipcub16HIPCUB_304000_NS21CountingInputIteratorIllEEPS6_NSA_22TransformInputIteratorIb7NonZeroIaEPalEENS0_5tupleIJPlS6_EEENSJ_IJSD_SD_EEES6_SK_JS6_EEE10hipError_tPvRmT3_T4_T5_T6_T7_T9_mT8_P12ihipStream_tbDpT10_ENKUlT_T0_E_clISt17integral_constantIbLb1EES15_IbLb0EEEEDaS11_S12_EUlS11_E_NS1_11comp_targetILNS1_3genE2ELNS1_11target_archE906ELNS1_3gpuE6ELNS1_3repE0EEENS1_30default_config_static_selectorELNS0_4arch9wavefront6targetE1EEEvT1_,"axG",@progbits,_ZN7rocprim17ROCPRIM_400000_NS6detail17trampoline_kernelINS0_14default_configENS1_25partition_config_selectorILNS1_17partition_subalgoE5ElNS0_10empty_typeEbEEZZNS1_14partition_implILS5_5ELb0ES3_mN6hipcub16HIPCUB_304000_NS21CountingInputIteratorIllEEPS6_NSA_22TransformInputIteratorIb7NonZeroIaEPalEENS0_5tupleIJPlS6_EEENSJ_IJSD_SD_EEES6_SK_JS6_EEE10hipError_tPvRmT3_T4_T5_T6_T7_T9_mT8_P12ihipStream_tbDpT10_ENKUlT_T0_E_clISt17integral_constantIbLb1EES15_IbLb0EEEEDaS11_S12_EUlS11_E_NS1_11comp_targetILNS1_3genE2ELNS1_11target_archE906ELNS1_3gpuE6ELNS1_3repE0EEENS1_30default_config_static_selectorELNS0_4arch9wavefront6targetE1EEEvT1_,comdat
	.protected	_ZN7rocprim17ROCPRIM_400000_NS6detail17trampoline_kernelINS0_14default_configENS1_25partition_config_selectorILNS1_17partition_subalgoE5ElNS0_10empty_typeEbEEZZNS1_14partition_implILS5_5ELb0ES3_mN6hipcub16HIPCUB_304000_NS21CountingInputIteratorIllEEPS6_NSA_22TransformInputIteratorIb7NonZeroIaEPalEENS0_5tupleIJPlS6_EEENSJ_IJSD_SD_EEES6_SK_JS6_EEE10hipError_tPvRmT3_T4_T5_T6_T7_T9_mT8_P12ihipStream_tbDpT10_ENKUlT_T0_E_clISt17integral_constantIbLb1EES15_IbLb0EEEEDaS11_S12_EUlS11_E_NS1_11comp_targetILNS1_3genE2ELNS1_11target_archE906ELNS1_3gpuE6ELNS1_3repE0EEENS1_30default_config_static_selectorELNS0_4arch9wavefront6targetE1EEEvT1_ ; -- Begin function _ZN7rocprim17ROCPRIM_400000_NS6detail17trampoline_kernelINS0_14default_configENS1_25partition_config_selectorILNS1_17partition_subalgoE5ElNS0_10empty_typeEbEEZZNS1_14partition_implILS5_5ELb0ES3_mN6hipcub16HIPCUB_304000_NS21CountingInputIteratorIllEEPS6_NSA_22TransformInputIteratorIb7NonZeroIaEPalEENS0_5tupleIJPlS6_EEENSJ_IJSD_SD_EEES6_SK_JS6_EEE10hipError_tPvRmT3_T4_T5_T6_T7_T9_mT8_P12ihipStream_tbDpT10_ENKUlT_T0_E_clISt17integral_constantIbLb1EES15_IbLb0EEEEDaS11_S12_EUlS11_E_NS1_11comp_targetILNS1_3genE2ELNS1_11target_archE906ELNS1_3gpuE6ELNS1_3repE0EEENS1_30default_config_static_selectorELNS0_4arch9wavefront6targetE1EEEvT1_
	.globl	_ZN7rocprim17ROCPRIM_400000_NS6detail17trampoline_kernelINS0_14default_configENS1_25partition_config_selectorILNS1_17partition_subalgoE5ElNS0_10empty_typeEbEEZZNS1_14partition_implILS5_5ELb0ES3_mN6hipcub16HIPCUB_304000_NS21CountingInputIteratorIllEEPS6_NSA_22TransformInputIteratorIb7NonZeroIaEPalEENS0_5tupleIJPlS6_EEENSJ_IJSD_SD_EEES6_SK_JS6_EEE10hipError_tPvRmT3_T4_T5_T6_T7_T9_mT8_P12ihipStream_tbDpT10_ENKUlT_T0_E_clISt17integral_constantIbLb1EES15_IbLb0EEEEDaS11_S12_EUlS11_E_NS1_11comp_targetILNS1_3genE2ELNS1_11target_archE906ELNS1_3gpuE6ELNS1_3repE0EEENS1_30default_config_static_selectorELNS0_4arch9wavefront6targetE1EEEvT1_
	.p2align	8
	.type	_ZN7rocprim17ROCPRIM_400000_NS6detail17trampoline_kernelINS0_14default_configENS1_25partition_config_selectorILNS1_17partition_subalgoE5ElNS0_10empty_typeEbEEZZNS1_14partition_implILS5_5ELb0ES3_mN6hipcub16HIPCUB_304000_NS21CountingInputIteratorIllEEPS6_NSA_22TransformInputIteratorIb7NonZeroIaEPalEENS0_5tupleIJPlS6_EEENSJ_IJSD_SD_EEES6_SK_JS6_EEE10hipError_tPvRmT3_T4_T5_T6_T7_T9_mT8_P12ihipStream_tbDpT10_ENKUlT_T0_E_clISt17integral_constantIbLb1EES15_IbLb0EEEEDaS11_S12_EUlS11_E_NS1_11comp_targetILNS1_3genE2ELNS1_11target_archE906ELNS1_3gpuE6ELNS1_3repE0EEENS1_30default_config_static_selectorELNS0_4arch9wavefront6targetE1EEEvT1_,@function
_ZN7rocprim17ROCPRIM_400000_NS6detail17trampoline_kernelINS0_14default_configENS1_25partition_config_selectorILNS1_17partition_subalgoE5ElNS0_10empty_typeEbEEZZNS1_14partition_implILS5_5ELb0ES3_mN6hipcub16HIPCUB_304000_NS21CountingInputIteratorIllEEPS6_NSA_22TransformInputIteratorIb7NonZeroIaEPalEENS0_5tupleIJPlS6_EEENSJ_IJSD_SD_EEES6_SK_JS6_EEE10hipError_tPvRmT3_T4_T5_T6_T7_T9_mT8_P12ihipStream_tbDpT10_ENKUlT_T0_E_clISt17integral_constantIbLb1EES15_IbLb0EEEEDaS11_S12_EUlS11_E_NS1_11comp_targetILNS1_3genE2ELNS1_11target_archE906ELNS1_3gpuE6ELNS1_3repE0EEENS1_30default_config_static_selectorELNS0_4arch9wavefront6targetE1EEEvT1_: ; @_ZN7rocprim17ROCPRIM_400000_NS6detail17trampoline_kernelINS0_14default_configENS1_25partition_config_selectorILNS1_17partition_subalgoE5ElNS0_10empty_typeEbEEZZNS1_14partition_implILS5_5ELb0ES3_mN6hipcub16HIPCUB_304000_NS21CountingInputIteratorIllEEPS6_NSA_22TransformInputIteratorIb7NonZeroIaEPalEENS0_5tupleIJPlS6_EEENSJ_IJSD_SD_EEES6_SK_JS6_EEE10hipError_tPvRmT3_T4_T5_T6_T7_T9_mT8_P12ihipStream_tbDpT10_ENKUlT_T0_E_clISt17integral_constantIbLb1EES15_IbLb0EEEEDaS11_S12_EUlS11_E_NS1_11comp_targetILNS1_3genE2ELNS1_11target_archE906ELNS1_3gpuE6ELNS1_3repE0EEENS1_30default_config_static_selectorELNS0_4arch9wavefront6targetE1EEEvT1_
; %bb.0:
	.section	.rodata,"a",@progbits
	.p2align	6, 0x0
	.amdhsa_kernel _ZN7rocprim17ROCPRIM_400000_NS6detail17trampoline_kernelINS0_14default_configENS1_25partition_config_selectorILNS1_17partition_subalgoE5ElNS0_10empty_typeEbEEZZNS1_14partition_implILS5_5ELb0ES3_mN6hipcub16HIPCUB_304000_NS21CountingInputIteratorIllEEPS6_NSA_22TransformInputIteratorIb7NonZeroIaEPalEENS0_5tupleIJPlS6_EEENSJ_IJSD_SD_EEES6_SK_JS6_EEE10hipError_tPvRmT3_T4_T5_T6_T7_T9_mT8_P12ihipStream_tbDpT10_ENKUlT_T0_E_clISt17integral_constantIbLb1EES15_IbLb0EEEEDaS11_S12_EUlS11_E_NS1_11comp_targetILNS1_3genE2ELNS1_11target_archE906ELNS1_3gpuE6ELNS1_3repE0EEENS1_30default_config_static_selectorELNS0_4arch9wavefront6targetE1EEEvT1_
		.amdhsa_group_segment_fixed_size 0
		.amdhsa_private_segment_fixed_size 0
		.amdhsa_kernarg_size 120
		.amdhsa_user_sgpr_count 2
		.amdhsa_user_sgpr_dispatch_ptr 0
		.amdhsa_user_sgpr_queue_ptr 0
		.amdhsa_user_sgpr_kernarg_segment_ptr 1
		.amdhsa_user_sgpr_dispatch_id 0
		.amdhsa_user_sgpr_kernarg_preload_length 0
		.amdhsa_user_sgpr_kernarg_preload_offset 0
		.amdhsa_user_sgpr_private_segment_size 0
		.amdhsa_uses_dynamic_stack 0
		.amdhsa_enable_private_segment 0
		.amdhsa_system_sgpr_workgroup_id_x 1
		.amdhsa_system_sgpr_workgroup_id_y 0
		.amdhsa_system_sgpr_workgroup_id_z 0
		.amdhsa_system_sgpr_workgroup_info 0
		.amdhsa_system_vgpr_workitem_id 0
		.amdhsa_next_free_vgpr 1
		.amdhsa_next_free_sgpr 0
		.amdhsa_accum_offset 4
		.amdhsa_reserve_vcc 0
		.amdhsa_float_round_mode_32 0
		.amdhsa_float_round_mode_16_64 0
		.amdhsa_float_denorm_mode_32 3
		.amdhsa_float_denorm_mode_16_64 3
		.amdhsa_dx10_clamp 1
		.amdhsa_ieee_mode 1
		.amdhsa_fp16_overflow 0
		.amdhsa_tg_split 0
		.amdhsa_exception_fp_ieee_invalid_op 0
		.amdhsa_exception_fp_denorm_src 0
		.amdhsa_exception_fp_ieee_div_zero 0
		.amdhsa_exception_fp_ieee_overflow 0
		.amdhsa_exception_fp_ieee_underflow 0
		.amdhsa_exception_fp_ieee_inexact 0
		.amdhsa_exception_int_div_zero 0
	.end_amdhsa_kernel
	.section	.text._ZN7rocprim17ROCPRIM_400000_NS6detail17trampoline_kernelINS0_14default_configENS1_25partition_config_selectorILNS1_17partition_subalgoE5ElNS0_10empty_typeEbEEZZNS1_14partition_implILS5_5ELb0ES3_mN6hipcub16HIPCUB_304000_NS21CountingInputIteratorIllEEPS6_NSA_22TransformInputIteratorIb7NonZeroIaEPalEENS0_5tupleIJPlS6_EEENSJ_IJSD_SD_EEES6_SK_JS6_EEE10hipError_tPvRmT3_T4_T5_T6_T7_T9_mT8_P12ihipStream_tbDpT10_ENKUlT_T0_E_clISt17integral_constantIbLb1EES15_IbLb0EEEEDaS11_S12_EUlS11_E_NS1_11comp_targetILNS1_3genE2ELNS1_11target_archE906ELNS1_3gpuE6ELNS1_3repE0EEENS1_30default_config_static_selectorELNS0_4arch9wavefront6targetE1EEEvT1_,"axG",@progbits,_ZN7rocprim17ROCPRIM_400000_NS6detail17trampoline_kernelINS0_14default_configENS1_25partition_config_selectorILNS1_17partition_subalgoE5ElNS0_10empty_typeEbEEZZNS1_14partition_implILS5_5ELb0ES3_mN6hipcub16HIPCUB_304000_NS21CountingInputIteratorIllEEPS6_NSA_22TransformInputIteratorIb7NonZeroIaEPalEENS0_5tupleIJPlS6_EEENSJ_IJSD_SD_EEES6_SK_JS6_EEE10hipError_tPvRmT3_T4_T5_T6_T7_T9_mT8_P12ihipStream_tbDpT10_ENKUlT_T0_E_clISt17integral_constantIbLb1EES15_IbLb0EEEEDaS11_S12_EUlS11_E_NS1_11comp_targetILNS1_3genE2ELNS1_11target_archE906ELNS1_3gpuE6ELNS1_3repE0EEENS1_30default_config_static_selectorELNS0_4arch9wavefront6targetE1EEEvT1_,comdat
.Lfunc_end67:
	.size	_ZN7rocprim17ROCPRIM_400000_NS6detail17trampoline_kernelINS0_14default_configENS1_25partition_config_selectorILNS1_17partition_subalgoE5ElNS0_10empty_typeEbEEZZNS1_14partition_implILS5_5ELb0ES3_mN6hipcub16HIPCUB_304000_NS21CountingInputIteratorIllEEPS6_NSA_22TransformInputIteratorIb7NonZeroIaEPalEENS0_5tupleIJPlS6_EEENSJ_IJSD_SD_EEES6_SK_JS6_EEE10hipError_tPvRmT3_T4_T5_T6_T7_T9_mT8_P12ihipStream_tbDpT10_ENKUlT_T0_E_clISt17integral_constantIbLb1EES15_IbLb0EEEEDaS11_S12_EUlS11_E_NS1_11comp_targetILNS1_3genE2ELNS1_11target_archE906ELNS1_3gpuE6ELNS1_3repE0EEENS1_30default_config_static_selectorELNS0_4arch9wavefront6targetE1EEEvT1_, .Lfunc_end67-_ZN7rocprim17ROCPRIM_400000_NS6detail17trampoline_kernelINS0_14default_configENS1_25partition_config_selectorILNS1_17partition_subalgoE5ElNS0_10empty_typeEbEEZZNS1_14partition_implILS5_5ELb0ES3_mN6hipcub16HIPCUB_304000_NS21CountingInputIteratorIllEEPS6_NSA_22TransformInputIteratorIb7NonZeroIaEPalEENS0_5tupleIJPlS6_EEENSJ_IJSD_SD_EEES6_SK_JS6_EEE10hipError_tPvRmT3_T4_T5_T6_T7_T9_mT8_P12ihipStream_tbDpT10_ENKUlT_T0_E_clISt17integral_constantIbLb1EES15_IbLb0EEEEDaS11_S12_EUlS11_E_NS1_11comp_targetILNS1_3genE2ELNS1_11target_archE906ELNS1_3gpuE6ELNS1_3repE0EEENS1_30default_config_static_selectorELNS0_4arch9wavefront6targetE1EEEvT1_
                                        ; -- End function
	.set _ZN7rocprim17ROCPRIM_400000_NS6detail17trampoline_kernelINS0_14default_configENS1_25partition_config_selectorILNS1_17partition_subalgoE5ElNS0_10empty_typeEbEEZZNS1_14partition_implILS5_5ELb0ES3_mN6hipcub16HIPCUB_304000_NS21CountingInputIteratorIllEEPS6_NSA_22TransformInputIteratorIb7NonZeroIaEPalEENS0_5tupleIJPlS6_EEENSJ_IJSD_SD_EEES6_SK_JS6_EEE10hipError_tPvRmT3_T4_T5_T6_T7_T9_mT8_P12ihipStream_tbDpT10_ENKUlT_T0_E_clISt17integral_constantIbLb1EES15_IbLb0EEEEDaS11_S12_EUlS11_E_NS1_11comp_targetILNS1_3genE2ELNS1_11target_archE906ELNS1_3gpuE6ELNS1_3repE0EEENS1_30default_config_static_selectorELNS0_4arch9wavefront6targetE1EEEvT1_.num_vgpr, 0
	.set _ZN7rocprim17ROCPRIM_400000_NS6detail17trampoline_kernelINS0_14default_configENS1_25partition_config_selectorILNS1_17partition_subalgoE5ElNS0_10empty_typeEbEEZZNS1_14partition_implILS5_5ELb0ES3_mN6hipcub16HIPCUB_304000_NS21CountingInputIteratorIllEEPS6_NSA_22TransformInputIteratorIb7NonZeroIaEPalEENS0_5tupleIJPlS6_EEENSJ_IJSD_SD_EEES6_SK_JS6_EEE10hipError_tPvRmT3_T4_T5_T6_T7_T9_mT8_P12ihipStream_tbDpT10_ENKUlT_T0_E_clISt17integral_constantIbLb1EES15_IbLb0EEEEDaS11_S12_EUlS11_E_NS1_11comp_targetILNS1_3genE2ELNS1_11target_archE906ELNS1_3gpuE6ELNS1_3repE0EEENS1_30default_config_static_selectorELNS0_4arch9wavefront6targetE1EEEvT1_.num_agpr, 0
	.set _ZN7rocprim17ROCPRIM_400000_NS6detail17trampoline_kernelINS0_14default_configENS1_25partition_config_selectorILNS1_17partition_subalgoE5ElNS0_10empty_typeEbEEZZNS1_14partition_implILS5_5ELb0ES3_mN6hipcub16HIPCUB_304000_NS21CountingInputIteratorIllEEPS6_NSA_22TransformInputIteratorIb7NonZeroIaEPalEENS0_5tupleIJPlS6_EEENSJ_IJSD_SD_EEES6_SK_JS6_EEE10hipError_tPvRmT3_T4_T5_T6_T7_T9_mT8_P12ihipStream_tbDpT10_ENKUlT_T0_E_clISt17integral_constantIbLb1EES15_IbLb0EEEEDaS11_S12_EUlS11_E_NS1_11comp_targetILNS1_3genE2ELNS1_11target_archE906ELNS1_3gpuE6ELNS1_3repE0EEENS1_30default_config_static_selectorELNS0_4arch9wavefront6targetE1EEEvT1_.numbered_sgpr, 0
	.set _ZN7rocprim17ROCPRIM_400000_NS6detail17trampoline_kernelINS0_14default_configENS1_25partition_config_selectorILNS1_17partition_subalgoE5ElNS0_10empty_typeEbEEZZNS1_14partition_implILS5_5ELb0ES3_mN6hipcub16HIPCUB_304000_NS21CountingInputIteratorIllEEPS6_NSA_22TransformInputIteratorIb7NonZeroIaEPalEENS0_5tupleIJPlS6_EEENSJ_IJSD_SD_EEES6_SK_JS6_EEE10hipError_tPvRmT3_T4_T5_T6_T7_T9_mT8_P12ihipStream_tbDpT10_ENKUlT_T0_E_clISt17integral_constantIbLb1EES15_IbLb0EEEEDaS11_S12_EUlS11_E_NS1_11comp_targetILNS1_3genE2ELNS1_11target_archE906ELNS1_3gpuE6ELNS1_3repE0EEENS1_30default_config_static_selectorELNS0_4arch9wavefront6targetE1EEEvT1_.num_named_barrier, 0
	.set _ZN7rocprim17ROCPRIM_400000_NS6detail17trampoline_kernelINS0_14default_configENS1_25partition_config_selectorILNS1_17partition_subalgoE5ElNS0_10empty_typeEbEEZZNS1_14partition_implILS5_5ELb0ES3_mN6hipcub16HIPCUB_304000_NS21CountingInputIteratorIllEEPS6_NSA_22TransformInputIteratorIb7NonZeroIaEPalEENS0_5tupleIJPlS6_EEENSJ_IJSD_SD_EEES6_SK_JS6_EEE10hipError_tPvRmT3_T4_T5_T6_T7_T9_mT8_P12ihipStream_tbDpT10_ENKUlT_T0_E_clISt17integral_constantIbLb1EES15_IbLb0EEEEDaS11_S12_EUlS11_E_NS1_11comp_targetILNS1_3genE2ELNS1_11target_archE906ELNS1_3gpuE6ELNS1_3repE0EEENS1_30default_config_static_selectorELNS0_4arch9wavefront6targetE1EEEvT1_.private_seg_size, 0
	.set _ZN7rocprim17ROCPRIM_400000_NS6detail17trampoline_kernelINS0_14default_configENS1_25partition_config_selectorILNS1_17partition_subalgoE5ElNS0_10empty_typeEbEEZZNS1_14partition_implILS5_5ELb0ES3_mN6hipcub16HIPCUB_304000_NS21CountingInputIteratorIllEEPS6_NSA_22TransformInputIteratorIb7NonZeroIaEPalEENS0_5tupleIJPlS6_EEENSJ_IJSD_SD_EEES6_SK_JS6_EEE10hipError_tPvRmT3_T4_T5_T6_T7_T9_mT8_P12ihipStream_tbDpT10_ENKUlT_T0_E_clISt17integral_constantIbLb1EES15_IbLb0EEEEDaS11_S12_EUlS11_E_NS1_11comp_targetILNS1_3genE2ELNS1_11target_archE906ELNS1_3gpuE6ELNS1_3repE0EEENS1_30default_config_static_selectorELNS0_4arch9wavefront6targetE1EEEvT1_.uses_vcc, 0
	.set _ZN7rocprim17ROCPRIM_400000_NS6detail17trampoline_kernelINS0_14default_configENS1_25partition_config_selectorILNS1_17partition_subalgoE5ElNS0_10empty_typeEbEEZZNS1_14partition_implILS5_5ELb0ES3_mN6hipcub16HIPCUB_304000_NS21CountingInputIteratorIllEEPS6_NSA_22TransformInputIteratorIb7NonZeroIaEPalEENS0_5tupleIJPlS6_EEENSJ_IJSD_SD_EEES6_SK_JS6_EEE10hipError_tPvRmT3_T4_T5_T6_T7_T9_mT8_P12ihipStream_tbDpT10_ENKUlT_T0_E_clISt17integral_constantIbLb1EES15_IbLb0EEEEDaS11_S12_EUlS11_E_NS1_11comp_targetILNS1_3genE2ELNS1_11target_archE906ELNS1_3gpuE6ELNS1_3repE0EEENS1_30default_config_static_selectorELNS0_4arch9wavefront6targetE1EEEvT1_.uses_flat_scratch, 0
	.set _ZN7rocprim17ROCPRIM_400000_NS6detail17trampoline_kernelINS0_14default_configENS1_25partition_config_selectorILNS1_17partition_subalgoE5ElNS0_10empty_typeEbEEZZNS1_14partition_implILS5_5ELb0ES3_mN6hipcub16HIPCUB_304000_NS21CountingInputIteratorIllEEPS6_NSA_22TransformInputIteratorIb7NonZeroIaEPalEENS0_5tupleIJPlS6_EEENSJ_IJSD_SD_EEES6_SK_JS6_EEE10hipError_tPvRmT3_T4_T5_T6_T7_T9_mT8_P12ihipStream_tbDpT10_ENKUlT_T0_E_clISt17integral_constantIbLb1EES15_IbLb0EEEEDaS11_S12_EUlS11_E_NS1_11comp_targetILNS1_3genE2ELNS1_11target_archE906ELNS1_3gpuE6ELNS1_3repE0EEENS1_30default_config_static_selectorELNS0_4arch9wavefront6targetE1EEEvT1_.has_dyn_sized_stack, 0
	.set _ZN7rocprim17ROCPRIM_400000_NS6detail17trampoline_kernelINS0_14default_configENS1_25partition_config_selectorILNS1_17partition_subalgoE5ElNS0_10empty_typeEbEEZZNS1_14partition_implILS5_5ELb0ES3_mN6hipcub16HIPCUB_304000_NS21CountingInputIteratorIllEEPS6_NSA_22TransformInputIteratorIb7NonZeroIaEPalEENS0_5tupleIJPlS6_EEENSJ_IJSD_SD_EEES6_SK_JS6_EEE10hipError_tPvRmT3_T4_T5_T6_T7_T9_mT8_P12ihipStream_tbDpT10_ENKUlT_T0_E_clISt17integral_constantIbLb1EES15_IbLb0EEEEDaS11_S12_EUlS11_E_NS1_11comp_targetILNS1_3genE2ELNS1_11target_archE906ELNS1_3gpuE6ELNS1_3repE0EEENS1_30default_config_static_selectorELNS0_4arch9wavefront6targetE1EEEvT1_.has_recursion, 0
	.set _ZN7rocprim17ROCPRIM_400000_NS6detail17trampoline_kernelINS0_14default_configENS1_25partition_config_selectorILNS1_17partition_subalgoE5ElNS0_10empty_typeEbEEZZNS1_14partition_implILS5_5ELb0ES3_mN6hipcub16HIPCUB_304000_NS21CountingInputIteratorIllEEPS6_NSA_22TransformInputIteratorIb7NonZeroIaEPalEENS0_5tupleIJPlS6_EEENSJ_IJSD_SD_EEES6_SK_JS6_EEE10hipError_tPvRmT3_T4_T5_T6_T7_T9_mT8_P12ihipStream_tbDpT10_ENKUlT_T0_E_clISt17integral_constantIbLb1EES15_IbLb0EEEEDaS11_S12_EUlS11_E_NS1_11comp_targetILNS1_3genE2ELNS1_11target_archE906ELNS1_3gpuE6ELNS1_3repE0EEENS1_30default_config_static_selectorELNS0_4arch9wavefront6targetE1EEEvT1_.has_indirect_call, 0
	.section	.AMDGPU.csdata,"",@progbits
; Kernel info:
; codeLenInByte = 0
; TotalNumSgprs: 6
; NumVgprs: 0
; NumAgprs: 0
; TotalNumVgprs: 0
; ScratchSize: 0
; MemoryBound: 0
; FloatMode: 240
; IeeeMode: 1
; LDSByteSize: 0 bytes/workgroup (compile time only)
; SGPRBlocks: 0
; VGPRBlocks: 0
; NumSGPRsForWavesPerEU: 6
; NumVGPRsForWavesPerEU: 1
; AccumOffset: 4
; Occupancy: 8
; WaveLimiterHint : 0
; COMPUTE_PGM_RSRC2:SCRATCH_EN: 0
; COMPUTE_PGM_RSRC2:USER_SGPR: 2
; COMPUTE_PGM_RSRC2:TRAP_HANDLER: 0
; COMPUTE_PGM_RSRC2:TGID_X_EN: 1
; COMPUTE_PGM_RSRC2:TGID_Y_EN: 0
; COMPUTE_PGM_RSRC2:TGID_Z_EN: 0
; COMPUTE_PGM_RSRC2:TIDIG_COMP_CNT: 0
; COMPUTE_PGM_RSRC3_GFX90A:ACCUM_OFFSET: 0
; COMPUTE_PGM_RSRC3_GFX90A:TG_SPLIT: 0
	.section	.text._ZN7rocprim17ROCPRIM_400000_NS6detail17trampoline_kernelINS0_14default_configENS1_25partition_config_selectorILNS1_17partition_subalgoE5ElNS0_10empty_typeEbEEZZNS1_14partition_implILS5_5ELb0ES3_mN6hipcub16HIPCUB_304000_NS21CountingInputIteratorIllEEPS6_NSA_22TransformInputIteratorIb7NonZeroIaEPalEENS0_5tupleIJPlS6_EEENSJ_IJSD_SD_EEES6_SK_JS6_EEE10hipError_tPvRmT3_T4_T5_T6_T7_T9_mT8_P12ihipStream_tbDpT10_ENKUlT_T0_E_clISt17integral_constantIbLb1EES15_IbLb0EEEEDaS11_S12_EUlS11_E_NS1_11comp_targetILNS1_3genE10ELNS1_11target_archE1200ELNS1_3gpuE4ELNS1_3repE0EEENS1_30default_config_static_selectorELNS0_4arch9wavefront6targetE1EEEvT1_,"axG",@progbits,_ZN7rocprim17ROCPRIM_400000_NS6detail17trampoline_kernelINS0_14default_configENS1_25partition_config_selectorILNS1_17partition_subalgoE5ElNS0_10empty_typeEbEEZZNS1_14partition_implILS5_5ELb0ES3_mN6hipcub16HIPCUB_304000_NS21CountingInputIteratorIllEEPS6_NSA_22TransformInputIteratorIb7NonZeroIaEPalEENS0_5tupleIJPlS6_EEENSJ_IJSD_SD_EEES6_SK_JS6_EEE10hipError_tPvRmT3_T4_T5_T6_T7_T9_mT8_P12ihipStream_tbDpT10_ENKUlT_T0_E_clISt17integral_constantIbLb1EES15_IbLb0EEEEDaS11_S12_EUlS11_E_NS1_11comp_targetILNS1_3genE10ELNS1_11target_archE1200ELNS1_3gpuE4ELNS1_3repE0EEENS1_30default_config_static_selectorELNS0_4arch9wavefront6targetE1EEEvT1_,comdat
	.protected	_ZN7rocprim17ROCPRIM_400000_NS6detail17trampoline_kernelINS0_14default_configENS1_25partition_config_selectorILNS1_17partition_subalgoE5ElNS0_10empty_typeEbEEZZNS1_14partition_implILS5_5ELb0ES3_mN6hipcub16HIPCUB_304000_NS21CountingInputIteratorIllEEPS6_NSA_22TransformInputIteratorIb7NonZeroIaEPalEENS0_5tupleIJPlS6_EEENSJ_IJSD_SD_EEES6_SK_JS6_EEE10hipError_tPvRmT3_T4_T5_T6_T7_T9_mT8_P12ihipStream_tbDpT10_ENKUlT_T0_E_clISt17integral_constantIbLb1EES15_IbLb0EEEEDaS11_S12_EUlS11_E_NS1_11comp_targetILNS1_3genE10ELNS1_11target_archE1200ELNS1_3gpuE4ELNS1_3repE0EEENS1_30default_config_static_selectorELNS0_4arch9wavefront6targetE1EEEvT1_ ; -- Begin function _ZN7rocprim17ROCPRIM_400000_NS6detail17trampoline_kernelINS0_14default_configENS1_25partition_config_selectorILNS1_17partition_subalgoE5ElNS0_10empty_typeEbEEZZNS1_14partition_implILS5_5ELb0ES3_mN6hipcub16HIPCUB_304000_NS21CountingInputIteratorIllEEPS6_NSA_22TransformInputIteratorIb7NonZeroIaEPalEENS0_5tupleIJPlS6_EEENSJ_IJSD_SD_EEES6_SK_JS6_EEE10hipError_tPvRmT3_T4_T5_T6_T7_T9_mT8_P12ihipStream_tbDpT10_ENKUlT_T0_E_clISt17integral_constantIbLb1EES15_IbLb0EEEEDaS11_S12_EUlS11_E_NS1_11comp_targetILNS1_3genE10ELNS1_11target_archE1200ELNS1_3gpuE4ELNS1_3repE0EEENS1_30default_config_static_selectorELNS0_4arch9wavefront6targetE1EEEvT1_
	.globl	_ZN7rocprim17ROCPRIM_400000_NS6detail17trampoline_kernelINS0_14default_configENS1_25partition_config_selectorILNS1_17partition_subalgoE5ElNS0_10empty_typeEbEEZZNS1_14partition_implILS5_5ELb0ES3_mN6hipcub16HIPCUB_304000_NS21CountingInputIteratorIllEEPS6_NSA_22TransformInputIteratorIb7NonZeroIaEPalEENS0_5tupleIJPlS6_EEENSJ_IJSD_SD_EEES6_SK_JS6_EEE10hipError_tPvRmT3_T4_T5_T6_T7_T9_mT8_P12ihipStream_tbDpT10_ENKUlT_T0_E_clISt17integral_constantIbLb1EES15_IbLb0EEEEDaS11_S12_EUlS11_E_NS1_11comp_targetILNS1_3genE10ELNS1_11target_archE1200ELNS1_3gpuE4ELNS1_3repE0EEENS1_30default_config_static_selectorELNS0_4arch9wavefront6targetE1EEEvT1_
	.p2align	8
	.type	_ZN7rocprim17ROCPRIM_400000_NS6detail17trampoline_kernelINS0_14default_configENS1_25partition_config_selectorILNS1_17partition_subalgoE5ElNS0_10empty_typeEbEEZZNS1_14partition_implILS5_5ELb0ES3_mN6hipcub16HIPCUB_304000_NS21CountingInputIteratorIllEEPS6_NSA_22TransformInputIteratorIb7NonZeroIaEPalEENS0_5tupleIJPlS6_EEENSJ_IJSD_SD_EEES6_SK_JS6_EEE10hipError_tPvRmT3_T4_T5_T6_T7_T9_mT8_P12ihipStream_tbDpT10_ENKUlT_T0_E_clISt17integral_constantIbLb1EES15_IbLb0EEEEDaS11_S12_EUlS11_E_NS1_11comp_targetILNS1_3genE10ELNS1_11target_archE1200ELNS1_3gpuE4ELNS1_3repE0EEENS1_30default_config_static_selectorELNS0_4arch9wavefront6targetE1EEEvT1_,@function
_ZN7rocprim17ROCPRIM_400000_NS6detail17trampoline_kernelINS0_14default_configENS1_25partition_config_selectorILNS1_17partition_subalgoE5ElNS0_10empty_typeEbEEZZNS1_14partition_implILS5_5ELb0ES3_mN6hipcub16HIPCUB_304000_NS21CountingInputIteratorIllEEPS6_NSA_22TransformInputIteratorIb7NonZeroIaEPalEENS0_5tupleIJPlS6_EEENSJ_IJSD_SD_EEES6_SK_JS6_EEE10hipError_tPvRmT3_T4_T5_T6_T7_T9_mT8_P12ihipStream_tbDpT10_ENKUlT_T0_E_clISt17integral_constantIbLb1EES15_IbLb0EEEEDaS11_S12_EUlS11_E_NS1_11comp_targetILNS1_3genE10ELNS1_11target_archE1200ELNS1_3gpuE4ELNS1_3repE0EEENS1_30default_config_static_selectorELNS0_4arch9wavefront6targetE1EEEvT1_: ; @_ZN7rocprim17ROCPRIM_400000_NS6detail17trampoline_kernelINS0_14default_configENS1_25partition_config_selectorILNS1_17partition_subalgoE5ElNS0_10empty_typeEbEEZZNS1_14partition_implILS5_5ELb0ES3_mN6hipcub16HIPCUB_304000_NS21CountingInputIteratorIllEEPS6_NSA_22TransformInputIteratorIb7NonZeroIaEPalEENS0_5tupleIJPlS6_EEENSJ_IJSD_SD_EEES6_SK_JS6_EEE10hipError_tPvRmT3_T4_T5_T6_T7_T9_mT8_P12ihipStream_tbDpT10_ENKUlT_T0_E_clISt17integral_constantIbLb1EES15_IbLb0EEEEDaS11_S12_EUlS11_E_NS1_11comp_targetILNS1_3genE10ELNS1_11target_archE1200ELNS1_3gpuE4ELNS1_3repE0EEENS1_30default_config_static_selectorELNS0_4arch9wavefront6targetE1EEEvT1_
; %bb.0:
	.section	.rodata,"a",@progbits
	.p2align	6, 0x0
	.amdhsa_kernel _ZN7rocprim17ROCPRIM_400000_NS6detail17trampoline_kernelINS0_14default_configENS1_25partition_config_selectorILNS1_17partition_subalgoE5ElNS0_10empty_typeEbEEZZNS1_14partition_implILS5_5ELb0ES3_mN6hipcub16HIPCUB_304000_NS21CountingInputIteratorIllEEPS6_NSA_22TransformInputIteratorIb7NonZeroIaEPalEENS0_5tupleIJPlS6_EEENSJ_IJSD_SD_EEES6_SK_JS6_EEE10hipError_tPvRmT3_T4_T5_T6_T7_T9_mT8_P12ihipStream_tbDpT10_ENKUlT_T0_E_clISt17integral_constantIbLb1EES15_IbLb0EEEEDaS11_S12_EUlS11_E_NS1_11comp_targetILNS1_3genE10ELNS1_11target_archE1200ELNS1_3gpuE4ELNS1_3repE0EEENS1_30default_config_static_selectorELNS0_4arch9wavefront6targetE1EEEvT1_
		.amdhsa_group_segment_fixed_size 0
		.amdhsa_private_segment_fixed_size 0
		.amdhsa_kernarg_size 120
		.amdhsa_user_sgpr_count 2
		.amdhsa_user_sgpr_dispatch_ptr 0
		.amdhsa_user_sgpr_queue_ptr 0
		.amdhsa_user_sgpr_kernarg_segment_ptr 1
		.amdhsa_user_sgpr_dispatch_id 0
		.amdhsa_user_sgpr_kernarg_preload_length 0
		.amdhsa_user_sgpr_kernarg_preload_offset 0
		.amdhsa_user_sgpr_private_segment_size 0
		.amdhsa_uses_dynamic_stack 0
		.amdhsa_enable_private_segment 0
		.amdhsa_system_sgpr_workgroup_id_x 1
		.amdhsa_system_sgpr_workgroup_id_y 0
		.amdhsa_system_sgpr_workgroup_id_z 0
		.amdhsa_system_sgpr_workgroup_info 0
		.amdhsa_system_vgpr_workitem_id 0
		.amdhsa_next_free_vgpr 1
		.amdhsa_next_free_sgpr 0
		.amdhsa_accum_offset 4
		.amdhsa_reserve_vcc 0
		.amdhsa_float_round_mode_32 0
		.amdhsa_float_round_mode_16_64 0
		.amdhsa_float_denorm_mode_32 3
		.amdhsa_float_denorm_mode_16_64 3
		.amdhsa_dx10_clamp 1
		.amdhsa_ieee_mode 1
		.amdhsa_fp16_overflow 0
		.amdhsa_tg_split 0
		.amdhsa_exception_fp_ieee_invalid_op 0
		.amdhsa_exception_fp_denorm_src 0
		.amdhsa_exception_fp_ieee_div_zero 0
		.amdhsa_exception_fp_ieee_overflow 0
		.amdhsa_exception_fp_ieee_underflow 0
		.amdhsa_exception_fp_ieee_inexact 0
		.amdhsa_exception_int_div_zero 0
	.end_amdhsa_kernel
	.section	.text._ZN7rocprim17ROCPRIM_400000_NS6detail17trampoline_kernelINS0_14default_configENS1_25partition_config_selectorILNS1_17partition_subalgoE5ElNS0_10empty_typeEbEEZZNS1_14partition_implILS5_5ELb0ES3_mN6hipcub16HIPCUB_304000_NS21CountingInputIteratorIllEEPS6_NSA_22TransformInputIteratorIb7NonZeroIaEPalEENS0_5tupleIJPlS6_EEENSJ_IJSD_SD_EEES6_SK_JS6_EEE10hipError_tPvRmT3_T4_T5_T6_T7_T9_mT8_P12ihipStream_tbDpT10_ENKUlT_T0_E_clISt17integral_constantIbLb1EES15_IbLb0EEEEDaS11_S12_EUlS11_E_NS1_11comp_targetILNS1_3genE10ELNS1_11target_archE1200ELNS1_3gpuE4ELNS1_3repE0EEENS1_30default_config_static_selectorELNS0_4arch9wavefront6targetE1EEEvT1_,"axG",@progbits,_ZN7rocprim17ROCPRIM_400000_NS6detail17trampoline_kernelINS0_14default_configENS1_25partition_config_selectorILNS1_17partition_subalgoE5ElNS0_10empty_typeEbEEZZNS1_14partition_implILS5_5ELb0ES3_mN6hipcub16HIPCUB_304000_NS21CountingInputIteratorIllEEPS6_NSA_22TransformInputIteratorIb7NonZeroIaEPalEENS0_5tupleIJPlS6_EEENSJ_IJSD_SD_EEES6_SK_JS6_EEE10hipError_tPvRmT3_T4_T5_T6_T7_T9_mT8_P12ihipStream_tbDpT10_ENKUlT_T0_E_clISt17integral_constantIbLb1EES15_IbLb0EEEEDaS11_S12_EUlS11_E_NS1_11comp_targetILNS1_3genE10ELNS1_11target_archE1200ELNS1_3gpuE4ELNS1_3repE0EEENS1_30default_config_static_selectorELNS0_4arch9wavefront6targetE1EEEvT1_,comdat
.Lfunc_end68:
	.size	_ZN7rocprim17ROCPRIM_400000_NS6detail17trampoline_kernelINS0_14default_configENS1_25partition_config_selectorILNS1_17partition_subalgoE5ElNS0_10empty_typeEbEEZZNS1_14partition_implILS5_5ELb0ES3_mN6hipcub16HIPCUB_304000_NS21CountingInputIteratorIllEEPS6_NSA_22TransformInputIteratorIb7NonZeroIaEPalEENS0_5tupleIJPlS6_EEENSJ_IJSD_SD_EEES6_SK_JS6_EEE10hipError_tPvRmT3_T4_T5_T6_T7_T9_mT8_P12ihipStream_tbDpT10_ENKUlT_T0_E_clISt17integral_constantIbLb1EES15_IbLb0EEEEDaS11_S12_EUlS11_E_NS1_11comp_targetILNS1_3genE10ELNS1_11target_archE1200ELNS1_3gpuE4ELNS1_3repE0EEENS1_30default_config_static_selectorELNS0_4arch9wavefront6targetE1EEEvT1_, .Lfunc_end68-_ZN7rocprim17ROCPRIM_400000_NS6detail17trampoline_kernelINS0_14default_configENS1_25partition_config_selectorILNS1_17partition_subalgoE5ElNS0_10empty_typeEbEEZZNS1_14partition_implILS5_5ELb0ES3_mN6hipcub16HIPCUB_304000_NS21CountingInputIteratorIllEEPS6_NSA_22TransformInputIteratorIb7NonZeroIaEPalEENS0_5tupleIJPlS6_EEENSJ_IJSD_SD_EEES6_SK_JS6_EEE10hipError_tPvRmT3_T4_T5_T6_T7_T9_mT8_P12ihipStream_tbDpT10_ENKUlT_T0_E_clISt17integral_constantIbLb1EES15_IbLb0EEEEDaS11_S12_EUlS11_E_NS1_11comp_targetILNS1_3genE10ELNS1_11target_archE1200ELNS1_3gpuE4ELNS1_3repE0EEENS1_30default_config_static_selectorELNS0_4arch9wavefront6targetE1EEEvT1_
                                        ; -- End function
	.set _ZN7rocprim17ROCPRIM_400000_NS6detail17trampoline_kernelINS0_14default_configENS1_25partition_config_selectorILNS1_17partition_subalgoE5ElNS0_10empty_typeEbEEZZNS1_14partition_implILS5_5ELb0ES3_mN6hipcub16HIPCUB_304000_NS21CountingInputIteratorIllEEPS6_NSA_22TransformInputIteratorIb7NonZeroIaEPalEENS0_5tupleIJPlS6_EEENSJ_IJSD_SD_EEES6_SK_JS6_EEE10hipError_tPvRmT3_T4_T5_T6_T7_T9_mT8_P12ihipStream_tbDpT10_ENKUlT_T0_E_clISt17integral_constantIbLb1EES15_IbLb0EEEEDaS11_S12_EUlS11_E_NS1_11comp_targetILNS1_3genE10ELNS1_11target_archE1200ELNS1_3gpuE4ELNS1_3repE0EEENS1_30default_config_static_selectorELNS0_4arch9wavefront6targetE1EEEvT1_.num_vgpr, 0
	.set _ZN7rocprim17ROCPRIM_400000_NS6detail17trampoline_kernelINS0_14default_configENS1_25partition_config_selectorILNS1_17partition_subalgoE5ElNS0_10empty_typeEbEEZZNS1_14partition_implILS5_5ELb0ES3_mN6hipcub16HIPCUB_304000_NS21CountingInputIteratorIllEEPS6_NSA_22TransformInputIteratorIb7NonZeroIaEPalEENS0_5tupleIJPlS6_EEENSJ_IJSD_SD_EEES6_SK_JS6_EEE10hipError_tPvRmT3_T4_T5_T6_T7_T9_mT8_P12ihipStream_tbDpT10_ENKUlT_T0_E_clISt17integral_constantIbLb1EES15_IbLb0EEEEDaS11_S12_EUlS11_E_NS1_11comp_targetILNS1_3genE10ELNS1_11target_archE1200ELNS1_3gpuE4ELNS1_3repE0EEENS1_30default_config_static_selectorELNS0_4arch9wavefront6targetE1EEEvT1_.num_agpr, 0
	.set _ZN7rocprim17ROCPRIM_400000_NS6detail17trampoline_kernelINS0_14default_configENS1_25partition_config_selectorILNS1_17partition_subalgoE5ElNS0_10empty_typeEbEEZZNS1_14partition_implILS5_5ELb0ES3_mN6hipcub16HIPCUB_304000_NS21CountingInputIteratorIllEEPS6_NSA_22TransformInputIteratorIb7NonZeroIaEPalEENS0_5tupleIJPlS6_EEENSJ_IJSD_SD_EEES6_SK_JS6_EEE10hipError_tPvRmT3_T4_T5_T6_T7_T9_mT8_P12ihipStream_tbDpT10_ENKUlT_T0_E_clISt17integral_constantIbLb1EES15_IbLb0EEEEDaS11_S12_EUlS11_E_NS1_11comp_targetILNS1_3genE10ELNS1_11target_archE1200ELNS1_3gpuE4ELNS1_3repE0EEENS1_30default_config_static_selectorELNS0_4arch9wavefront6targetE1EEEvT1_.numbered_sgpr, 0
	.set _ZN7rocprim17ROCPRIM_400000_NS6detail17trampoline_kernelINS0_14default_configENS1_25partition_config_selectorILNS1_17partition_subalgoE5ElNS0_10empty_typeEbEEZZNS1_14partition_implILS5_5ELb0ES3_mN6hipcub16HIPCUB_304000_NS21CountingInputIteratorIllEEPS6_NSA_22TransformInputIteratorIb7NonZeroIaEPalEENS0_5tupleIJPlS6_EEENSJ_IJSD_SD_EEES6_SK_JS6_EEE10hipError_tPvRmT3_T4_T5_T6_T7_T9_mT8_P12ihipStream_tbDpT10_ENKUlT_T0_E_clISt17integral_constantIbLb1EES15_IbLb0EEEEDaS11_S12_EUlS11_E_NS1_11comp_targetILNS1_3genE10ELNS1_11target_archE1200ELNS1_3gpuE4ELNS1_3repE0EEENS1_30default_config_static_selectorELNS0_4arch9wavefront6targetE1EEEvT1_.num_named_barrier, 0
	.set _ZN7rocprim17ROCPRIM_400000_NS6detail17trampoline_kernelINS0_14default_configENS1_25partition_config_selectorILNS1_17partition_subalgoE5ElNS0_10empty_typeEbEEZZNS1_14partition_implILS5_5ELb0ES3_mN6hipcub16HIPCUB_304000_NS21CountingInputIteratorIllEEPS6_NSA_22TransformInputIteratorIb7NonZeroIaEPalEENS0_5tupleIJPlS6_EEENSJ_IJSD_SD_EEES6_SK_JS6_EEE10hipError_tPvRmT3_T4_T5_T6_T7_T9_mT8_P12ihipStream_tbDpT10_ENKUlT_T0_E_clISt17integral_constantIbLb1EES15_IbLb0EEEEDaS11_S12_EUlS11_E_NS1_11comp_targetILNS1_3genE10ELNS1_11target_archE1200ELNS1_3gpuE4ELNS1_3repE0EEENS1_30default_config_static_selectorELNS0_4arch9wavefront6targetE1EEEvT1_.private_seg_size, 0
	.set _ZN7rocprim17ROCPRIM_400000_NS6detail17trampoline_kernelINS0_14default_configENS1_25partition_config_selectorILNS1_17partition_subalgoE5ElNS0_10empty_typeEbEEZZNS1_14partition_implILS5_5ELb0ES3_mN6hipcub16HIPCUB_304000_NS21CountingInputIteratorIllEEPS6_NSA_22TransformInputIteratorIb7NonZeroIaEPalEENS0_5tupleIJPlS6_EEENSJ_IJSD_SD_EEES6_SK_JS6_EEE10hipError_tPvRmT3_T4_T5_T6_T7_T9_mT8_P12ihipStream_tbDpT10_ENKUlT_T0_E_clISt17integral_constantIbLb1EES15_IbLb0EEEEDaS11_S12_EUlS11_E_NS1_11comp_targetILNS1_3genE10ELNS1_11target_archE1200ELNS1_3gpuE4ELNS1_3repE0EEENS1_30default_config_static_selectorELNS0_4arch9wavefront6targetE1EEEvT1_.uses_vcc, 0
	.set _ZN7rocprim17ROCPRIM_400000_NS6detail17trampoline_kernelINS0_14default_configENS1_25partition_config_selectorILNS1_17partition_subalgoE5ElNS0_10empty_typeEbEEZZNS1_14partition_implILS5_5ELb0ES3_mN6hipcub16HIPCUB_304000_NS21CountingInputIteratorIllEEPS6_NSA_22TransformInputIteratorIb7NonZeroIaEPalEENS0_5tupleIJPlS6_EEENSJ_IJSD_SD_EEES6_SK_JS6_EEE10hipError_tPvRmT3_T4_T5_T6_T7_T9_mT8_P12ihipStream_tbDpT10_ENKUlT_T0_E_clISt17integral_constantIbLb1EES15_IbLb0EEEEDaS11_S12_EUlS11_E_NS1_11comp_targetILNS1_3genE10ELNS1_11target_archE1200ELNS1_3gpuE4ELNS1_3repE0EEENS1_30default_config_static_selectorELNS0_4arch9wavefront6targetE1EEEvT1_.uses_flat_scratch, 0
	.set _ZN7rocprim17ROCPRIM_400000_NS6detail17trampoline_kernelINS0_14default_configENS1_25partition_config_selectorILNS1_17partition_subalgoE5ElNS0_10empty_typeEbEEZZNS1_14partition_implILS5_5ELb0ES3_mN6hipcub16HIPCUB_304000_NS21CountingInputIteratorIllEEPS6_NSA_22TransformInputIteratorIb7NonZeroIaEPalEENS0_5tupleIJPlS6_EEENSJ_IJSD_SD_EEES6_SK_JS6_EEE10hipError_tPvRmT3_T4_T5_T6_T7_T9_mT8_P12ihipStream_tbDpT10_ENKUlT_T0_E_clISt17integral_constantIbLb1EES15_IbLb0EEEEDaS11_S12_EUlS11_E_NS1_11comp_targetILNS1_3genE10ELNS1_11target_archE1200ELNS1_3gpuE4ELNS1_3repE0EEENS1_30default_config_static_selectorELNS0_4arch9wavefront6targetE1EEEvT1_.has_dyn_sized_stack, 0
	.set _ZN7rocprim17ROCPRIM_400000_NS6detail17trampoline_kernelINS0_14default_configENS1_25partition_config_selectorILNS1_17partition_subalgoE5ElNS0_10empty_typeEbEEZZNS1_14partition_implILS5_5ELb0ES3_mN6hipcub16HIPCUB_304000_NS21CountingInputIteratorIllEEPS6_NSA_22TransformInputIteratorIb7NonZeroIaEPalEENS0_5tupleIJPlS6_EEENSJ_IJSD_SD_EEES6_SK_JS6_EEE10hipError_tPvRmT3_T4_T5_T6_T7_T9_mT8_P12ihipStream_tbDpT10_ENKUlT_T0_E_clISt17integral_constantIbLb1EES15_IbLb0EEEEDaS11_S12_EUlS11_E_NS1_11comp_targetILNS1_3genE10ELNS1_11target_archE1200ELNS1_3gpuE4ELNS1_3repE0EEENS1_30default_config_static_selectorELNS0_4arch9wavefront6targetE1EEEvT1_.has_recursion, 0
	.set _ZN7rocprim17ROCPRIM_400000_NS6detail17trampoline_kernelINS0_14default_configENS1_25partition_config_selectorILNS1_17partition_subalgoE5ElNS0_10empty_typeEbEEZZNS1_14partition_implILS5_5ELb0ES3_mN6hipcub16HIPCUB_304000_NS21CountingInputIteratorIllEEPS6_NSA_22TransformInputIteratorIb7NonZeroIaEPalEENS0_5tupleIJPlS6_EEENSJ_IJSD_SD_EEES6_SK_JS6_EEE10hipError_tPvRmT3_T4_T5_T6_T7_T9_mT8_P12ihipStream_tbDpT10_ENKUlT_T0_E_clISt17integral_constantIbLb1EES15_IbLb0EEEEDaS11_S12_EUlS11_E_NS1_11comp_targetILNS1_3genE10ELNS1_11target_archE1200ELNS1_3gpuE4ELNS1_3repE0EEENS1_30default_config_static_selectorELNS0_4arch9wavefront6targetE1EEEvT1_.has_indirect_call, 0
	.section	.AMDGPU.csdata,"",@progbits
; Kernel info:
; codeLenInByte = 0
; TotalNumSgprs: 6
; NumVgprs: 0
; NumAgprs: 0
; TotalNumVgprs: 0
; ScratchSize: 0
; MemoryBound: 0
; FloatMode: 240
; IeeeMode: 1
; LDSByteSize: 0 bytes/workgroup (compile time only)
; SGPRBlocks: 0
; VGPRBlocks: 0
; NumSGPRsForWavesPerEU: 6
; NumVGPRsForWavesPerEU: 1
; AccumOffset: 4
; Occupancy: 8
; WaveLimiterHint : 0
; COMPUTE_PGM_RSRC2:SCRATCH_EN: 0
; COMPUTE_PGM_RSRC2:USER_SGPR: 2
; COMPUTE_PGM_RSRC2:TRAP_HANDLER: 0
; COMPUTE_PGM_RSRC2:TGID_X_EN: 1
; COMPUTE_PGM_RSRC2:TGID_Y_EN: 0
; COMPUTE_PGM_RSRC2:TGID_Z_EN: 0
; COMPUTE_PGM_RSRC2:TIDIG_COMP_CNT: 0
; COMPUTE_PGM_RSRC3_GFX90A:ACCUM_OFFSET: 0
; COMPUTE_PGM_RSRC3_GFX90A:TG_SPLIT: 0
	.section	.text._ZN7rocprim17ROCPRIM_400000_NS6detail17trampoline_kernelINS0_14default_configENS1_25partition_config_selectorILNS1_17partition_subalgoE5ElNS0_10empty_typeEbEEZZNS1_14partition_implILS5_5ELb0ES3_mN6hipcub16HIPCUB_304000_NS21CountingInputIteratorIllEEPS6_NSA_22TransformInputIteratorIb7NonZeroIaEPalEENS0_5tupleIJPlS6_EEENSJ_IJSD_SD_EEES6_SK_JS6_EEE10hipError_tPvRmT3_T4_T5_T6_T7_T9_mT8_P12ihipStream_tbDpT10_ENKUlT_T0_E_clISt17integral_constantIbLb1EES15_IbLb0EEEEDaS11_S12_EUlS11_E_NS1_11comp_targetILNS1_3genE9ELNS1_11target_archE1100ELNS1_3gpuE3ELNS1_3repE0EEENS1_30default_config_static_selectorELNS0_4arch9wavefront6targetE1EEEvT1_,"axG",@progbits,_ZN7rocprim17ROCPRIM_400000_NS6detail17trampoline_kernelINS0_14default_configENS1_25partition_config_selectorILNS1_17partition_subalgoE5ElNS0_10empty_typeEbEEZZNS1_14partition_implILS5_5ELb0ES3_mN6hipcub16HIPCUB_304000_NS21CountingInputIteratorIllEEPS6_NSA_22TransformInputIteratorIb7NonZeroIaEPalEENS0_5tupleIJPlS6_EEENSJ_IJSD_SD_EEES6_SK_JS6_EEE10hipError_tPvRmT3_T4_T5_T6_T7_T9_mT8_P12ihipStream_tbDpT10_ENKUlT_T0_E_clISt17integral_constantIbLb1EES15_IbLb0EEEEDaS11_S12_EUlS11_E_NS1_11comp_targetILNS1_3genE9ELNS1_11target_archE1100ELNS1_3gpuE3ELNS1_3repE0EEENS1_30default_config_static_selectorELNS0_4arch9wavefront6targetE1EEEvT1_,comdat
	.protected	_ZN7rocprim17ROCPRIM_400000_NS6detail17trampoline_kernelINS0_14default_configENS1_25partition_config_selectorILNS1_17partition_subalgoE5ElNS0_10empty_typeEbEEZZNS1_14partition_implILS5_5ELb0ES3_mN6hipcub16HIPCUB_304000_NS21CountingInputIteratorIllEEPS6_NSA_22TransformInputIteratorIb7NonZeroIaEPalEENS0_5tupleIJPlS6_EEENSJ_IJSD_SD_EEES6_SK_JS6_EEE10hipError_tPvRmT3_T4_T5_T6_T7_T9_mT8_P12ihipStream_tbDpT10_ENKUlT_T0_E_clISt17integral_constantIbLb1EES15_IbLb0EEEEDaS11_S12_EUlS11_E_NS1_11comp_targetILNS1_3genE9ELNS1_11target_archE1100ELNS1_3gpuE3ELNS1_3repE0EEENS1_30default_config_static_selectorELNS0_4arch9wavefront6targetE1EEEvT1_ ; -- Begin function _ZN7rocprim17ROCPRIM_400000_NS6detail17trampoline_kernelINS0_14default_configENS1_25partition_config_selectorILNS1_17partition_subalgoE5ElNS0_10empty_typeEbEEZZNS1_14partition_implILS5_5ELb0ES3_mN6hipcub16HIPCUB_304000_NS21CountingInputIteratorIllEEPS6_NSA_22TransformInputIteratorIb7NonZeroIaEPalEENS0_5tupleIJPlS6_EEENSJ_IJSD_SD_EEES6_SK_JS6_EEE10hipError_tPvRmT3_T4_T5_T6_T7_T9_mT8_P12ihipStream_tbDpT10_ENKUlT_T0_E_clISt17integral_constantIbLb1EES15_IbLb0EEEEDaS11_S12_EUlS11_E_NS1_11comp_targetILNS1_3genE9ELNS1_11target_archE1100ELNS1_3gpuE3ELNS1_3repE0EEENS1_30default_config_static_selectorELNS0_4arch9wavefront6targetE1EEEvT1_
	.globl	_ZN7rocprim17ROCPRIM_400000_NS6detail17trampoline_kernelINS0_14default_configENS1_25partition_config_selectorILNS1_17partition_subalgoE5ElNS0_10empty_typeEbEEZZNS1_14partition_implILS5_5ELb0ES3_mN6hipcub16HIPCUB_304000_NS21CountingInputIteratorIllEEPS6_NSA_22TransformInputIteratorIb7NonZeroIaEPalEENS0_5tupleIJPlS6_EEENSJ_IJSD_SD_EEES6_SK_JS6_EEE10hipError_tPvRmT3_T4_T5_T6_T7_T9_mT8_P12ihipStream_tbDpT10_ENKUlT_T0_E_clISt17integral_constantIbLb1EES15_IbLb0EEEEDaS11_S12_EUlS11_E_NS1_11comp_targetILNS1_3genE9ELNS1_11target_archE1100ELNS1_3gpuE3ELNS1_3repE0EEENS1_30default_config_static_selectorELNS0_4arch9wavefront6targetE1EEEvT1_
	.p2align	8
	.type	_ZN7rocprim17ROCPRIM_400000_NS6detail17trampoline_kernelINS0_14default_configENS1_25partition_config_selectorILNS1_17partition_subalgoE5ElNS0_10empty_typeEbEEZZNS1_14partition_implILS5_5ELb0ES3_mN6hipcub16HIPCUB_304000_NS21CountingInputIteratorIllEEPS6_NSA_22TransformInputIteratorIb7NonZeroIaEPalEENS0_5tupleIJPlS6_EEENSJ_IJSD_SD_EEES6_SK_JS6_EEE10hipError_tPvRmT3_T4_T5_T6_T7_T9_mT8_P12ihipStream_tbDpT10_ENKUlT_T0_E_clISt17integral_constantIbLb1EES15_IbLb0EEEEDaS11_S12_EUlS11_E_NS1_11comp_targetILNS1_3genE9ELNS1_11target_archE1100ELNS1_3gpuE3ELNS1_3repE0EEENS1_30default_config_static_selectorELNS0_4arch9wavefront6targetE1EEEvT1_,@function
_ZN7rocprim17ROCPRIM_400000_NS6detail17trampoline_kernelINS0_14default_configENS1_25partition_config_selectorILNS1_17partition_subalgoE5ElNS0_10empty_typeEbEEZZNS1_14partition_implILS5_5ELb0ES3_mN6hipcub16HIPCUB_304000_NS21CountingInputIteratorIllEEPS6_NSA_22TransformInputIteratorIb7NonZeroIaEPalEENS0_5tupleIJPlS6_EEENSJ_IJSD_SD_EEES6_SK_JS6_EEE10hipError_tPvRmT3_T4_T5_T6_T7_T9_mT8_P12ihipStream_tbDpT10_ENKUlT_T0_E_clISt17integral_constantIbLb1EES15_IbLb0EEEEDaS11_S12_EUlS11_E_NS1_11comp_targetILNS1_3genE9ELNS1_11target_archE1100ELNS1_3gpuE3ELNS1_3repE0EEENS1_30default_config_static_selectorELNS0_4arch9wavefront6targetE1EEEvT1_: ; @_ZN7rocprim17ROCPRIM_400000_NS6detail17trampoline_kernelINS0_14default_configENS1_25partition_config_selectorILNS1_17partition_subalgoE5ElNS0_10empty_typeEbEEZZNS1_14partition_implILS5_5ELb0ES3_mN6hipcub16HIPCUB_304000_NS21CountingInputIteratorIllEEPS6_NSA_22TransformInputIteratorIb7NonZeroIaEPalEENS0_5tupleIJPlS6_EEENSJ_IJSD_SD_EEES6_SK_JS6_EEE10hipError_tPvRmT3_T4_T5_T6_T7_T9_mT8_P12ihipStream_tbDpT10_ENKUlT_T0_E_clISt17integral_constantIbLb1EES15_IbLb0EEEEDaS11_S12_EUlS11_E_NS1_11comp_targetILNS1_3genE9ELNS1_11target_archE1100ELNS1_3gpuE3ELNS1_3repE0EEENS1_30default_config_static_selectorELNS0_4arch9wavefront6targetE1EEEvT1_
; %bb.0:
	.section	.rodata,"a",@progbits
	.p2align	6, 0x0
	.amdhsa_kernel _ZN7rocprim17ROCPRIM_400000_NS6detail17trampoline_kernelINS0_14default_configENS1_25partition_config_selectorILNS1_17partition_subalgoE5ElNS0_10empty_typeEbEEZZNS1_14partition_implILS5_5ELb0ES3_mN6hipcub16HIPCUB_304000_NS21CountingInputIteratorIllEEPS6_NSA_22TransformInputIteratorIb7NonZeroIaEPalEENS0_5tupleIJPlS6_EEENSJ_IJSD_SD_EEES6_SK_JS6_EEE10hipError_tPvRmT3_T4_T5_T6_T7_T9_mT8_P12ihipStream_tbDpT10_ENKUlT_T0_E_clISt17integral_constantIbLb1EES15_IbLb0EEEEDaS11_S12_EUlS11_E_NS1_11comp_targetILNS1_3genE9ELNS1_11target_archE1100ELNS1_3gpuE3ELNS1_3repE0EEENS1_30default_config_static_selectorELNS0_4arch9wavefront6targetE1EEEvT1_
		.amdhsa_group_segment_fixed_size 0
		.amdhsa_private_segment_fixed_size 0
		.amdhsa_kernarg_size 120
		.amdhsa_user_sgpr_count 2
		.amdhsa_user_sgpr_dispatch_ptr 0
		.amdhsa_user_sgpr_queue_ptr 0
		.amdhsa_user_sgpr_kernarg_segment_ptr 1
		.amdhsa_user_sgpr_dispatch_id 0
		.amdhsa_user_sgpr_kernarg_preload_length 0
		.amdhsa_user_sgpr_kernarg_preload_offset 0
		.amdhsa_user_sgpr_private_segment_size 0
		.amdhsa_uses_dynamic_stack 0
		.amdhsa_enable_private_segment 0
		.amdhsa_system_sgpr_workgroup_id_x 1
		.amdhsa_system_sgpr_workgroup_id_y 0
		.amdhsa_system_sgpr_workgroup_id_z 0
		.amdhsa_system_sgpr_workgroup_info 0
		.amdhsa_system_vgpr_workitem_id 0
		.amdhsa_next_free_vgpr 1
		.amdhsa_next_free_sgpr 0
		.amdhsa_accum_offset 4
		.amdhsa_reserve_vcc 0
		.amdhsa_float_round_mode_32 0
		.amdhsa_float_round_mode_16_64 0
		.amdhsa_float_denorm_mode_32 3
		.amdhsa_float_denorm_mode_16_64 3
		.amdhsa_dx10_clamp 1
		.amdhsa_ieee_mode 1
		.amdhsa_fp16_overflow 0
		.amdhsa_tg_split 0
		.amdhsa_exception_fp_ieee_invalid_op 0
		.amdhsa_exception_fp_denorm_src 0
		.amdhsa_exception_fp_ieee_div_zero 0
		.amdhsa_exception_fp_ieee_overflow 0
		.amdhsa_exception_fp_ieee_underflow 0
		.amdhsa_exception_fp_ieee_inexact 0
		.amdhsa_exception_int_div_zero 0
	.end_amdhsa_kernel
	.section	.text._ZN7rocprim17ROCPRIM_400000_NS6detail17trampoline_kernelINS0_14default_configENS1_25partition_config_selectorILNS1_17partition_subalgoE5ElNS0_10empty_typeEbEEZZNS1_14partition_implILS5_5ELb0ES3_mN6hipcub16HIPCUB_304000_NS21CountingInputIteratorIllEEPS6_NSA_22TransformInputIteratorIb7NonZeroIaEPalEENS0_5tupleIJPlS6_EEENSJ_IJSD_SD_EEES6_SK_JS6_EEE10hipError_tPvRmT3_T4_T5_T6_T7_T9_mT8_P12ihipStream_tbDpT10_ENKUlT_T0_E_clISt17integral_constantIbLb1EES15_IbLb0EEEEDaS11_S12_EUlS11_E_NS1_11comp_targetILNS1_3genE9ELNS1_11target_archE1100ELNS1_3gpuE3ELNS1_3repE0EEENS1_30default_config_static_selectorELNS0_4arch9wavefront6targetE1EEEvT1_,"axG",@progbits,_ZN7rocprim17ROCPRIM_400000_NS6detail17trampoline_kernelINS0_14default_configENS1_25partition_config_selectorILNS1_17partition_subalgoE5ElNS0_10empty_typeEbEEZZNS1_14partition_implILS5_5ELb0ES3_mN6hipcub16HIPCUB_304000_NS21CountingInputIteratorIllEEPS6_NSA_22TransformInputIteratorIb7NonZeroIaEPalEENS0_5tupleIJPlS6_EEENSJ_IJSD_SD_EEES6_SK_JS6_EEE10hipError_tPvRmT3_T4_T5_T6_T7_T9_mT8_P12ihipStream_tbDpT10_ENKUlT_T0_E_clISt17integral_constantIbLb1EES15_IbLb0EEEEDaS11_S12_EUlS11_E_NS1_11comp_targetILNS1_3genE9ELNS1_11target_archE1100ELNS1_3gpuE3ELNS1_3repE0EEENS1_30default_config_static_selectorELNS0_4arch9wavefront6targetE1EEEvT1_,comdat
.Lfunc_end69:
	.size	_ZN7rocprim17ROCPRIM_400000_NS6detail17trampoline_kernelINS0_14default_configENS1_25partition_config_selectorILNS1_17partition_subalgoE5ElNS0_10empty_typeEbEEZZNS1_14partition_implILS5_5ELb0ES3_mN6hipcub16HIPCUB_304000_NS21CountingInputIteratorIllEEPS6_NSA_22TransformInputIteratorIb7NonZeroIaEPalEENS0_5tupleIJPlS6_EEENSJ_IJSD_SD_EEES6_SK_JS6_EEE10hipError_tPvRmT3_T4_T5_T6_T7_T9_mT8_P12ihipStream_tbDpT10_ENKUlT_T0_E_clISt17integral_constantIbLb1EES15_IbLb0EEEEDaS11_S12_EUlS11_E_NS1_11comp_targetILNS1_3genE9ELNS1_11target_archE1100ELNS1_3gpuE3ELNS1_3repE0EEENS1_30default_config_static_selectorELNS0_4arch9wavefront6targetE1EEEvT1_, .Lfunc_end69-_ZN7rocprim17ROCPRIM_400000_NS6detail17trampoline_kernelINS0_14default_configENS1_25partition_config_selectorILNS1_17partition_subalgoE5ElNS0_10empty_typeEbEEZZNS1_14partition_implILS5_5ELb0ES3_mN6hipcub16HIPCUB_304000_NS21CountingInputIteratorIllEEPS6_NSA_22TransformInputIteratorIb7NonZeroIaEPalEENS0_5tupleIJPlS6_EEENSJ_IJSD_SD_EEES6_SK_JS6_EEE10hipError_tPvRmT3_T4_T5_T6_T7_T9_mT8_P12ihipStream_tbDpT10_ENKUlT_T0_E_clISt17integral_constantIbLb1EES15_IbLb0EEEEDaS11_S12_EUlS11_E_NS1_11comp_targetILNS1_3genE9ELNS1_11target_archE1100ELNS1_3gpuE3ELNS1_3repE0EEENS1_30default_config_static_selectorELNS0_4arch9wavefront6targetE1EEEvT1_
                                        ; -- End function
	.set _ZN7rocprim17ROCPRIM_400000_NS6detail17trampoline_kernelINS0_14default_configENS1_25partition_config_selectorILNS1_17partition_subalgoE5ElNS0_10empty_typeEbEEZZNS1_14partition_implILS5_5ELb0ES3_mN6hipcub16HIPCUB_304000_NS21CountingInputIteratorIllEEPS6_NSA_22TransformInputIteratorIb7NonZeroIaEPalEENS0_5tupleIJPlS6_EEENSJ_IJSD_SD_EEES6_SK_JS6_EEE10hipError_tPvRmT3_T4_T5_T6_T7_T9_mT8_P12ihipStream_tbDpT10_ENKUlT_T0_E_clISt17integral_constantIbLb1EES15_IbLb0EEEEDaS11_S12_EUlS11_E_NS1_11comp_targetILNS1_3genE9ELNS1_11target_archE1100ELNS1_3gpuE3ELNS1_3repE0EEENS1_30default_config_static_selectorELNS0_4arch9wavefront6targetE1EEEvT1_.num_vgpr, 0
	.set _ZN7rocprim17ROCPRIM_400000_NS6detail17trampoline_kernelINS0_14default_configENS1_25partition_config_selectorILNS1_17partition_subalgoE5ElNS0_10empty_typeEbEEZZNS1_14partition_implILS5_5ELb0ES3_mN6hipcub16HIPCUB_304000_NS21CountingInputIteratorIllEEPS6_NSA_22TransformInputIteratorIb7NonZeroIaEPalEENS0_5tupleIJPlS6_EEENSJ_IJSD_SD_EEES6_SK_JS6_EEE10hipError_tPvRmT3_T4_T5_T6_T7_T9_mT8_P12ihipStream_tbDpT10_ENKUlT_T0_E_clISt17integral_constantIbLb1EES15_IbLb0EEEEDaS11_S12_EUlS11_E_NS1_11comp_targetILNS1_3genE9ELNS1_11target_archE1100ELNS1_3gpuE3ELNS1_3repE0EEENS1_30default_config_static_selectorELNS0_4arch9wavefront6targetE1EEEvT1_.num_agpr, 0
	.set _ZN7rocprim17ROCPRIM_400000_NS6detail17trampoline_kernelINS0_14default_configENS1_25partition_config_selectorILNS1_17partition_subalgoE5ElNS0_10empty_typeEbEEZZNS1_14partition_implILS5_5ELb0ES3_mN6hipcub16HIPCUB_304000_NS21CountingInputIteratorIllEEPS6_NSA_22TransformInputIteratorIb7NonZeroIaEPalEENS0_5tupleIJPlS6_EEENSJ_IJSD_SD_EEES6_SK_JS6_EEE10hipError_tPvRmT3_T4_T5_T6_T7_T9_mT8_P12ihipStream_tbDpT10_ENKUlT_T0_E_clISt17integral_constantIbLb1EES15_IbLb0EEEEDaS11_S12_EUlS11_E_NS1_11comp_targetILNS1_3genE9ELNS1_11target_archE1100ELNS1_3gpuE3ELNS1_3repE0EEENS1_30default_config_static_selectorELNS0_4arch9wavefront6targetE1EEEvT1_.numbered_sgpr, 0
	.set _ZN7rocprim17ROCPRIM_400000_NS6detail17trampoline_kernelINS0_14default_configENS1_25partition_config_selectorILNS1_17partition_subalgoE5ElNS0_10empty_typeEbEEZZNS1_14partition_implILS5_5ELb0ES3_mN6hipcub16HIPCUB_304000_NS21CountingInputIteratorIllEEPS6_NSA_22TransformInputIteratorIb7NonZeroIaEPalEENS0_5tupleIJPlS6_EEENSJ_IJSD_SD_EEES6_SK_JS6_EEE10hipError_tPvRmT3_T4_T5_T6_T7_T9_mT8_P12ihipStream_tbDpT10_ENKUlT_T0_E_clISt17integral_constantIbLb1EES15_IbLb0EEEEDaS11_S12_EUlS11_E_NS1_11comp_targetILNS1_3genE9ELNS1_11target_archE1100ELNS1_3gpuE3ELNS1_3repE0EEENS1_30default_config_static_selectorELNS0_4arch9wavefront6targetE1EEEvT1_.num_named_barrier, 0
	.set _ZN7rocprim17ROCPRIM_400000_NS6detail17trampoline_kernelINS0_14default_configENS1_25partition_config_selectorILNS1_17partition_subalgoE5ElNS0_10empty_typeEbEEZZNS1_14partition_implILS5_5ELb0ES3_mN6hipcub16HIPCUB_304000_NS21CountingInputIteratorIllEEPS6_NSA_22TransformInputIteratorIb7NonZeroIaEPalEENS0_5tupleIJPlS6_EEENSJ_IJSD_SD_EEES6_SK_JS6_EEE10hipError_tPvRmT3_T4_T5_T6_T7_T9_mT8_P12ihipStream_tbDpT10_ENKUlT_T0_E_clISt17integral_constantIbLb1EES15_IbLb0EEEEDaS11_S12_EUlS11_E_NS1_11comp_targetILNS1_3genE9ELNS1_11target_archE1100ELNS1_3gpuE3ELNS1_3repE0EEENS1_30default_config_static_selectorELNS0_4arch9wavefront6targetE1EEEvT1_.private_seg_size, 0
	.set _ZN7rocprim17ROCPRIM_400000_NS6detail17trampoline_kernelINS0_14default_configENS1_25partition_config_selectorILNS1_17partition_subalgoE5ElNS0_10empty_typeEbEEZZNS1_14partition_implILS5_5ELb0ES3_mN6hipcub16HIPCUB_304000_NS21CountingInputIteratorIllEEPS6_NSA_22TransformInputIteratorIb7NonZeroIaEPalEENS0_5tupleIJPlS6_EEENSJ_IJSD_SD_EEES6_SK_JS6_EEE10hipError_tPvRmT3_T4_T5_T6_T7_T9_mT8_P12ihipStream_tbDpT10_ENKUlT_T0_E_clISt17integral_constantIbLb1EES15_IbLb0EEEEDaS11_S12_EUlS11_E_NS1_11comp_targetILNS1_3genE9ELNS1_11target_archE1100ELNS1_3gpuE3ELNS1_3repE0EEENS1_30default_config_static_selectorELNS0_4arch9wavefront6targetE1EEEvT1_.uses_vcc, 0
	.set _ZN7rocprim17ROCPRIM_400000_NS6detail17trampoline_kernelINS0_14default_configENS1_25partition_config_selectorILNS1_17partition_subalgoE5ElNS0_10empty_typeEbEEZZNS1_14partition_implILS5_5ELb0ES3_mN6hipcub16HIPCUB_304000_NS21CountingInputIteratorIllEEPS6_NSA_22TransformInputIteratorIb7NonZeroIaEPalEENS0_5tupleIJPlS6_EEENSJ_IJSD_SD_EEES6_SK_JS6_EEE10hipError_tPvRmT3_T4_T5_T6_T7_T9_mT8_P12ihipStream_tbDpT10_ENKUlT_T0_E_clISt17integral_constantIbLb1EES15_IbLb0EEEEDaS11_S12_EUlS11_E_NS1_11comp_targetILNS1_3genE9ELNS1_11target_archE1100ELNS1_3gpuE3ELNS1_3repE0EEENS1_30default_config_static_selectorELNS0_4arch9wavefront6targetE1EEEvT1_.uses_flat_scratch, 0
	.set _ZN7rocprim17ROCPRIM_400000_NS6detail17trampoline_kernelINS0_14default_configENS1_25partition_config_selectorILNS1_17partition_subalgoE5ElNS0_10empty_typeEbEEZZNS1_14partition_implILS5_5ELb0ES3_mN6hipcub16HIPCUB_304000_NS21CountingInputIteratorIllEEPS6_NSA_22TransformInputIteratorIb7NonZeroIaEPalEENS0_5tupleIJPlS6_EEENSJ_IJSD_SD_EEES6_SK_JS6_EEE10hipError_tPvRmT3_T4_T5_T6_T7_T9_mT8_P12ihipStream_tbDpT10_ENKUlT_T0_E_clISt17integral_constantIbLb1EES15_IbLb0EEEEDaS11_S12_EUlS11_E_NS1_11comp_targetILNS1_3genE9ELNS1_11target_archE1100ELNS1_3gpuE3ELNS1_3repE0EEENS1_30default_config_static_selectorELNS0_4arch9wavefront6targetE1EEEvT1_.has_dyn_sized_stack, 0
	.set _ZN7rocprim17ROCPRIM_400000_NS6detail17trampoline_kernelINS0_14default_configENS1_25partition_config_selectorILNS1_17partition_subalgoE5ElNS0_10empty_typeEbEEZZNS1_14partition_implILS5_5ELb0ES3_mN6hipcub16HIPCUB_304000_NS21CountingInputIteratorIllEEPS6_NSA_22TransformInputIteratorIb7NonZeroIaEPalEENS0_5tupleIJPlS6_EEENSJ_IJSD_SD_EEES6_SK_JS6_EEE10hipError_tPvRmT3_T4_T5_T6_T7_T9_mT8_P12ihipStream_tbDpT10_ENKUlT_T0_E_clISt17integral_constantIbLb1EES15_IbLb0EEEEDaS11_S12_EUlS11_E_NS1_11comp_targetILNS1_3genE9ELNS1_11target_archE1100ELNS1_3gpuE3ELNS1_3repE0EEENS1_30default_config_static_selectorELNS0_4arch9wavefront6targetE1EEEvT1_.has_recursion, 0
	.set _ZN7rocprim17ROCPRIM_400000_NS6detail17trampoline_kernelINS0_14default_configENS1_25partition_config_selectorILNS1_17partition_subalgoE5ElNS0_10empty_typeEbEEZZNS1_14partition_implILS5_5ELb0ES3_mN6hipcub16HIPCUB_304000_NS21CountingInputIteratorIllEEPS6_NSA_22TransformInputIteratorIb7NonZeroIaEPalEENS0_5tupleIJPlS6_EEENSJ_IJSD_SD_EEES6_SK_JS6_EEE10hipError_tPvRmT3_T4_T5_T6_T7_T9_mT8_P12ihipStream_tbDpT10_ENKUlT_T0_E_clISt17integral_constantIbLb1EES15_IbLb0EEEEDaS11_S12_EUlS11_E_NS1_11comp_targetILNS1_3genE9ELNS1_11target_archE1100ELNS1_3gpuE3ELNS1_3repE0EEENS1_30default_config_static_selectorELNS0_4arch9wavefront6targetE1EEEvT1_.has_indirect_call, 0
	.section	.AMDGPU.csdata,"",@progbits
; Kernel info:
; codeLenInByte = 0
; TotalNumSgprs: 6
; NumVgprs: 0
; NumAgprs: 0
; TotalNumVgprs: 0
; ScratchSize: 0
; MemoryBound: 0
; FloatMode: 240
; IeeeMode: 1
; LDSByteSize: 0 bytes/workgroup (compile time only)
; SGPRBlocks: 0
; VGPRBlocks: 0
; NumSGPRsForWavesPerEU: 6
; NumVGPRsForWavesPerEU: 1
; AccumOffset: 4
; Occupancy: 8
; WaveLimiterHint : 0
; COMPUTE_PGM_RSRC2:SCRATCH_EN: 0
; COMPUTE_PGM_RSRC2:USER_SGPR: 2
; COMPUTE_PGM_RSRC2:TRAP_HANDLER: 0
; COMPUTE_PGM_RSRC2:TGID_X_EN: 1
; COMPUTE_PGM_RSRC2:TGID_Y_EN: 0
; COMPUTE_PGM_RSRC2:TGID_Z_EN: 0
; COMPUTE_PGM_RSRC2:TIDIG_COMP_CNT: 0
; COMPUTE_PGM_RSRC3_GFX90A:ACCUM_OFFSET: 0
; COMPUTE_PGM_RSRC3_GFX90A:TG_SPLIT: 0
	.section	.text._ZN7rocprim17ROCPRIM_400000_NS6detail17trampoline_kernelINS0_14default_configENS1_25partition_config_selectorILNS1_17partition_subalgoE5ElNS0_10empty_typeEbEEZZNS1_14partition_implILS5_5ELb0ES3_mN6hipcub16HIPCUB_304000_NS21CountingInputIteratorIllEEPS6_NSA_22TransformInputIteratorIb7NonZeroIaEPalEENS0_5tupleIJPlS6_EEENSJ_IJSD_SD_EEES6_SK_JS6_EEE10hipError_tPvRmT3_T4_T5_T6_T7_T9_mT8_P12ihipStream_tbDpT10_ENKUlT_T0_E_clISt17integral_constantIbLb1EES15_IbLb0EEEEDaS11_S12_EUlS11_E_NS1_11comp_targetILNS1_3genE8ELNS1_11target_archE1030ELNS1_3gpuE2ELNS1_3repE0EEENS1_30default_config_static_selectorELNS0_4arch9wavefront6targetE1EEEvT1_,"axG",@progbits,_ZN7rocprim17ROCPRIM_400000_NS6detail17trampoline_kernelINS0_14default_configENS1_25partition_config_selectorILNS1_17partition_subalgoE5ElNS0_10empty_typeEbEEZZNS1_14partition_implILS5_5ELb0ES3_mN6hipcub16HIPCUB_304000_NS21CountingInputIteratorIllEEPS6_NSA_22TransformInputIteratorIb7NonZeroIaEPalEENS0_5tupleIJPlS6_EEENSJ_IJSD_SD_EEES6_SK_JS6_EEE10hipError_tPvRmT3_T4_T5_T6_T7_T9_mT8_P12ihipStream_tbDpT10_ENKUlT_T0_E_clISt17integral_constantIbLb1EES15_IbLb0EEEEDaS11_S12_EUlS11_E_NS1_11comp_targetILNS1_3genE8ELNS1_11target_archE1030ELNS1_3gpuE2ELNS1_3repE0EEENS1_30default_config_static_selectorELNS0_4arch9wavefront6targetE1EEEvT1_,comdat
	.protected	_ZN7rocprim17ROCPRIM_400000_NS6detail17trampoline_kernelINS0_14default_configENS1_25partition_config_selectorILNS1_17partition_subalgoE5ElNS0_10empty_typeEbEEZZNS1_14partition_implILS5_5ELb0ES3_mN6hipcub16HIPCUB_304000_NS21CountingInputIteratorIllEEPS6_NSA_22TransformInputIteratorIb7NonZeroIaEPalEENS0_5tupleIJPlS6_EEENSJ_IJSD_SD_EEES6_SK_JS6_EEE10hipError_tPvRmT3_T4_T5_T6_T7_T9_mT8_P12ihipStream_tbDpT10_ENKUlT_T0_E_clISt17integral_constantIbLb1EES15_IbLb0EEEEDaS11_S12_EUlS11_E_NS1_11comp_targetILNS1_3genE8ELNS1_11target_archE1030ELNS1_3gpuE2ELNS1_3repE0EEENS1_30default_config_static_selectorELNS0_4arch9wavefront6targetE1EEEvT1_ ; -- Begin function _ZN7rocprim17ROCPRIM_400000_NS6detail17trampoline_kernelINS0_14default_configENS1_25partition_config_selectorILNS1_17partition_subalgoE5ElNS0_10empty_typeEbEEZZNS1_14partition_implILS5_5ELb0ES3_mN6hipcub16HIPCUB_304000_NS21CountingInputIteratorIllEEPS6_NSA_22TransformInputIteratorIb7NonZeroIaEPalEENS0_5tupleIJPlS6_EEENSJ_IJSD_SD_EEES6_SK_JS6_EEE10hipError_tPvRmT3_T4_T5_T6_T7_T9_mT8_P12ihipStream_tbDpT10_ENKUlT_T0_E_clISt17integral_constantIbLb1EES15_IbLb0EEEEDaS11_S12_EUlS11_E_NS1_11comp_targetILNS1_3genE8ELNS1_11target_archE1030ELNS1_3gpuE2ELNS1_3repE0EEENS1_30default_config_static_selectorELNS0_4arch9wavefront6targetE1EEEvT1_
	.globl	_ZN7rocprim17ROCPRIM_400000_NS6detail17trampoline_kernelINS0_14default_configENS1_25partition_config_selectorILNS1_17partition_subalgoE5ElNS0_10empty_typeEbEEZZNS1_14partition_implILS5_5ELb0ES3_mN6hipcub16HIPCUB_304000_NS21CountingInputIteratorIllEEPS6_NSA_22TransformInputIteratorIb7NonZeroIaEPalEENS0_5tupleIJPlS6_EEENSJ_IJSD_SD_EEES6_SK_JS6_EEE10hipError_tPvRmT3_T4_T5_T6_T7_T9_mT8_P12ihipStream_tbDpT10_ENKUlT_T0_E_clISt17integral_constantIbLb1EES15_IbLb0EEEEDaS11_S12_EUlS11_E_NS1_11comp_targetILNS1_3genE8ELNS1_11target_archE1030ELNS1_3gpuE2ELNS1_3repE0EEENS1_30default_config_static_selectorELNS0_4arch9wavefront6targetE1EEEvT1_
	.p2align	8
	.type	_ZN7rocprim17ROCPRIM_400000_NS6detail17trampoline_kernelINS0_14default_configENS1_25partition_config_selectorILNS1_17partition_subalgoE5ElNS0_10empty_typeEbEEZZNS1_14partition_implILS5_5ELb0ES3_mN6hipcub16HIPCUB_304000_NS21CountingInputIteratorIllEEPS6_NSA_22TransformInputIteratorIb7NonZeroIaEPalEENS0_5tupleIJPlS6_EEENSJ_IJSD_SD_EEES6_SK_JS6_EEE10hipError_tPvRmT3_T4_T5_T6_T7_T9_mT8_P12ihipStream_tbDpT10_ENKUlT_T0_E_clISt17integral_constantIbLb1EES15_IbLb0EEEEDaS11_S12_EUlS11_E_NS1_11comp_targetILNS1_3genE8ELNS1_11target_archE1030ELNS1_3gpuE2ELNS1_3repE0EEENS1_30default_config_static_selectorELNS0_4arch9wavefront6targetE1EEEvT1_,@function
_ZN7rocprim17ROCPRIM_400000_NS6detail17trampoline_kernelINS0_14default_configENS1_25partition_config_selectorILNS1_17partition_subalgoE5ElNS0_10empty_typeEbEEZZNS1_14partition_implILS5_5ELb0ES3_mN6hipcub16HIPCUB_304000_NS21CountingInputIteratorIllEEPS6_NSA_22TransformInputIteratorIb7NonZeroIaEPalEENS0_5tupleIJPlS6_EEENSJ_IJSD_SD_EEES6_SK_JS6_EEE10hipError_tPvRmT3_T4_T5_T6_T7_T9_mT8_P12ihipStream_tbDpT10_ENKUlT_T0_E_clISt17integral_constantIbLb1EES15_IbLb0EEEEDaS11_S12_EUlS11_E_NS1_11comp_targetILNS1_3genE8ELNS1_11target_archE1030ELNS1_3gpuE2ELNS1_3repE0EEENS1_30default_config_static_selectorELNS0_4arch9wavefront6targetE1EEEvT1_: ; @_ZN7rocprim17ROCPRIM_400000_NS6detail17trampoline_kernelINS0_14default_configENS1_25partition_config_selectorILNS1_17partition_subalgoE5ElNS0_10empty_typeEbEEZZNS1_14partition_implILS5_5ELb0ES3_mN6hipcub16HIPCUB_304000_NS21CountingInputIteratorIllEEPS6_NSA_22TransformInputIteratorIb7NonZeroIaEPalEENS0_5tupleIJPlS6_EEENSJ_IJSD_SD_EEES6_SK_JS6_EEE10hipError_tPvRmT3_T4_T5_T6_T7_T9_mT8_P12ihipStream_tbDpT10_ENKUlT_T0_E_clISt17integral_constantIbLb1EES15_IbLb0EEEEDaS11_S12_EUlS11_E_NS1_11comp_targetILNS1_3genE8ELNS1_11target_archE1030ELNS1_3gpuE2ELNS1_3repE0EEENS1_30default_config_static_selectorELNS0_4arch9wavefront6targetE1EEEvT1_
; %bb.0:
	.section	.rodata,"a",@progbits
	.p2align	6, 0x0
	.amdhsa_kernel _ZN7rocprim17ROCPRIM_400000_NS6detail17trampoline_kernelINS0_14default_configENS1_25partition_config_selectorILNS1_17partition_subalgoE5ElNS0_10empty_typeEbEEZZNS1_14partition_implILS5_5ELb0ES3_mN6hipcub16HIPCUB_304000_NS21CountingInputIteratorIllEEPS6_NSA_22TransformInputIteratorIb7NonZeroIaEPalEENS0_5tupleIJPlS6_EEENSJ_IJSD_SD_EEES6_SK_JS6_EEE10hipError_tPvRmT3_T4_T5_T6_T7_T9_mT8_P12ihipStream_tbDpT10_ENKUlT_T0_E_clISt17integral_constantIbLb1EES15_IbLb0EEEEDaS11_S12_EUlS11_E_NS1_11comp_targetILNS1_3genE8ELNS1_11target_archE1030ELNS1_3gpuE2ELNS1_3repE0EEENS1_30default_config_static_selectorELNS0_4arch9wavefront6targetE1EEEvT1_
		.amdhsa_group_segment_fixed_size 0
		.amdhsa_private_segment_fixed_size 0
		.amdhsa_kernarg_size 120
		.amdhsa_user_sgpr_count 2
		.amdhsa_user_sgpr_dispatch_ptr 0
		.amdhsa_user_sgpr_queue_ptr 0
		.amdhsa_user_sgpr_kernarg_segment_ptr 1
		.amdhsa_user_sgpr_dispatch_id 0
		.amdhsa_user_sgpr_kernarg_preload_length 0
		.amdhsa_user_sgpr_kernarg_preload_offset 0
		.amdhsa_user_sgpr_private_segment_size 0
		.amdhsa_uses_dynamic_stack 0
		.amdhsa_enable_private_segment 0
		.amdhsa_system_sgpr_workgroup_id_x 1
		.amdhsa_system_sgpr_workgroup_id_y 0
		.amdhsa_system_sgpr_workgroup_id_z 0
		.amdhsa_system_sgpr_workgroup_info 0
		.amdhsa_system_vgpr_workitem_id 0
		.amdhsa_next_free_vgpr 1
		.amdhsa_next_free_sgpr 0
		.amdhsa_accum_offset 4
		.amdhsa_reserve_vcc 0
		.amdhsa_float_round_mode_32 0
		.amdhsa_float_round_mode_16_64 0
		.amdhsa_float_denorm_mode_32 3
		.amdhsa_float_denorm_mode_16_64 3
		.amdhsa_dx10_clamp 1
		.amdhsa_ieee_mode 1
		.amdhsa_fp16_overflow 0
		.amdhsa_tg_split 0
		.amdhsa_exception_fp_ieee_invalid_op 0
		.amdhsa_exception_fp_denorm_src 0
		.amdhsa_exception_fp_ieee_div_zero 0
		.amdhsa_exception_fp_ieee_overflow 0
		.amdhsa_exception_fp_ieee_underflow 0
		.amdhsa_exception_fp_ieee_inexact 0
		.amdhsa_exception_int_div_zero 0
	.end_amdhsa_kernel
	.section	.text._ZN7rocprim17ROCPRIM_400000_NS6detail17trampoline_kernelINS0_14default_configENS1_25partition_config_selectorILNS1_17partition_subalgoE5ElNS0_10empty_typeEbEEZZNS1_14partition_implILS5_5ELb0ES3_mN6hipcub16HIPCUB_304000_NS21CountingInputIteratorIllEEPS6_NSA_22TransformInputIteratorIb7NonZeroIaEPalEENS0_5tupleIJPlS6_EEENSJ_IJSD_SD_EEES6_SK_JS6_EEE10hipError_tPvRmT3_T4_T5_T6_T7_T9_mT8_P12ihipStream_tbDpT10_ENKUlT_T0_E_clISt17integral_constantIbLb1EES15_IbLb0EEEEDaS11_S12_EUlS11_E_NS1_11comp_targetILNS1_3genE8ELNS1_11target_archE1030ELNS1_3gpuE2ELNS1_3repE0EEENS1_30default_config_static_selectorELNS0_4arch9wavefront6targetE1EEEvT1_,"axG",@progbits,_ZN7rocprim17ROCPRIM_400000_NS6detail17trampoline_kernelINS0_14default_configENS1_25partition_config_selectorILNS1_17partition_subalgoE5ElNS0_10empty_typeEbEEZZNS1_14partition_implILS5_5ELb0ES3_mN6hipcub16HIPCUB_304000_NS21CountingInputIteratorIllEEPS6_NSA_22TransformInputIteratorIb7NonZeroIaEPalEENS0_5tupleIJPlS6_EEENSJ_IJSD_SD_EEES6_SK_JS6_EEE10hipError_tPvRmT3_T4_T5_T6_T7_T9_mT8_P12ihipStream_tbDpT10_ENKUlT_T0_E_clISt17integral_constantIbLb1EES15_IbLb0EEEEDaS11_S12_EUlS11_E_NS1_11comp_targetILNS1_3genE8ELNS1_11target_archE1030ELNS1_3gpuE2ELNS1_3repE0EEENS1_30default_config_static_selectorELNS0_4arch9wavefront6targetE1EEEvT1_,comdat
.Lfunc_end70:
	.size	_ZN7rocprim17ROCPRIM_400000_NS6detail17trampoline_kernelINS0_14default_configENS1_25partition_config_selectorILNS1_17partition_subalgoE5ElNS0_10empty_typeEbEEZZNS1_14partition_implILS5_5ELb0ES3_mN6hipcub16HIPCUB_304000_NS21CountingInputIteratorIllEEPS6_NSA_22TransformInputIteratorIb7NonZeroIaEPalEENS0_5tupleIJPlS6_EEENSJ_IJSD_SD_EEES6_SK_JS6_EEE10hipError_tPvRmT3_T4_T5_T6_T7_T9_mT8_P12ihipStream_tbDpT10_ENKUlT_T0_E_clISt17integral_constantIbLb1EES15_IbLb0EEEEDaS11_S12_EUlS11_E_NS1_11comp_targetILNS1_3genE8ELNS1_11target_archE1030ELNS1_3gpuE2ELNS1_3repE0EEENS1_30default_config_static_selectorELNS0_4arch9wavefront6targetE1EEEvT1_, .Lfunc_end70-_ZN7rocprim17ROCPRIM_400000_NS6detail17trampoline_kernelINS0_14default_configENS1_25partition_config_selectorILNS1_17partition_subalgoE5ElNS0_10empty_typeEbEEZZNS1_14partition_implILS5_5ELb0ES3_mN6hipcub16HIPCUB_304000_NS21CountingInputIteratorIllEEPS6_NSA_22TransformInputIteratorIb7NonZeroIaEPalEENS0_5tupleIJPlS6_EEENSJ_IJSD_SD_EEES6_SK_JS6_EEE10hipError_tPvRmT3_T4_T5_T6_T7_T9_mT8_P12ihipStream_tbDpT10_ENKUlT_T0_E_clISt17integral_constantIbLb1EES15_IbLb0EEEEDaS11_S12_EUlS11_E_NS1_11comp_targetILNS1_3genE8ELNS1_11target_archE1030ELNS1_3gpuE2ELNS1_3repE0EEENS1_30default_config_static_selectorELNS0_4arch9wavefront6targetE1EEEvT1_
                                        ; -- End function
	.set _ZN7rocprim17ROCPRIM_400000_NS6detail17trampoline_kernelINS0_14default_configENS1_25partition_config_selectorILNS1_17partition_subalgoE5ElNS0_10empty_typeEbEEZZNS1_14partition_implILS5_5ELb0ES3_mN6hipcub16HIPCUB_304000_NS21CountingInputIteratorIllEEPS6_NSA_22TransformInputIteratorIb7NonZeroIaEPalEENS0_5tupleIJPlS6_EEENSJ_IJSD_SD_EEES6_SK_JS6_EEE10hipError_tPvRmT3_T4_T5_T6_T7_T9_mT8_P12ihipStream_tbDpT10_ENKUlT_T0_E_clISt17integral_constantIbLb1EES15_IbLb0EEEEDaS11_S12_EUlS11_E_NS1_11comp_targetILNS1_3genE8ELNS1_11target_archE1030ELNS1_3gpuE2ELNS1_3repE0EEENS1_30default_config_static_selectorELNS0_4arch9wavefront6targetE1EEEvT1_.num_vgpr, 0
	.set _ZN7rocprim17ROCPRIM_400000_NS6detail17trampoline_kernelINS0_14default_configENS1_25partition_config_selectorILNS1_17partition_subalgoE5ElNS0_10empty_typeEbEEZZNS1_14partition_implILS5_5ELb0ES3_mN6hipcub16HIPCUB_304000_NS21CountingInputIteratorIllEEPS6_NSA_22TransformInputIteratorIb7NonZeroIaEPalEENS0_5tupleIJPlS6_EEENSJ_IJSD_SD_EEES6_SK_JS6_EEE10hipError_tPvRmT3_T4_T5_T6_T7_T9_mT8_P12ihipStream_tbDpT10_ENKUlT_T0_E_clISt17integral_constantIbLb1EES15_IbLb0EEEEDaS11_S12_EUlS11_E_NS1_11comp_targetILNS1_3genE8ELNS1_11target_archE1030ELNS1_3gpuE2ELNS1_3repE0EEENS1_30default_config_static_selectorELNS0_4arch9wavefront6targetE1EEEvT1_.num_agpr, 0
	.set _ZN7rocprim17ROCPRIM_400000_NS6detail17trampoline_kernelINS0_14default_configENS1_25partition_config_selectorILNS1_17partition_subalgoE5ElNS0_10empty_typeEbEEZZNS1_14partition_implILS5_5ELb0ES3_mN6hipcub16HIPCUB_304000_NS21CountingInputIteratorIllEEPS6_NSA_22TransformInputIteratorIb7NonZeroIaEPalEENS0_5tupleIJPlS6_EEENSJ_IJSD_SD_EEES6_SK_JS6_EEE10hipError_tPvRmT3_T4_T5_T6_T7_T9_mT8_P12ihipStream_tbDpT10_ENKUlT_T0_E_clISt17integral_constantIbLb1EES15_IbLb0EEEEDaS11_S12_EUlS11_E_NS1_11comp_targetILNS1_3genE8ELNS1_11target_archE1030ELNS1_3gpuE2ELNS1_3repE0EEENS1_30default_config_static_selectorELNS0_4arch9wavefront6targetE1EEEvT1_.numbered_sgpr, 0
	.set _ZN7rocprim17ROCPRIM_400000_NS6detail17trampoline_kernelINS0_14default_configENS1_25partition_config_selectorILNS1_17partition_subalgoE5ElNS0_10empty_typeEbEEZZNS1_14partition_implILS5_5ELb0ES3_mN6hipcub16HIPCUB_304000_NS21CountingInputIteratorIllEEPS6_NSA_22TransformInputIteratorIb7NonZeroIaEPalEENS0_5tupleIJPlS6_EEENSJ_IJSD_SD_EEES6_SK_JS6_EEE10hipError_tPvRmT3_T4_T5_T6_T7_T9_mT8_P12ihipStream_tbDpT10_ENKUlT_T0_E_clISt17integral_constantIbLb1EES15_IbLb0EEEEDaS11_S12_EUlS11_E_NS1_11comp_targetILNS1_3genE8ELNS1_11target_archE1030ELNS1_3gpuE2ELNS1_3repE0EEENS1_30default_config_static_selectorELNS0_4arch9wavefront6targetE1EEEvT1_.num_named_barrier, 0
	.set _ZN7rocprim17ROCPRIM_400000_NS6detail17trampoline_kernelINS0_14default_configENS1_25partition_config_selectorILNS1_17partition_subalgoE5ElNS0_10empty_typeEbEEZZNS1_14partition_implILS5_5ELb0ES3_mN6hipcub16HIPCUB_304000_NS21CountingInputIteratorIllEEPS6_NSA_22TransformInputIteratorIb7NonZeroIaEPalEENS0_5tupleIJPlS6_EEENSJ_IJSD_SD_EEES6_SK_JS6_EEE10hipError_tPvRmT3_T4_T5_T6_T7_T9_mT8_P12ihipStream_tbDpT10_ENKUlT_T0_E_clISt17integral_constantIbLb1EES15_IbLb0EEEEDaS11_S12_EUlS11_E_NS1_11comp_targetILNS1_3genE8ELNS1_11target_archE1030ELNS1_3gpuE2ELNS1_3repE0EEENS1_30default_config_static_selectorELNS0_4arch9wavefront6targetE1EEEvT1_.private_seg_size, 0
	.set _ZN7rocprim17ROCPRIM_400000_NS6detail17trampoline_kernelINS0_14default_configENS1_25partition_config_selectorILNS1_17partition_subalgoE5ElNS0_10empty_typeEbEEZZNS1_14partition_implILS5_5ELb0ES3_mN6hipcub16HIPCUB_304000_NS21CountingInputIteratorIllEEPS6_NSA_22TransformInputIteratorIb7NonZeroIaEPalEENS0_5tupleIJPlS6_EEENSJ_IJSD_SD_EEES6_SK_JS6_EEE10hipError_tPvRmT3_T4_T5_T6_T7_T9_mT8_P12ihipStream_tbDpT10_ENKUlT_T0_E_clISt17integral_constantIbLb1EES15_IbLb0EEEEDaS11_S12_EUlS11_E_NS1_11comp_targetILNS1_3genE8ELNS1_11target_archE1030ELNS1_3gpuE2ELNS1_3repE0EEENS1_30default_config_static_selectorELNS0_4arch9wavefront6targetE1EEEvT1_.uses_vcc, 0
	.set _ZN7rocprim17ROCPRIM_400000_NS6detail17trampoline_kernelINS0_14default_configENS1_25partition_config_selectorILNS1_17partition_subalgoE5ElNS0_10empty_typeEbEEZZNS1_14partition_implILS5_5ELb0ES3_mN6hipcub16HIPCUB_304000_NS21CountingInputIteratorIllEEPS6_NSA_22TransformInputIteratorIb7NonZeroIaEPalEENS0_5tupleIJPlS6_EEENSJ_IJSD_SD_EEES6_SK_JS6_EEE10hipError_tPvRmT3_T4_T5_T6_T7_T9_mT8_P12ihipStream_tbDpT10_ENKUlT_T0_E_clISt17integral_constantIbLb1EES15_IbLb0EEEEDaS11_S12_EUlS11_E_NS1_11comp_targetILNS1_3genE8ELNS1_11target_archE1030ELNS1_3gpuE2ELNS1_3repE0EEENS1_30default_config_static_selectorELNS0_4arch9wavefront6targetE1EEEvT1_.uses_flat_scratch, 0
	.set _ZN7rocprim17ROCPRIM_400000_NS6detail17trampoline_kernelINS0_14default_configENS1_25partition_config_selectorILNS1_17partition_subalgoE5ElNS0_10empty_typeEbEEZZNS1_14partition_implILS5_5ELb0ES3_mN6hipcub16HIPCUB_304000_NS21CountingInputIteratorIllEEPS6_NSA_22TransformInputIteratorIb7NonZeroIaEPalEENS0_5tupleIJPlS6_EEENSJ_IJSD_SD_EEES6_SK_JS6_EEE10hipError_tPvRmT3_T4_T5_T6_T7_T9_mT8_P12ihipStream_tbDpT10_ENKUlT_T0_E_clISt17integral_constantIbLb1EES15_IbLb0EEEEDaS11_S12_EUlS11_E_NS1_11comp_targetILNS1_3genE8ELNS1_11target_archE1030ELNS1_3gpuE2ELNS1_3repE0EEENS1_30default_config_static_selectorELNS0_4arch9wavefront6targetE1EEEvT1_.has_dyn_sized_stack, 0
	.set _ZN7rocprim17ROCPRIM_400000_NS6detail17trampoline_kernelINS0_14default_configENS1_25partition_config_selectorILNS1_17partition_subalgoE5ElNS0_10empty_typeEbEEZZNS1_14partition_implILS5_5ELb0ES3_mN6hipcub16HIPCUB_304000_NS21CountingInputIteratorIllEEPS6_NSA_22TransformInputIteratorIb7NonZeroIaEPalEENS0_5tupleIJPlS6_EEENSJ_IJSD_SD_EEES6_SK_JS6_EEE10hipError_tPvRmT3_T4_T5_T6_T7_T9_mT8_P12ihipStream_tbDpT10_ENKUlT_T0_E_clISt17integral_constantIbLb1EES15_IbLb0EEEEDaS11_S12_EUlS11_E_NS1_11comp_targetILNS1_3genE8ELNS1_11target_archE1030ELNS1_3gpuE2ELNS1_3repE0EEENS1_30default_config_static_selectorELNS0_4arch9wavefront6targetE1EEEvT1_.has_recursion, 0
	.set _ZN7rocprim17ROCPRIM_400000_NS6detail17trampoline_kernelINS0_14default_configENS1_25partition_config_selectorILNS1_17partition_subalgoE5ElNS0_10empty_typeEbEEZZNS1_14partition_implILS5_5ELb0ES3_mN6hipcub16HIPCUB_304000_NS21CountingInputIteratorIllEEPS6_NSA_22TransformInputIteratorIb7NonZeroIaEPalEENS0_5tupleIJPlS6_EEENSJ_IJSD_SD_EEES6_SK_JS6_EEE10hipError_tPvRmT3_T4_T5_T6_T7_T9_mT8_P12ihipStream_tbDpT10_ENKUlT_T0_E_clISt17integral_constantIbLb1EES15_IbLb0EEEEDaS11_S12_EUlS11_E_NS1_11comp_targetILNS1_3genE8ELNS1_11target_archE1030ELNS1_3gpuE2ELNS1_3repE0EEENS1_30default_config_static_selectorELNS0_4arch9wavefront6targetE1EEEvT1_.has_indirect_call, 0
	.section	.AMDGPU.csdata,"",@progbits
; Kernel info:
; codeLenInByte = 0
; TotalNumSgprs: 6
; NumVgprs: 0
; NumAgprs: 0
; TotalNumVgprs: 0
; ScratchSize: 0
; MemoryBound: 0
; FloatMode: 240
; IeeeMode: 1
; LDSByteSize: 0 bytes/workgroup (compile time only)
; SGPRBlocks: 0
; VGPRBlocks: 0
; NumSGPRsForWavesPerEU: 6
; NumVGPRsForWavesPerEU: 1
; AccumOffset: 4
; Occupancy: 8
; WaveLimiterHint : 0
; COMPUTE_PGM_RSRC2:SCRATCH_EN: 0
; COMPUTE_PGM_RSRC2:USER_SGPR: 2
; COMPUTE_PGM_RSRC2:TRAP_HANDLER: 0
; COMPUTE_PGM_RSRC2:TGID_X_EN: 1
; COMPUTE_PGM_RSRC2:TGID_Y_EN: 0
; COMPUTE_PGM_RSRC2:TGID_Z_EN: 0
; COMPUTE_PGM_RSRC2:TIDIG_COMP_CNT: 0
; COMPUTE_PGM_RSRC3_GFX90A:ACCUM_OFFSET: 0
; COMPUTE_PGM_RSRC3_GFX90A:TG_SPLIT: 0
	.section	.text._ZN7rocprim17ROCPRIM_400000_NS6detail31init_lookback_scan_state_kernelINS1_19lookback_scan_stateImLb0ELb1EEENS1_16block_id_wrapperIjLb1EEEEEvT_jT0_jPNS7_10value_typeE,"axG",@progbits,_ZN7rocprim17ROCPRIM_400000_NS6detail31init_lookback_scan_state_kernelINS1_19lookback_scan_stateImLb0ELb1EEENS1_16block_id_wrapperIjLb1EEEEEvT_jT0_jPNS7_10value_typeE,comdat
	.protected	_ZN7rocprim17ROCPRIM_400000_NS6detail31init_lookback_scan_state_kernelINS1_19lookback_scan_stateImLb0ELb1EEENS1_16block_id_wrapperIjLb1EEEEEvT_jT0_jPNS7_10value_typeE ; -- Begin function _ZN7rocprim17ROCPRIM_400000_NS6detail31init_lookback_scan_state_kernelINS1_19lookback_scan_stateImLb0ELb1EEENS1_16block_id_wrapperIjLb1EEEEEvT_jT0_jPNS7_10value_typeE
	.globl	_ZN7rocprim17ROCPRIM_400000_NS6detail31init_lookback_scan_state_kernelINS1_19lookback_scan_stateImLb0ELb1EEENS1_16block_id_wrapperIjLb1EEEEEvT_jT0_jPNS7_10value_typeE
	.p2align	8
	.type	_ZN7rocprim17ROCPRIM_400000_NS6detail31init_lookback_scan_state_kernelINS1_19lookback_scan_stateImLb0ELb1EEENS1_16block_id_wrapperIjLb1EEEEEvT_jT0_jPNS7_10value_typeE,@function
_ZN7rocprim17ROCPRIM_400000_NS6detail31init_lookback_scan_state_kernelINS1_19lookback_scan_stateImLb0ELb1EEENS1_16block_id_wrapperIjLb1EEEEEvT_jT0_jPNS7_10value_typeE: ; @_ZN7rocprim17ROCPRIM_400000_NS6detail31init_lookback_scan_state_kernelINS1_19lookback_scan_stateImLb0ELb1EEENS1_16block_id_wrapperIjLb1EEEEEvT_jT0_jPNS7_10value_typeE
; %bb.0:
	s_load_dword s3, s[0:1], 0x34
	s_load_dwordx2 s[6:7], s[0:1], 0x20
	s_load_dwordx2 s[4:5], s[0:1], 0x0
	s_load_dword s14, s[0:1], 0x8
	s_waitcnt lgkmcnt(0)
	s_and_b32 s3, s3, 0xffff
	s_mul_i32 s2, s2, s3
	s_cmp_eq_u64 s[6:7], 0
	v_add_u32_e32 v0, s2, v0
	s_cbranch_scc1 .LBB71_8
; %bb.1:
	s_load_dword s8, s[0:1], 0x18
	s_mov_b32 s9, 0
	s_waitcnt lgkmcnt(0)
	s_cmp_lt_u32 s8, s14
	s_cselect_b32 s2, s8, 0
	v_cmp_eq_u32_e32 vcc, s2, v0
	s_and_saveexec_b64 s[2:3], vcc
	s_cbranch_execz .LBB71_7
; %bb.2:
	s_add_i32 s8, s8, 64
	s_lshl_b64 s[8:9], s[8:9], 4
	s_add_u32 s12, s4, s8
	s_addc_u32 s13, s5, s9
	v_mov_b64_e32 v[2:3], s[12:13]
	;;#ASMSTART
	global_load_dwordx4 v[2:5], v[2:3] off sc1	
s_waitcnt vmcnt(0)
	;;#ASMEND
	v_mov_b32_e32 v7, 0
	v_and_b32_e32 v6, 0xff, v4
	s_mov_b64 s[10:11], 0
	v_cmp_eq_u64_e32 vcc, 0, v[6:7]
	s_and_saveexec_b64 s[8:9], vcc
	s_cbranch_execz .LBB71_6
; %bb.3:
	v_mov_b64_e32 v[8:9], s[12:13]
.LBB71_4:                               ; =>This Inner Loop Header: Depth=1
	;;#ASMSTART
	global_load_dwordx4 v[2:5], v[8:9] off sc1	
s_waitcnt vmcnt(0)
	;;#ASMEND
	s_nop 0
	v_and_b32_e32 v6, 0xff, v4
	v_cmp_ne_u64_e32 vcc, 0, v[6:7]
	s_or_b64 s[10:11], vcc, s[10:11]
	s_andn2_b64 exec, exec, s[10:11]
	s_cbranch_execnz .LBB71_4
; %bb.5:
	s_or_b64 exec, exec, s[10:11]
.LBB71_6:
	s_or_b64 exec, exec, s[8:9]
	v_mov_b32_e32 v1, 0
	global_store_dwordx2 v1, v[2:3], s[6:7]
.LBB71_7:
	s_or_b64 exec, exec, s[2:3]
.LBB71_8:
	v_cmp_eq_u32_e32 vcc, 0, v0
	s_and_saveexec_b64 s[2:3], vcc
	s_cbranch_execnz .LBB71_12
; %bb.9:
	s_or_b64 exec, exec, s[2:3]
	v_cmp_gt_u32_e32 vcc, s14, v0
	s_and_saveexec_b64 s[0:1], vcc
	s_cbranch_execnz .LBB71_13
.LBB71_10:
	s_or_b64 exec, exec, s[0:1]
	v_cmp_gt_u32_e32 vcc, 64, v0
	s_and_saveexec_b64 s[0:1], vcc
	s_cbranch_execnz .LBB71_14
.LBB71_11:
	s_endpgm
.LBB71_12:
	s_load_dwordx2 s[0:1], s[0:1], 0x10
	v_mov_b32_e32 v1, 0
	s_waitcnt lgkmcnt(0)
	global_store_dword v1, v1, s[0:1]
	s_or_b64 exec, exec, s[2:3]
	v_cmp_gt_u32_e32 vcc, s14, v0
	s_and_saveexec_b64 s[0:1], vcc
	s_cbranch_execz .LBB71_10
.LBB71_13:
	v_add_u32_e32 v2, 64, v0
	v_mov_b32_e32 v3, 0
	v_lshl_add_u64 v[6:7], v[2:3], 4, s[4:5]
	v_mov_b32_e32 v2, v3
	v_mov_b32_e32 v4, v3
	;; [unrolled: 1-line block ×3, first 2 shown]
	global_store_dwordx4 v[6:7], v[2:5], off
	s_or_b64 exec, exec, s[0:1]
	v_cmp_gt_u32_e32 vcc, 64, v0
	s_and_saveexec_b64 s[0:1], vcc
	s_cbranch_execz .LBB71_11
.LBB71_14:
	v_mov_b32_e32 v1, 0
	v_lshl_add_u64 v[4:5], v[0:1], 4, s[4:5]
	v_mov_b32_e32 v2, 0xff
	v_mov_b32_e32 v0, v1
	;; [unrolled: 1-line block ×3, first 2 shown]
	global_store_dwordx4 v[4:5], v[0:3], off
	s_endpgm
	.section	.rodata,"a",@progbits
	.p2align	6, 0x0
	.amdhsa_kernel _ZN7rocprim17ROCPRIM_400000_NS6detail31init_lookback_scan_state_kernelINS1_19lookback_scan_stateImLb0ELb1EEENS1_16block_id_wrapperIjLb1EEEEEvT_jT0_jPNS7_10value_typeE
		.amdhsa_group_segment_fixed_size 0
		.amdhsa_private_segment_fixed_size 0
		.amdhsa_kernarg_size 296
		.amdhsa_user_sgpr_count 2
		.amdhsa_user_sgpr_dispatch_ptr 0
		.amdhsa_user_sgpr_queue_ptr 0
		.amdhsa_user_sgpr_kernarg_segment_ptr 1
		.amdhsa_user_sgpr_dispatch_id 0
		.amdhsa_user_sgpr_kernarg_preload_length 0
		.amdhsa_user_sgpr_kernarg_preload_offset 0
		.amdhsa_user_sgpr_private_segment_size 0
		.amdhsa_uses_dynamic_stack 0
		.amdhsa_enable_private_segment 0
		.amdhsa_system_sgpr_workgroup_id_x 1
		.amdhsa_system_sgpr_workgroup_id_y 0
		.amdhsa_system_sgpr_workgroup_id_z 0
		.amdhsa_system_sgpr_workgroup_info 0
		.amdhsa_system_vgpr_workitem_id 0
		.amdhsa_next_free_vgpr 10
		.amdhsa_next_free_sgpr 15
		.amdhsa_accum_offset 12
		.amdhsa_reserve_vcc 1
		.amdhsa_float_round_mode_32 0
		.amdhsa_float_round_mode_16_64 0
		.amdhsa_float_denorm_mode_32 3
		.amdhsa_float_denorm_mode_16_64 3
		.amdhsa_dx10_clamp 1
		.amdhsa_ieee_mode 1
		.amdhsa_fp16_overflow 0
		.amdhsa_tg_split 0
		.amdhsa_exception_fp_ieee_invalid_op 0
		.amdhsa_exception_fp_denorm_src 0
		.amdhsa_exception_fp_ieee_div_zero 0
		.amdhsa_exception_fp_ieee_overflow 0
		.amdhsa_exception_fp_ieee_underflow 0
		.amdhsa_exception_fp_ieee_inexact 0
		.amdhsa_exception_int_div_zero 0
	.end_amdhsa_kernel
	.section	.text._ZN7rocprim17ROCPRIM_400000_NS6detail31init_lookback_scan_state_kernelINS1_19lookback_scan_stateImLb0ELb1EEENS1_16block_id_wrapperIjLb1EEEEEvT_jT0_jPNS7_10value_typeE,"axG",@progbits,_ZN7rocprim17ROCPRIM_400000_NS6detail31init_lookback_scan_state_kernelINS1_19lookback_scan_stateImLb0ELb1EEENS1_16block_id_wrapperIjLb1EEEEEvT_jT0_jPNS7_10value_typeE,comdat
.Lfunc_end71:
	.size	_ZN7rocprim17ROCPRIM_400000_NS6detail31init_lookback_scan_state_kernelINS1_19lookback_scan_stateImLb0ELb1EEENS1_16block_id_wrapperIjLb1EEEEEvT_jT0_jPNS7_10value_typeE, .Lfunc_end71-_ZN7rocprim17ROCPRIM_400000_NS6detail31init_lookback_scan_state_kernelINS1_19lookback_scan_stateImLb0ELb1EEENS1_16block_id_wrapperIjLb1EEEEEvT_jT0_jPNS7_10value_typeE
                                        ; -- End function
	.set _ZN7rocprim17ROCPRIM_400000_NS6detail31init_lookback_scan_state_kernelINS1_19lookback_scan_stateImLb0ELb1EEENS1_16block_id_wrapperIjLb1EEEEEvT_jT0_jPNS7_10value_typeE.num_vgpr, 10
	.set _ZN7rocprim17ROCPRIM_400000_NS6detail31init_lookback_scan_state_kernelINS1_19lookback_scan_stateImLb0ELb1EEENS1_16block_id_wrapperIjLb1EEEEEvT_jT0_jPNS7_10value_typeE.num_agpr, 0
	.set _ZN7rocprim17ROCPRIM_400000_NS6detail31init_lookback_scan_state_kernelINS1_19lookback_scan_stateImLb0ELb1EEENS1_16block_id_wrapperIjLb1EEEEEvT_jT0_jPNS7_10value_typeE.numbered_sgpr, 15
	.set _ZN7rocprim17ROCPRIM_400000_NS6detail31init_lookback_scan_state_kernelINS1_19lookback_scan_stateImLb0ELb1EEENS1_16block_id_wrapperIjLb1EEEEEvT_jT0_jPNS7_10value_typeE.num_named_barrier, 0
	.set _ZN7rocprim17ROCPRIM_400000_NS6detail31init_lookback_scan_state_kernelINS1_19lookback_scan_stateImLb0ELb1EEENS1_16block_id_wrapperIjLb1EEEEEvT_jT0_jPNS7_10value_typeE.private_seg_size, 0
	.set _ZN7rocprim17ROCPRIM_400000_NS6detail31init_lookback_scan_state_kernelINS1_19lookback_scan_stateImLb0ELb1EEENS1_16block_id_wrapperIjLb1EEEEEvT_jT0_jPNS7_10value_typeE.uses_vcc, 1
	.set _ZN7rocprim17ROCPRIM_400000_NS6detail31init_lookback_scan_state_kernelINS1_19lookback_scan_stateImLb0ELb1EEENS1_16block_id_wrapperIjLb1EEEEEvT_jT0_jPNS7_10value_typeE.uses_flat_scratch, 0
	.set _ZN7rocprim17ROCPRIM_400000_NS6detail31init_lookback_scan_state_kernelINS1_19lookback_scan_stateImLb0ELb1EEENS1_16block_id_wrapperIjLb1EEEEEvT_jT0_jPNS7_10value_typeE.has_dyn_sized_stack, 0
	.set _ZN7rocprim17ROCPRIM_400000_NS6detail31init_lookback_scan_state_kernelINS1_19lookback_scan_stateImLb0ELb1EEENS1_16block_id_wrapperIjLb1EEEEEvT_jT0_jPNS7_10value_typeE.has_recursion, 0
	.set _ZN7rocprim17ROCPRIM_400000_NS6detail31init_lookback_scan_state_kernelINS1_19lookback_scan_stateImLb0ELb1EEENS1_16block_id_wrapperIjLb1EEEEEvT_jT0_jPNS7_10value_typeE.has_indirect_call, 0
	.section	.AMDGPU.csdata,"",@progbits
; Kernel info:
; codeLenInByte = 444
; TotalNumSgprs: 21
; NumVgprs: 10
; NumAgprs: 0
; TotalNumVgprs: 10
; ScratchSize: 0
; MemoryBound: 0
; FloatMode: 240
; IeeeMode: 1
; LDSByteSize: 0 bytes/workgroup (compile time only)
; SGPRBlocks: 2
; VGPRBlocks: 1
; NumSGPRsForWavesPerEU: 21
; NumVGPRsForWavesPerEU: 10
; AccumOffset: 12
; Occupancy: 8
; WaveLimiterHint : 0
; COMPUTE_PGM_RSRC2:SCRATCH_EN: 0
; COMPUTE_PGM_RSRC2:USER_SGPR: 2
; COMPUTE_PGM_RSRC2:TRAP_HANDLER: 0
; COMPUTE_PGM_RSRC2:TGID_X_EN: 1
; COMPUTE_PGM_RSRC2:TGID_Y_EN: 0
; COMPUTE_PGM_RSRC2:TGID_Z_EN: 0
; COMPUTE_PGM_RSRC2:TIDIG_COMP_CNT: 0
; COMPUTE_PGM_RSRC3_GFX90A:ACCUM_OFFSET: 2
; COMPUTE_PGM_RSRC3_GFX90A:TG_SPLIT: 0
	.section	.text._ZN7rocprim17ROCPRIM_400000_NS6detail17trampoline_kernelINS0_14default_configENS1_25partition_config_selectorILNS1_17partition_subalgoE5ElNS0_10empty_typeEbEEZZNS1_14partition_implILS5_5ELb0ES3_mN6hipcub16HIPCUB_304000_NS21CountingInputIteratorIllEEPS6_NSA_22TransformInputIteratorIb7NonZeroIaEPalEENS0_5tupleIJPlS6_EEENSJ_IJSD_SD_EEES6_SK_JS6_EEE10hipError_tPvRmT3_T4_T5_T6_T7_T9_mT8_P12ihipStream_tbDpT10_ENKUlT_T0_E_clISt17integral_constantIbLb0EES15_IbLb1EEEEDaS11_S12_EUlS11_E_NS1_11comp_targetILNS1_3genE0ELNS1_11target_archE4294967295ELNS1_3gpuE0ELNS1_3repE0EEENS1_30default_config_static_selectorELNS0_4arch9wavefront6targetE1EEEvT1_,"axG",@progbits,_ZN7rocprim17ROCPRIM_400000_NS6detail17trampoline_kernelINS0_14default_configENS1_25partition_config_selectorILNS1_17partition_subalgoE5ElNS0_10empty_typeEbEEZZNS1_14partition_implILS5_5ELb0ES3_mN6hipcub16HIPCUB_304000_NS21CountingInputIteratorIllEEPS6_NSA_22TransformInputIteratorIb7NonZeroIaEPalEENS0_5tupleIJPlS6_EEENSJ_IJSD_SD_EEES6_SK_JS6_EEE10hipError_tPvRmT3_T4_T5_T6_T7_T9_mT8_P12ihipStream_tbDpT10_ENKUlT_T0_E_clISt17integral_constantIbLb0EES15_IbLb1EEEEDaS11_S12_EUlS11_E_NS1_11comp_targetILNS1_3genE0ELNS1_11target_archE4294967295ELNS1_3gpuE0ELNS1_3repE0EEENS1_30default_config_static_selectorELNS0_4arch9wavefront6targetE1EEEvT1_,comdat
	.protected	_ZN7rocprim17ROCPRIM_400000_NS6detail17trampoline_kernelINS0_14default_configENS1_25partition_config_selectorILNS1_17partition_subalgoE5ElNS0_10empty_typeEbEEZZNS1_14partition_implILS5_5ELb0ES3_mN6hipcub16HIPCUB_304000_NS21CountingInputIteratorIllEEPS6_NSA_22TransformInputIteratorIb7NonZeroIaEPalEENS0_5tupleIJPlS6_EEENSJ_IJSD_SD_EEES6_SK_JS6_EEE10hipError_tPvRmT3_T4_T5_T6_T7_T9_mT8_P12ihipStream_tbDpT10_ENKUlT_T0_E_clISt17integral_constantIbLb0EES15_IbLb1EEEEDaS11_S12_EUlS11_E_NS1_11comp_targetILNS1_3genE0ELNS1_11target_archE4294967295ELNS1_3gpuE0ELNS1_3repE0EEENS1_30default_config_static_selectorELNS0_4arch9wavefront6targetE1EEEvT1_ ; -- Begin function _ZN7rocprim17ROCPRIM_400000_NS6detail17trampoline_kernelINS0_14default_configENS1_25partition_config_selectorILNS1_17partition_subalgoE5ElNS0_10empty_typeEbEEZZNS1_14partition_implILS5_5ELb0ES3_mN6hipcub16HIPCUB_304000_NS21CountingInputIteratorIllEEPS6_NSA_22TransformInputIteratorIb7NonZeroIaEPalEENS0_5tupleIJPlS6_EEENSJ_IJSD_SD_EEES6_SK_JS6_EEE10hipError_tPvRmT3_T4_T5_T6_T7_T9_mT8_P12ihipStream_tbDpT10_ENKUlT_T0_E_clISt17integral_constantIbLb0EES15_IbLb1EEEEDaS11_S12_EUlS11_E_NS1_11comp_targetILNS1_3genE0ELNS1_11target_archE4294967295ELNS1_3gpuE0ELNS1_3repE0EEENS1_30default_config_static_selectorELNS0_4arch9wavefront6targetE1EEEvT1_
	.globl	_ZN7rocprim17ROCPRIM_400000_NS6detail17trampoline_kernelINS0_14default_configENS1_25partition_config_selectorILNS1_17partition_subalgoE5ElNS0_10empty_typeEbEEZZNS1_14partition_implILS5_5ELb0ES3_mN6hipcub16HIPCUB_304000_NS21CountingInputIteratorIllEEPS6_NSA_22TransformInputIteratorIb7NonZeroIaEPalEENS0_5tupleIJPlS6_EEENSJ_IJSD_SD_EEES6_SK_JS6_EEE10hipError_tPvRmT3_T4_T5_T6_T7_T9_mT8_P12ihipStream_tbDpT10_ENKUlT_T0_E_clISt17integral_constantIbLb0EES15_IbLb1EEEEDaS11_S12_EUlS11_E_NS1_11comp_targetILNS1_3genE0ELNS1_11target_archE4294967295ELNS1_3gpuE0ELNS1_3repE0EEENS1_30default_config_static_selectorELNS0_4arch9wavefront6targetE1EEEvT1_
	.p2align	8
	.type	_ZN7rocprim17ROCPRIM_400000_NS6detail17trampoline_kernelINS0_14default_configENS1_25partition_config_selectorILNS1_17partition_subalgoE5ElNS0_10empty_typeEbEEZZNS1_14partition_implILS5_5ELb0ES3_mN6hipcub16HIPCUB_304000_NS21CountingInputIteratorIllEEPS6_NSA_22TransformInputIteratorIb7NonZeroIaEPalEENS0_5tupleIJPlS6_EEENSJ_IJSD_SD_EEES6_SK_JS6_EEE10hipError_tPvRmT3_T4_T5_T6_T7_T9_mT8_P12ihipStream_tbDpT10_ENKUlT_T0_E_clISt17integral_constantIbLb0EES15_IbLb1EEEEDaS11_S12_EUlS11_E_NS1_11comp_targetILNS1_3genE0ELNS1_11target_archE4294967295ELNS1_3gpuE0ELNS1_3repE0EEENS1_30default_config_static_selectorELNS0_4arch9wavefront6targetE1EEEvT1_,@function
_ZN7rocprim17ROCPRIM_400000_NS6detail17trampoline_kernelINS0_14default_configENS1_25partition_config_selectorILNS1_17partition_subalgoE5ElNS0_10empty_typeEbEEZZNS1_14partition_implILS5_5ELb0ES3_mN6hipcub16HIPCUB_304000_NS21CountingInputIteratorIllEEPS6_NSA_22TransformInputIteratorIb7NonZeroIaEPalEENS0_5tupleIJPlS6_EEENSJ_IJSD_SD_EEES6_SK_JS6_EEE10hipError_tPvRmT3_T4_T5_T6_T7_T9_mT8_P12ihipStream_tbDpT10_ENKUlT_T0_E_clISt17integral_constantIbLb0EES15_IbLb1EEEEDaS11_S12_EUlS11_E_NS1_11comp_targetILNS1_3genE0ELNS1_11target_archE4294967295ELNS1_3gpuE0ELNS1_3repE0EEENS1_30default_config_static_selectorELNS0_4arch9wavefront6targetE1EEEvT1_: ; @_ZN7rocprim17ROCPRIM_400000_NS6detail17trampoline_kernelINS0_14default_configENS1_25partition_config_selectorILNS1_17partition_subalgoE5ElNS0_10empty_typeEbEEZZNS1_14partition_implILS5_5ELb0ES3_mN6hipcub16HIPCUB_304000_NS21CountingInputIteratorIllEEPS6_NSA_22TransformInputIteratorIb7NonZeroIaEPalEENS0_5tupleIJPlS6_EEENSJ_IJSD_SD_EEES6_SK_JS6_EEE10hipError_tPvRmT3_T4_T5_T6_T7_T9_mT8_P12ihipStream_tbDpT10_ENKUlT_T0_E_clISt17integral_constantIbLb0EES15_IbLb1EEEEDaS11_S12_EUlS11_E_NS1_11comp_targetILNS1_3genE0ELNS1_11target_archE4294967295ELNS1_3gpuE0ELNS1_3repE0EEENS1_30default_config_static_selectorELNS0_4arch9wavefront6targetE1EEEvT1_
; %bb.0:
	s_load_dwordx2 s[2:3], s[0:1], 0x20
	s_load_dwordx4 s[12:15], s[0:1], 0x48
	s_load_dwordx2 s[8:9], s[0:1], 0x58
	s_load_dwordx2 s[20:21], s[0:1], 0x68
	v_cmp_eq_u32_e64 s[10:11], 0, v0
	s_and_saveexec_b64 s[4:5], s[10:11]
	s_cbranch_execz .LBB72_4
; %bb.1:
	s_mov_b64 s[16:17], exec
	v_mbcnt_lo_u32_b32 v1, s16, 0
	v_mbcnt_hi_u32_b32 v1, s17, v1
	v_cmp_eq_u32_e32 vcc, 0, v1
                                        ; implicit-def: $vgpr2
	s_and_saveexec_b64 s[6:7], vcc
	s_cbranch_execz .LBB72_3
; %bb.2:
	s_load_dwordx2 s[18:19], s[0:1], 0x78
	s_bcnt1_i32_b64 s16, s[16:17]
	v_mov_b32_e32 v2, 0
	v_mov_b32_e32 v3, s16
	s_waitcnt lgkmcnt(0)
	global_atomic_add v2, v2, v3, s[18:19] sc0
.LBB72_3:
	s_or_b64 exec, exec, s[6:7]
	s_waitcnt vmcnt(0)
	v_readfirstlane_b32 s6, v2
	v_mov_b32_e32 v2, 0
	s_nop 0
	v_add_u32_e32 v1, s6, v1
	ds_write_b32 v2, v1
.LBB72_4:
	s_or_b64 exec, exec, s[4:5]
	v_mov_b32_e32 v1, 0
	s_load_dwordx4 s[4:7], s[0:1], 0x8
	s_load_dwordx2 s[16:17], s[0:1], 0x30
	s_load_dword s18, s[0:1], 0x70
	s_waitcnt lgkmcnt(0)
	s_barrier
	ds_read_b32 v2, v1
	s_waitcnt lgkmcnt(0)
	s_barrier
	global_load_dwordx2 v[10:11], v1, s[14:15]
	s_add_u32 s22, s6, s4
	s_mul_i32 s0, s18, 0x380
	s_addc_u32 s23, s7, s5
	s_add_i32 s1, s0, s6
	s_add_i32 s14, s18, -1
	s_sub_i32 s4, s8, s1
	s_add_u32 s0, s6, s0
	v_readfirstlane_b32 s24, v2
	s_addc_u32 s1, s7, 0
	v_mov_b64_e32 v[2:3], s[0:1]
	s_cmp_eq_u32 s24, s14
	v_cmp_le_u64_e32 vcc, s[8:9], v[2:3]
	s_cselect_b64 s[14:15], -1, 0
	s_and_b64 s[8:9], vcc, s[14:15]
	s_xor_b64 s[18:19], s[8:9], -1
	s_mul_i32 s5, s24, 0x380
	s_mov_b64 s[0:1], -1
	s_and_b64 vcc, exec, s[18:19]
	s_cbranch_vccz .LBB72_6
; %bb.5:
	s_add_u32 s0, s5, s22
	s_addc_u32 s1, 0, s23
	v_lshl_add_u64 v[2:3], s[0:1], 0, v[0:1]
	s_mov_b64 s[0:1], 0x80
	v_lshl_add_u64 v[4:5], v[2:3], 0, s[0:1]
	s_mov_b64 s[0:1], 0x100
	;; [unrolled: 2-line block ×6, first 2 shown]
	v_lshlrev_b32_e32 v1, 3, v0
	v_lshl_add_u64 v[16:17], v[2:3], 0, s[0:1]
	ds_write2st64_b64 v1, v[2:3], v[4:5] offset1:2
	ds_write2st64_b64 v1, v[6:7], v[8:9] offset0:4 offset1:6
	ds_write2st64_b64 v1, v[12:13], v[14:15] offset0:8 offset1:10
	ds_write_b64 v1, v[16:17] offset:6144
	s_waitcnt lgkmcnt(0)
	s_barrier
	s_mov_b64 s[0:1], 0
.LBB72_6:
	s_addk_i32 s4, 0x380
	s_andn2_b64 vcc, exec, s[0:1]
	v_cmp_gt_u32_e64 s[0:1], s4, v0
	s_cbranch_vccnz .LBB72_8
; %bb.7:
	s_add_u32 s8, s22, s5
	v_mov_b32_e32 v1, 0
	s_addc_u32 s9, s23, 0
	v_or_b32_e32 v4, 0x80, v0
	v_mov_b32_e32 v5, v1
	v_lshl_add_u64 v[6:7], s[8:9], 0, v[4:5]
	v_cmp_gt_u32_e32 vcc, s4, v4
	v_lshl_add_u64 v[2:3], s[8:9], 0, v[0:1]
	v_cndmask_b32_e64 v3, 0, v3, s[0:1]
	v_cndmask_b32_e32 v5, 0, v7, vcc
	v_cndmask_b32_e32 v4, 0, v6, vcc
	v_or_b32_e32 v6, 0x100, v0
	v_mov_b32_e32 v7, v1
	v_lshl_add_u64 v[8:9], s[8:9], 0, v[6:7]
	v_cmp_gt_u32_e32 vcc, s4, v6
	v_cndmask_b32_e64 v2, 0, v2, s[0:1]
	s_nop 0
	v_cndmask_b32_e32 v7, 0, v9, vcc
	v_cndmask_b32_e32 v6, 0, v8, vcc
	v_or_b32_e32 v8, 0x180, v0
	v_mov_b32_e32 v9, v1
	v_lshl_add_u64 v[12:13], s[8:9], 0, v[8:9]
	v_cmp_gt_u32_e32 vcc, s4, v8
	s_nop 1
	v_cndmask_b32_e32 v9, 0, v13, vcc
	v_cndmask_b32_e32 v8, 0, v12, vcc
	v_or_b32_e32 v12, 0x200, v0
	v_mov_b32_e32 v13, v1
	v_lshl_add_u64 v[14:15], s[8:9], 0, v[12:13]
	v_cmp_gt_u32_e32 vcc, s4, v12
	;; [unrolled: 7-line block ×4, first 2 shown]
	v_lshlrev_b32_e32 v1, 3, v0
	s_nop 0
	v_cndmask_b32_e32 v17, 0, v19, vcc
	v_cndmask_b32_e32 v16, 0, v18, vcc
	ds_write2st64_b64 v1, v[2:3], v[4:5] offset1:2
	ds_write2st64_b64 v1, v[6:7], v[8:9] offset0:4 offset1:6
	ds_write2st64_b64 v1, v[12:13], v[14:15] offset0:8 offset1:10
	ds_write_b64 v1, v[16:17] offset:6144
	s_waitcnt lgkmcnt(0)
	s_barrier
.LBB72_8:
	v_mul_u32_u24_e32 v1, 7, v0
	v_lshlrev_b32_e32 v3, 3, v1
	ds_read2_b64 v[68:71], v3 offset1:1
	ds_read2_b64 v[64:67], v3 offset0:2 offset1:3
	ds_read2_b64 v[60:63], v3 offset0:4 offset1:5
	ds_read_b64 v[12:13], v3 offset:48
	s_add_u32 s0, s2, s6
	s_addc_u32 s1, s3, s7
	s_add_u32 s0, s0, s5
	s_addc_u32 s1, s1, 0
	s_mov_b64 s[2:3], -1
	s_and_b64 vcc, exec, s[18:19]
	s_waitcnt lgkmcnt(0)
	s_barrier
	s_cbranch_vccz .LBB72_10
; %bb.9:
	global_load_ubyte v1, v0, s[0:1]
	global_load_ubyte v2, v0, s[0:1] offset:128
	global_load_ubyte v4, v0, s[0:1] offset:256
	;; [unrolled: 1-line block ×6, first 2 shown]
	s_mov_b64 s[2:3], 0
	s_waitcnt vmcnt(6)
	v_cmp_ne_u16_e32 vcc, 0, v1
	s_nop 1
	v_cndmask_b32_e64 v1, 0, 1, vcc
	s_waitcnt vmcnt(5)
	v_cmp_ne_u16_e32 vcc, 0, v2
	s_nop 1
	v_cndmask_b32_e64 v2, 0, 1, vcc
	;; [unrolled: 4-line block ×7, first 2 shown]
	ds_write_b8 v0, v1
	ds_write_b8 v0, v2 offset:128
	ds_write_b8 v0, v4 offset:256
	;; [unrolled: 1-line block ×6, first 2 shown]
	s_waitcnt lgkmcnt(0)
	s_barrier
.LBB72_10:
	s_andn2_b64 vcc, exec, s[2:3]
	s_cbranch_vccnz .LBB72_26
; %bb.11:
	v_mov_b32_e32 v2, 0
	v_cmp_gt_u32_e32 vcc, s4, v0
	s_mov_b32 s5, 0
	v_mov_b32_e32 v1, v2
	v_mov_b32_e32 v4, v2
	s_and_saveexec_b64 s[2:3], vcc
	s_cbranch_execz .LBB72_13
; %bb.12:
	global_load_ubyte v1, v0, s[0:1]
	s_waitcnt vmcnt(0)
	v_cmp_ne_u16_e32 vcc, 0, v1
	s_nop 1
	v_cndmask_b32_e64 v2, 0, 1, vcc
	v_mov_b32_e32 v1, s5
	v_mov_b32_e32 v4, v2
.LBB72_13:
	s_or_b64 exec, exec, s[2:3]
	v_or_b32_e32 v5, 0x80, v0
	v_cmp_gt_u32_e32 vcc, s4, v5
	s_and_saveexec_b64 s[2:3], vcc
	s_cbranch_execz .LBB72_15
; %bb.14:
	global_load_ubyte v5, v0, s[0:1] offset:128
	v_lshrrev_b32_e32 v6, 24, v2
	v_mov_b32_e32 v8, 8
	v_lshrrev_b32_e32 v7, 16, v2
	s_movk_i32 s5, 0xff
	v_lshlrev_b16_e32 v6, 8, v6
	v_lshrrev_b32_sdwa v8, v8, v1 dst_sel:BYTE_1 dst_unused:UNUSED_PAD src0_sel:DWORD src1_sel:DWORD
	v_bfe_u32 v9, v1, 16, 8
	v_bitop3_b16 v6, v7, v6, s5 bitop3:0xec
	v_bitop3_b16 v1, v1, v8, s5 bitop3:0xec
	v_lshlrev_b32_e32 v6, 16, v6
	v_and_b32_e32 v1, 0xffff, v1
	v_lshl_or_b32 v1, v9, 16, v1
	s_waitcnt vmcnt(0)
	v_cmp_ne_u16_e32 vcc, 0, v5
	s_nop 1
	v_cndmask_b32_e64 v5, 0, 1, vcc
	v_lshlrev_b16_e32 v5, 8, v5
	v_bitop3_b16 v2, v2, v5, s5 bitop3:0xec
	v_or_b32_sdwa v2, v2, v6 dst_sel:DWORD dst_unused:UNUSED_PAD src0_sel:WORD_0 src1_sel:DWORD
.LBB72_15:
	s_or_b64 exec, exec, s[2:3]
	v_or_b32_e32 v5, 0x100, v0
	v_cmp_gt_u32_e32 vcc, s4, v5
	s_and_saveexec_b64 s[2:3], vcc
	s_cbranch_execz .LBB72_17
; %bb.16:
	global_load_ubyte v5, v0, s[0:1] offset:256
	v_mov_b32_e32 v7, 8
	v_lshrrev_b32_e32 v6, 24, v2
	s_movk_i32 s6, 0xff
	v_lshrrev_b32_sdwa v7, v7, v1 dst_sel:BYTE_1 dst_unused:UNUSED_PAD src0_sel:DWORD src1_sel:DWORD
	s_mov_b32 s5, 0xc0c0104
	v_bfe_u32 v8, v1, 16, 8
	v_lshlrev_b16_e32 v6, 8, v6
	v_bitop3_b16 v1, v1, v7, s6 bitop3:0xec
	v_perm_b32 v2, v2, v2, s5
	v_and_b32_e32 v1, 0xffff, v1
	v_lshl_or_b32 v1, v8, 16, v1
	s_waitcnt vmcnt(0)
	v_cmp_ne_u16_e32 vcc, 0, v5
	s_nop 1
	v_cndmask_b32_e64 v5, 0, 1, vcc
	v_or_b32_sdwa v5, v5, v6 dst_sel:WORD_1 dst_unused:UNUSED_PAD src0_sel:DWORD src1_sel:DWORD
	s_nop 0
	v_or_b32_e32 v2, v2, v5
.LBB72_17:
	s_or_b64 exec, exec, s[2:3]
	v_or_b32_e32 v5, 0x180, v0
	v_cmp_gt_u32_e32 vcc, s4, v5
	s_and_saveexec_b64 s[2:3], vcc
	s_cbranch_execz .LBB72_19
; %bb.18:
	global_load_ubyte v5, v0, s[0:1] offset:384
	v_mov_b32_e32 v7, 8
	v_lshrrev_b32_e32 v6, 16, v2
	s_movk_i32 s5, 0xff
	v_lshrrev_b32_sdwa v7, v7, v1 dst_sel:BYTE_1 dst_unused:UNUSED_PAD src0_sel:DWORD src1_sel:DWORD
	s_mov_b32 s6, 0xc0c0104
	v_bfe_u32 v8, v1, 16, 8
	v_bitop3_b16 v1, v1, v7, s5 bitop3:0xec
	v_perm_b32 v2, v2, v2, s6
	v_and_b32_e32 v1, 0xffff, v1
	v_lshl_or_b32 v1, v8, 16, v1
	s_waitcnt vmcnt(0)
	v_cmp_ne_u16_e32 vcc, 0, v5
	s_nop 1
	v_cndmask_b32_e64 v5, 0, 1, vcc
	v_lshlrev_b16_e32 v5, 8, v5
	v_bitop3_b16 v5, v6, v5, s5 bitop3:0xec
	v_lshlrev_b32_e32 v5, 16, v5
	v_or_b32_e32 v2, v2, v5
.LBB72_19:
	s_or_b64 exec, exec, s[2:3]
	v_or_b32_e32 v5, 0x200, v0
	v_cmp_gt_u32_e32 vcc, s4, v5
	s_and_saveexec_b64 s[2:3], vcc
	s_cbranch_execz .LBB72_21
; %bb.20:
	global_load_ubyte v5, v0, s[0:1] offset:512
	v_mov_b32_e32 v6, 8
	v_bfe_u32 v7, v1, 16, 8
	v_lshrrev_b32_sdwa v1, v6, v1 dst_sel:BYTE_1 dst_unused:UNUSED_PAD src0_sel:DWORD src1_sel:DWORD
	s_mov_b32 s5, 0x3020104
	v_perm_b32 v2, v2, v2, s5
	s_waitcnt vmcnt(0)
	v_cmp_ne_u16_e32 vcc, 0, v5
	s_nop 1
	v_cndmask_b32_e64 v5, 0, 1, vcc
	v_or_b32_e32 v1, v5, v1
	v_and_b32_e32 v1, 0xffff, v1
	v_lshl_or_b32 v1, v7, 16, v1
.LBB72_21:
	s_or_b64 exec, exec, s[2:3]
	v_or_b32_e32 v5, 0x280, v0
	v_cmp_gt_u32_e32 vcc, s4, v5
	s_and_saveexec_b64 s[2:3], vcc
	s_cbranch_execz .LBB72_23
; %bb.22:
	global_load_ubyte v5, v0, s[0:1] offset:640
	s_movk_i32 s5, 0xff
	v_bfe_u32 v6, v1, 16, 8
	s_mov_b32 s6, 0x3020104
	v_perm_b32 v2, v2, v2, s6
	s_waitcnt vmcnt(0)
	v_cmp_ne_u16_e32 vcc, 0, v5
	s_nop 1
	v_cndmask_b32_e64 v5, 0, 1, vcc
	v_lshlrev_b16_e32 v5, 8, v5
	v_bitop3_b16 v1, v1, v5, s5 bitop3:0xec
	v_and_b32_e32 v1, 0xffff, v1
	v_lshl_or_b32 v1, v6, 16, v1
.LBB72_23:
	s_or_b64 exec, exec, s[2:3]
	v_or_b32_e32 v5, 0x300, v0
	v_cmp_gt_u32_e32 vcc, s4, v5
	s_and_saveexec_b64 s[2:3], vcc
	s_cbranch_execz .LBB72_25
; %bb.24:
	global_load_ubyte v5, v0, s[0:1] offset:768
	v_mov_b32_e32 v6, 8
	s_movk_i32 s0, 0xff
	v_lshrrev_b32_sdwa v6, v6, v1 dst_sel:BYTE_1 dst_unused:UNUSED_PAD src0_sel:DWORD src1_sel:DWORD
	s_mov_b32 s1, 0x3020104
	v_bitop3_b16 v1, v1, v6, s0 bitop3:0xec
	v_and_b32_e32 v1, 0xffff, v1
	v_perm_b32 v2, v2, v2, s1
	s_waitcnt vmcnt(0)
	v_cmp_ne_u16_e32 vcc, 0, v5
	s_nop 1
	v_cndmask_b32_e64 v5, 0, 1, vcc
	v_lshl_or_b32 v1, v5, 16, v1
.LBB72_25:
	s_or_b64 exec, exec, s[2:3]
	ds_write_b8 v0, v4
	v_lshrrev_b32_e32 v4, 8, v2
	ds_write_b8 v0, v4 offset:128
	ds_write_b8_d16_hi v0, v2 offset:256
	v_lshrrev_b32_e32 v2, 24, v2
	ds_write_b8 v0, v2 offset:384
	ds_write_b8 v0, v1 offset:512
	v_lshrrev_b32_e32 v2, 8, v1
	ds_write_b8 v0, v2 offset:640
	ds_write_b8_d16_hi v0, v1 offset:768
	s_waitcnt lgkmcnt(0)
	s_barrier
.LBB72_26:
	s_movk_i32 s0, 0xffcf
	v_mad_i32_i24 v1, v0, s0, v3
	ds_read_u8 v2, v1
	ds_read_u8 v3, v1 offset:1
	ds_read_u8 v4, v1 offset:2
	;; [unrolled: 1-line block ×6, first 2 shown]
	s_waitcnt lgkmcnt(6)
	v_and_b32_e32 v26, 1, v2
	v_mov_b32_e32 v27, 0
	s_waitcnt lgkmcnt(5)
	v_and_b32_e32 v24, 1, v3
	s_waitcnt lgkmcnt(4)
	v_and_b32_e32 v22, 1, v4
	;; [unrolled: 2-line block ×3, first 2 shown]
	v_mov_b32_e32 v21, v27
	v_add3_u32 v2, v24, v26, v22
	v_mov_b32_e32 v3, v27
	s_waitcnt lgkmcnt(2)
	v_and_b32_e32 v18, 1, v6
	v_mov_b32_e32 v19, v27
	v_lshl_add_u64 v[2:3], v[2:3], 0, v[20:21]
	s_waitcnt lgkmcnt(1)
	v_and_b32_e32 v16, 1, v7
	v_mov_b32_e32 v17, v27
	v_lshl_add_u64 v[2:3], v[2:3], 0, v[18:19]
	s_waitcnt lgkmcnt(0)
	v_and_b32_e32 v14, 1, v8
	v_mov_b32_e32 v15, v27
	v_lshl_add_u64 v[2:3], v[2:3], 0, v[16:17]
	v_lshl_add_u64 v[28:29], v[2:3], 0, v[14:15]
	v_mbcnt_lo_u32_b32 v2, -1, 0
	v_mbcnt_hi_u32_b32 v15, -1, v2
	v_and_b32_e32 v41, 15, v15
	s_cmp_lg_u32 s24, 0
	v_mov_b32_e32 v25, v27
	v_mov_b32_e32 v23, v27
	v_cmp_eq_u32_e64 s[4:5], 0, v41
	v_cmp_lt_u32_e64 s[2:3], 1, v41
	v_cmp_lt_u32_e64 s[0:1], 3, v41
	v_cmp_lt_u32_e64 s[8:9], 7, v41
	v_and_b32_e32 v40, 16, v15
	v_cmp_eq_u32_e64 s[6:7], 0, v15
	v_cmp_ne_u32_e32 vcc, 0, v15
	s_barrier
	s_cbranch_scc0 .LBB72_54
; %bb.27:
	v_mov_b32_dpp v2, v28 row_shr:1 row_mask:0xf bank_mask:0xf
	v_mov_b32_e32 v3, v27
	v_mov_b32_dpp v5, v27 row_shr:1 row_mask:0xf bank_mask:0xf
	v_mov_b32_e32 v4, v27
	v_lshl_add_u64 v[2:3], v[28:29], 0, v[2:3]
	v_lshl_add_u64 v[4:5], v[4:5], 0, v[2:3]
	v_cndmask_b32_e64 v6, v5, 0, s[4:5]
	v_cndmask_b32_e64 v7, v2, v28, s[4:5]
	v_cndmask_b32_e64 v3, v5, v29, s[4:5]
	v_cndmask_b32_e64 v2, v4, v28, s[4:5]
	v_mov_b32_dpp v4, v7 row_shr:2 row_mask:0xf bank_mask:0xf
	v_mov_b32_dpp v5, v6 row_shr:2 row_mask:0xf bank_mask:0xf
	v_lshl_add_u64 v[4:5], v[4:5], 0, v[2:3]
	v_cndmask_b32_e64 v6, v6, v5, s[2:3]
	v_cndmask_b32_e64 v7, v7, v4, s[2:3]
	v_cndmask_b32_e64 v3, v3, v5, s[2:3]
	v_cndmask_b32_e64 v2, v2, v4, s[2:3]
	v_mov_b32_dpp v4, v7 row_shr:4 row_mask:0xf bank_mask:0xf
	v_mov_b32_dpp v5, v6 row_shr:4 row_mask:0xf bank_mask:0xf
	;; [unrolled: 7-line block ×3, first 2 shown]
	v_lshl_add_u64 v[4:5], v[4:5], 0, v[2:3]
	v_cndmask_b32_e64 v8, v6, v5, s[8:9]
	v_cndmask_b32_e64 v9, v7, v4, s[8:9]
	;; [unrolled: 1-line block ×4, first 2 shown]
	v_mov_b32_dpp v2, v9 row_bcast:15 row_mask:0xf bank_mask:0xf
	v_mov_b32_dpp v3, v8 row_bcast:15 row_mask:0xf bank_mask:0xf
	v_lshl_add_u64 v[6:7], v[2:3], 0, v[4:5]
	v_cmp_eq_u32_e64 s[0:1], 0, v40
	s_nop 1
	v_cndmask_b32_e64 v2, v7, v8, s[0:1]
	v_cndmask_b32_e64 v3, v6, v9, s[0:1]
	s_nop 0
	v_mov_b32_dpp v9, v2 row_bcast:31 row_mask:0xf bank_mask:0xf
	v_mov_b32_dpp v8, v3 row_bcast:31 row_mask:0xf bank_mask:0xf
	v_mov_b64_e32 v[2:3], v[28:29]
	s_and_saveexec_b64 s[8:9], vcc
; %bb.28:
	v_cmp_lt_u32_e32 vcc, 31, v15
	v_cndmask_b32_e64 v3, v7, v5, s[0:1]
	v_cndmask_b32_e64 v2, v6, v4, s[0:1]
	v_cndmask_b32_e32 v5, 0, v9, vcc
	v_cndmask_b32_e32 v4, 0, v8, vcc
	v_lshl_add_u64 v[2:3], v[4:5], 0, v[2:3]
; %bb.29:
	s_or_b64 exec, exec, s[8:9]
	v_or_b32_e32 v5, 63, v0
	v_lshrrev_b32_e32 v4, 6, v0
	v_cmp_eq_u32_e32 vcc, v0, v5
	s_and_saveexec_b64 s[0:1], vcc
; %bb.30:
	v_lshlrev_b32_e32 v5, 3, v4
	ds_write_b64 v5, v[2:3]
; %bb.31:
	s_or_b64 exec, exec, s[0:1]
	v_cmp_gt_u32_e32 vcc, 2, v0
	s_waitcnt lgkmcnt(0)
	s_barrier
	s_and_saveexec_b64 s[0:1], vcc
	s_cbranch_execz .LBB72_33
; %bb.32:
	v_lshlrev_b32_e32 v5, 3, v0
	ds_read_b64 v[6:7], v5
	v_and_b32_e32 v8, 1, v15
	v_cmp_eq_u32_e32 vcc, 1, v8
	s_waitcnt lgkmcnt(0)
	v_mov_b32_dpp v30, v6 row_shr:1 row_mask:0xf bank_mask:0xf
	v_mov_b32_dpp v9, v7 row_shr:1 row_mask:0xf bank_mask:0xf
	v_cndmask_b32_e32 v9, 0, v9, vcc
	v_cndmask_b32_e32 v8, 0, v30, vcc
	v_lshl_add_u64 v[6:7], v[8:9], 0, v[6:7]
	ds_write_b64 v5, v[6:7]
.LBB72_33:
	s_or_b64 exec, exec, s[0:1]
	v_cmp_gt_u32_e32 vcc, 64, v0
	v_cmp_lt_u32_e64 s[0:1], 63, v0
	s_waitcnt lgkmcnt(0)
	s_barrier
                                        ; implicit-def: $vgpr30_vgpr31
	s_and_saveexec_b64 s[8:9], s[0:1]
	s_cbranch_execz .LBB72_35
; %bb.34:
	v_lshl_add_u32 v4, v4, 3, -8
	ds_read_b64 v[30:31], v4
	s_waitcnt lgkmcnt(0)
	v_lshl_add_u64 v[2:3], v[30:31], 0, v[2:3]
.LBB72_35:
	s_or_b64 exec, exec, s[8:9]
	v_add_u32_e32 v4, -1, v15
	v_and_b32_e32 v5, 64, v15
	v_cmp_lt_i32_e64 s[0:1], v4, v5
	s_nop 1
	v_cndmask_b32_e64 v4, v4, v15, s[0:1]
	v_lshlrev_b32_e32 v4, 2, v4
	ds_bpermute_b32 v42, v4, v2
	ds_bpermute_b32 v43, v4, v3
	s_and_saveexec_b64 s[22:23], vcc
	s_cbranch_execz .LBB72_59
; %bb.36:
	v_mov_b32_e32 v5, 0
	ds_read_b64 v[2:3], v5 offset:8
	s_and_saveexec_b64 s[0:1], s[6:7]
	s_cbranch_execz .LBB72_38
; %bb.37:
	s_add_i32 s8, s24, 64
	s_mov_b32 s9, 0
	s_lshl_b64 s[8:9], s[8:9], 4
	s_add_u32 s8, s20, s8
	s_addc_u32 s9, s21, s9
	v_mov_b32_e32 v4, 1
	v_mov_b64_e32 v[6:7], s[8:9]
	s_waitcnt lgkmcnt(0)
	;;#ASMSTART
	global_store_dwordx4 v[6:7], v[2:5] off sc1	
s_waitcnt vmcnt(0)
	;;#ASMEND
.LBB72_38:
	s_or_b64 exec, exec, s[0:1]
	v_xad_u32 v32, v15, -1, s24
	v_add_u32_e32 v4, 64, v32
	v_lshl_add_u64 v[34:35], v[4:5], 4, s[20:21]
	;;#ASMSTART
	global_load_dwordx4 v[6:9], v[34:35] off sc1	
s_waitcnt vmcnt(0)
	;;#ASMEND
	s_nop 0
	v_cmp_eq_u16_sdwa s[8:9], v8, v5 src0_sel:BYTE_0 src1_sel:DWORD
	s_and_saveexec_b64 s[0:1], s[8:9]
	s_cbranch_execz .LBB72_42
; %bb.39:
	s_mov_b64 s[8:9], 0
	v_mov_b32_e32 v4, 0
.LBB72_40:                              ; =>This Inner Loop Header: Depth=1
	;;#ASMSTART
	global_load_dwordx4 v[6:9], v[34:35] off sc1	
s_waitcnt vmcnt(0)
	;;#ASMEND
	s_nop 0
	v_cmp_ne_u16_sdwa s[26:27], v8, v4 src0_sel:BYTE_0 src1_sel:DWORD
	s_or_b64 s[8:9], s[26:27], s[8:9]
	s_andn2_b64 exec, exec, s[8:9]
	s_cbranch_execnz .LBB72_40
; %bb.41:
	s_or_b64 exec, exec, s[8:9]
.LBB72_42:
	s_or_b64 exec, exec, s[0:1]
	v_mov_b32_e32 v44, 2
	v_cmp_eq_u16_sdwa s[0:1], v8, v44 src0_sel:BYTE_0 src1_sel:DWORD
	v_lshlrev_b64 v[34:35], v15, -1
	v_and_b32_e32 v45, 63, v15
	v_and_b32_e32 v4, s1, v35
	v_or_b32_e32 v4, 0x80000000, v4
	v_and_b32_e32 v5, s0, v34
	v_ffbl_b32_e32 v4, v4
	v_add_u32_e32 v4, 32, v4
	v_ffbl_b32_e32 v5, v5
	v_cmp_ne_u32_e32 vcc, 63, v45
	v_min_u32_e32 v9, v5, v4
	v_mov_b32_e32 v33, 0
	v_addc_co_u32_e32 v4, vcc, 0, v15, vcc
	v_lshlrev_b32_e32 v46, 2, v4
	ds_bpermute_b32 v4, v46, v6
	ds_bpermute_b32 v37, v46, v7
	v_mov_b32_e32 v5, v33
	v_mov_b32_e32 v36, v33
	v_cmp_lt_u32_e64 s[0:1], v45, v9
	s_waitcnt lgkmcnt(1)
	v_lshl_add_u64 v[4:5], v[6:7], 0, v[4:5]
	v_cmp_gt_u32_e32 vcc, 62, v45
	s_waitcnt lgkmcnt(0)
	v_lshl_add_u64 v[36:37], v[36:37], 0, v[4:5]
	v_cndmask_b32_e64 v49, v6, v4, s[0:1]
	v_cndmask_b32_e64 v4, 0, 2, vcc
	v_cndmask_b32_e64 v5, v7, v37, s[0:1]
	v_add_lshl_u32 v47, v4, v15, 2
	ds_bpermute_b32 v38, v47, v49
	ds_bpermute_b32 v39, v47, v5
	v_cndmask_b32_e64 v4, v6, v36, s[0:1]
	v_add_u32_e32 v48, 2, v45
	v_cmp_gt_u32_e32 vcc, v48, v9
	v_cmp_gt_u32_e64 s[8:9], 60, v45
	s_waitcnt lgkmcnt(0)
	v_lshl_add_u64 v[36:37], v[38:39], 0, v[4:5]
	v_cndmask_b32_e32 v5, v37, v5, vcc
	v_cndmask_b32_e64 v37, 0, 4, s[8:9]
	v_cndmask_b32_e32 v51, v36, v49, vcc
	v_add_lshl_u32 v49, v37, v15, 2
	ds_bpermute_b32 v38, v49, v51
	ds_bpermute_b32 v39, v49, v5
	v_cndmask_b32_e32 v4, v36, v4, vcc
	v_add_u32_e32 v50, 4, v45
	v_cmp_gt_u32_e32 vcc, v50, v9
	v_cmp_gt_u32_e64 s[8:9], 56, v45
	s_waitcnt lgkmcnt(0)
	v_lshl_add_u64 v[36:37], v[38:39], 0, v[4:5]
	v_cndmask_b32_e32 v5, v37, v5, vcc
	v_cndmask_b32_e64 v37, 0, 8, s[8:9]
	v_cndmask_b32_e32 v53, v36, v51, vcc
	v_add_lshl_u32 v51, v37, v15, 2
	ds_bpermute_b32 v38, v51, v53
	ds_bpermute_b32 v39, v51, v5
	v_cndmask_b32_e32 v4, v36, v4, vcc
	v_add_u32_e32 v52, 8, v45
	v_cmp_gt_u32_e32 vcc, v52, v9
	v_cmp_gt_u32_e64 s[8:9], 48, v45
	s_waitcnt lgkmcnt(0)
	v_lshl_add_u64 v[36:37], v[38:39], 0, v[4:5]
	v_cndmask_b32_e32 v5, v37, v5, vcc
	v_cndmask_b32_e64 v37, 0, 16, s[8:9]
	v_cndmask_b32_e32 v55, v36, v53, vcc
	v_add_lshl_u32 v53, v37, v15, 2
	ds_bpermute_b32 v38, v53, v55
	ds_bpermute_b32 v39, v53, v5
	v_cndmask_b32_e32 v4, v36, v4, vcc
	v_add_u32_e32 v54, 16, v45
	v_cmp_gt_u32_e32 vcc, v54, v9
	v_add_u32_e32 v56, 32, v45
	s_waitcnt lgkmcnt(0)
	v_lshl_add_u64 v[36:37], v[38:39], 0, v[4:5]
	v_cndmask_b32_e32 v38, v36, v55, vcc
	v_mov_b32_e32 v55, 0x80
	v_cndmask_b32_e32 v39, v37, v5, vcc
	v_lshl_or_b32 v55, v15, 2, v55
	ds_bpermute_b32 v38, v55, v38
	ds_bpermute_b32 v39, v55, v39
	s_and_saveexec_b64 s[8:9], s[0:1]
	s_cbranch_execz .LBB72_44
; %bb.43:
	v_cndmask_b32_e32 v5, v37, v5, vcc
	v_cndmask_b32_e32 v4, v36, v4, vcc
	v_cmp_le_u32_e32 vcc, v56, v9
	s_waitcnt lgkmcnt(0)
	s_nop 0
	v_cndmask_b32_e32 v7, 0, v39, vcc
	v_cndmask_b32_e32 v6, 0, v38, vcc
	v_lshl_add_u64 v[6:7], v[6:7], 0, v[4:5]
.LBB72_44:
	s_or_b64 exec, exec, s[8:9]
	s_branch .LBB72_47
.LBB72_45:                              ;   in Loop: Header=BB72_47 Depth=1
	s_or_b64 exec, exec, s[8:9]
	v_subrev_u32_e32 v32, 64, v32
	v_lshl_add_u64 v[6:7], v[6:7], 0, v[4:5]
	s_mov_b64 s[0:1], 0
.LBB72_46:                              ;   in Loop: Header=BB72_47 Depth=1
	s_and_b64 vcc, exec, s[0:1]
	s_cbranch_vccnz .LBB72_55
.LBB72_47:                              ; =>This Loop Header: Depth=1
                                        ;     Child Loop BB72_50 Depth 2
	v_cmp_ne_u16_sdwa s[0:1], v8, v44 src0_sel:BYTE_0 src1_sel:DWORD
	v_mov_b64_e32 v[4:5], v[6:7]
	s_cmp_lg_u64 s[0:1], exec
	s_mov_b64 s[0:1], -1
                                        ; implicit-def: $vgpr6_vgpr7
	s_cbranch_scc1 .LBB72_46
; %bb.48:                               ;   in Loop: Header=BB72_47 Depth=1
	v_lshl_add_u64 v[36:37], v[32:33], 4, s[20:21]
	;;#ASMSTART
	global_load_dwordx4 v[6:9], v[36:37] off sc1	
s_waitcnt vmcnt(0)
	;;#ASMEND
	s_nop 0
	v_cmp_eq_u16_sdwa s[8:9], v8, v33 src0_sel:BYTE_0 src1_sel:DWORD
	s_and_saveexec_b64 s[0:1], s[8:9]
	s_cbranch_execz .LBB72_52
; %bb.49:                               ;   in Loop: Header=BB72_47 Depth=1
	s_mov_b64 s[8:9], 0
.LBB72_50:                              ;   Parent Loop BB72_47 Depth=1
                                        ; =>  This Inner Loop Header: Depth=2
	;;#ASMSTART
	global_load_dwordx4 v[6:9], v[36:37] off sc1	
s_waitcnt vmcnt(0)
	;;#ASMEND
	s_nop 0
	v_cmp_ne_u16_sdwa s[26:27], v8, v33 src0_sel:BYTE_0 src1_sel:DWORD
	s_or_b64 s[8:9], s[26:27], s[8:9]
	s_andn2_b64 exec, exec, s[8:9]
	s_cbranch_execnz .LBB72_50
; %bb.51:                               ;   in Loop: Header=BB72_47 Depth=1
	s_or_b64 exec, exec, s[8:9]
.LBB72_52:                              ;   in Loop: Header=BB72_47 Depth=1
	s_or_b64 exec, exec, s[0:1]
	v_cmp_eq_u16_sdwa s[0:1], v8, v44 src0_sel:BYTE_0 src1_sel:DWORD
	s_waitcnt lgkmcnt(0)
	ds_bpermute_b32 v39, v46, v7
	v_mov_b32_e32 v38, v33
	v_and_b32_e32 v36, s0, v34
	v_and_b32_e32 v9, s1, v35
	v_ffbl_b32_e32 v37, v36
	ds_bpermute_b32 v36, v46, v6
	v_or_b32_e32 v9, 0x80000000, v9
	v_ffbl_b32_e32 v9, v9
	v_add_u32_e32 v9, 32, v9
	v_min_u32_e32 v9, v37, v9
	v_mov_b32_e32 v37, v33
	s_waitcnt lgkmcnt(0)
	v_lshl_add_u64 v[36:37], v[6:7], 0, v[36:37]
	v_lshl_add_u64 v[38:39], v[38:39], 0, v[36:37]
	v_cmp_lt_u32_e64 s[0:1], v45, v9
	v_cmp_gt_u32_e32 vcc, v48, v9
	s_nop 0
	v_cndmask_b32_e64 v57, v6, v36, s[0:1]
	v_cndmask_b32_e64 v37, v7, v39, s[0:1]
	ds_bpermute_b32 v58, v47, v57
	ds_bpermute_b32 v59, v47, v37
	v_cndmask_b32_e64 v36, v6, v38, s[0:1]
	s_waitcnt lgkmcnt(0)
	v_lshl_add_u64 v[38:39], v[58:59], 0, v[36:37]
	v_cndmask_b32_e32 v57, v38, v57, vcc
	v_cndmask_b32_e32 v37, v39, v37, vcc
	ds_bpermute_b32 v58, v49, v57
	ds_bpermute_b32 v59, v49, v37
	v_cndmask_b32_e32 v36, v38, v36, vcc
	v_cmp_gt_u32_e32 vcc, v50, v9
	s_waitcnt lgkmcnt(0)
	v_lshl_add_u64 v[38:39], v[58:59], 0, v[36:37]
	v_cndmask_b32_e32 v57, v38, v57, vcc
	v_cndmask_b32_e32 v37, v39, v37, vcc
	ds_bpermute_b32 v58, v51, v57
	ds_bpermute_b32 v59, v51, v37
	v_cndmask_b32_e32 v36, v38, v36, vcc
	v_cmp_gt_u32_e32 vcc, v52, v9
	;; [unrolled: 8-line block ×3, first 2 shown]
	s_waitcnt lgkmcnt(0)
	v_lshl_add_u64 v[38:39], v[58:59], 0, v[36:37]
	v_cndmask_b32_e32 v58, v39, v37, vcc
	v_cndmask_b32_e32 v57, v38, v57, vcc
	ds_bpermute_b32 v57, v55, v57
	ds_bpermute_b32 v58, v55, v58
	s_and_saveexec_b64 s[8:9], s[0:1]
	s_cbranch_execz .LBB72_45
; %bb.53:                               ;   in Loop: Header=BB72_47 Depth=1
	v_cndmask_b32_e32 v7, v39, v37, vcc
	v_cndmask_b32_e32 v6, v38, v36, vcc
	v_cmp_le_u32_e32 vcc, v56, v9
	s_waitcnt lgkmcnt(0)
	s_nop 0
	v_cndmask_b32_e32 v37, 0, v58, vcc
	v_cndmask_b32_e32 v36, 0, v57, vcc
	v_lshl_add_u64 v[6:7], v[36:37], 0, v[6:7]
	s_branch .LBB72_45
.LBB72_54:
                                        ; implicit-def: $vgpr6_vgpr7
                                        ; implicit-def: $vgpr8_vgpr9
                                        ; implicit-def: $vgpr30_vgpr31
                                        ; implicit-def: $vgpr32_vgpr33
                                        ; implicit-def: $vgpr34_vgpr35
                                        ; implicit-def: $vgpr36_vgpr37
                                        ; implicit-def: $vgpr38_vgpr39
                                        ; implicit-def: $vgpr4_vgpr5
	s_cbranch_execnz .LBB72_60
	s_branch .LBB72_71
.LBB72_55:
	s_and_saveexec_b64 s[0:1], s[6:7]
	s_cbranch_execz .LBB72_57
; %bb.56:
	s_add_i32 s8, s24, 64
	s_mov_b32 s9, 0
	s_lshl_b64 s[8:9], s[8:9], 4
	s_add_u32 s8, s20, s8
	s_addc_u32 s9, s21, s9
	v_lshl_add_u64 v[6:7], v[4:5], 0, v[2:3]
	v_mov_b32_e32 v8, 2
	v_mov_b32_e32 v9, 0
	v_mov_b64_e32 v[32:33], s[8:9]
	;;#ASMSTART
	global_store_dwordx4 v[32:33], v[6:9] off sc1	
s_waitcnt vmcnt(0)
	;;#ASMEND
	ds_write_b128 v9, v[2:5] offset:7168
.LBB72_57:
	s_or_b64 exec, exec, s[0:1]
	s_and_b64 exec, exec, s[10:11]
; %bb.58:
	v_mov_b32_e32 v2, 0
	ds_write_b64 v2, v[4:5] offset:8
.LBB72_59:
	s_or_b64 exec, exec, s[22:23]
	v_mov_b32_e32 v6, 0
	s_waitcnt lgkmcnt(0)
	s_barrier
	ds_read_b64 v[2:3], v6 offset:8
	v_cndmask_b32_e64 v4, v42, v30, s[6:7]
	v_cndmask_b32_e64 v5, v43, v31, s[6:7]
	;; [unrolled: 1-line block ×4, first 2 shown]
	s_waitcnt lgkmcnt(0)
	v_lshl_add_u64 v[38:39], v[2:3], 0, v[4:5]
	v_lshl_add_u64 v[36:37], v[38:39], 0, v[26:27]
	;; [unrolled: 1-line block ×3, first 2 shown]
	s_barrier
	ds_read_b128 v[2:5], v6 offset:7168
	v_lshl_add_u64 v[32:33], v[34:35], 0, v[22:23]
	v_lshl_add_u64 v[30:31], v[32:33], 0, v[20:21]
	;; [unrolled: 1-line block ×4, first 2 shown]
	s_branch .LBB72_71
.LBB72_60:
	s_waitcnt lgkmcnt(0)
	v_mov_b32_e32 v4, 0
	v_mov_b32_dpp v2, v28 row_shr:1 row_mask:0xf bank_mask:0xf
	v_mov_b32_e32 v3, v4
	v_mov_b32_dpp v5, v4 row_shr:1 row_mask:0xf bank_mask:0xf
	v_lshl_add_u64 v[2:3], v[28:29], 0, v[2:3]
	v_lshl_add_u64 v[4:5], v[4:5], 0, v[2:3]
	v_cndmask_b32_e64 v6, v5, 0, s[4:5]
	v_cndmask_b32_e64 v7, v2, v28, s[4:5]
	;; [unrolled: 1-line block ×4, first 2 shown]
	v_mov_b32_dpp v4, v7 row_shr:2 row_mask:0xf bank_mask:0xf
	v_mov_b32_dpp v5, v6 row_shr:2 row_mask:0xf bank_mask:0xf
	v_lshl_add_u64 v[4:5], v[4:5], 0, v[2:3]
	v_cndmask_b32_e64 v6, v6, v5, s[2:3]
	v_cndmask_b32_e64 v7, v7, v4, s[2:3]
	;; [unrolled: 1-line block ×4, first 2 shown]
	v_mov_b32_dpp v4, v7 row_shr:4 row_mask:0xf bank_mask:0xf
	v_mov_b32_dpp v5, v6 row_shr:4 row_mask:0xf bank_mask:0xf
	v_lshl_add_u64 v[4:5], v[4:5], 0, v[2:3]
	v_cmp_lt_u32_e32 vcc, 3, v41
	v_cmp_eq_u32_e64 s[0:1], 0, v40
	v_cmp_ne_u32_e64 s[2:3], 0, v15
	v_cndmask_b32_e32 v6, v6, v5, vcc
	v_cndmask_b32_e32 v7, v7, v4, vcc
	;; [unrolled: 1-line block ×4, first 2 shown]
	v_mov_b32_dpp v4, v7 row_shr:8 row_mask:0xf bank_mask:0xf
	v_mov_b32_dpp v5, v6 row_shr:8 row_mask:0xf bank_mask:0xf
	v_lshl_add_u64 v[4:5], v[4:5], 0, v[2:3]
	v_cmp_lt_u32_e32 vcc, 7, v41
	s_nop 1
	v_cndmask_b32_e32 v6, v6, v5, vcc
	v_cndmask_b32_e32 v7, v7, v4, vcc
	v_cndmask_b32_e32 v3, v3, v5, vcc
	v_cndmask_b32_e32 v2, v2, v4, vcc
	v_mov_b32_dpp v4, v7 row_bcast:15 row_mask:0xf bank_mask:0xf
	v_mov_b32_dpp v5, v6 row_bcast:15 row_mask:0xf bank_mask:0xf
	v_lshl_add_u64 v[4:5], v[4:5], 0, v[2:3]
	v_cndmask_b32_e64 v8, v5, v6, s[0:1]
	v_cndmask_b32_e64 v6, v4, v7, s[0:1]
	v_cmp_eq_u32_e32 vcc, 0, v15
	v_mov_b32_dpp v7, v8 row_bcast:31 row_mask:0xf bank_mask:0xf
	v_mov_b32_dpp v6, v6 row_bcast:31 row_mask:0xf bank_mask:0xf
	s_and_saveexec_b64 s[4:5], s[2:3]
; %bb.61:
	v_cndmask_b32_e64 v3, v5, v3, s[0:1]
	v_cndmask_b32_e64 v2, v4, v2, s[0:1]
	v_cmp_lt_u32_e64 s[0:1], 31, v15
	s_nop 1
	v_cndmask_b32_e64 v5, 0, v7, s[0:1]
	v_cndmask_b32_e64 v4, 0, v6, s[0:1]
	v_lshl_add_u64 v[28:29], v[4:5], 0, v[2:3]
; %bb.62:
	s_or_b64 exec, exec, s[4:5]
	v_or_b32_e32 v3, 63, v0
	v_lshrrev_b32_e32 v2, 6, v0
	v_cmp_eq_u32_e64 s[0:1], v0, v3
	s_and_saveexec_b64 s[2:3], s[0:1]
; %bb.63:
	v_lshlrev_b32_e32 v3, 3, v2
	ds_write_b64 v3, v[28:29]
; %bb.64:
	s_or_b64 exec, exec, s[2:3]
	v_cmp_gt_u32_e64 s[0:1], 2, v0
	s_waitcnt lgkmcnt(0)
	s_barrier
	s_and_saveexec_b64 s[2:3], s[0:1]
	s_cbranch_execz .LBB72_66
; %bb.65:
	v_add_u32_e32 v1, v1, v0
	ds_read_b64 v[4:5], v1
	v_and_b32_e32 v3, 1, v15
	v_cmp_eq_u32_e64 s[0:1], 1, v3
	s_waitcnt lgkmcnt(0)
	v_mov_b32_dpp v6, v4 row_shr:1 row_mask:0xf bank_mask:0xf
	v_mov_b32_dpp v7, v5 row_shr:1 row_mask:0xf bank_mask:0xf
	v_cndmask_b32_e64 v7, 0, v7, s[0:1]
	v_cndmask_b32_e64 v6, 0, v6, s[0:1]
	v_lshl_add_u64 v[4:5], v[6:7], 0, v[4:5]
	ds_write_b64 v1, v[4:5]
.LBB72_66:
	s_or_b64 exec, exec, s[2:3]
	v_cmp_lt_u32_e64 s[0:1], 63, v0
	v_mov_b64_e32 v[6:7], 0
	s_waitcnt lgkmcnt(0)
	s_barrier
	s_and_saveexec_b64 s[2:3], s[0:1]
; %bb.67:
	v_lshl_add_u32 v1, v2, 3, -8
	ds_read_b64 v[6:7], v1
; %bb.68:
	s_or_b64 exec, exec, s[2:3]
	v_add_u32_e32 v1, -1, v15
	v_and_b32_e32 v4, 64, v15
	v_cmp_lt_i32_e64 s[0:1], v1, v4
	s_waitcnt lgkmcnt(0)
	v_lshl_add_u64 v[2:3], v[6:7], 0, v[28:29]
	v_mov_b32_e32 v5, 0
	v_cndmask_b32_e64 v1, v1, v15, s[0:1]
	v_lshlrev_b32_e32 v4, 2, v1
	ds_bpermute_b32 v1, v4, v2
	ds_bpermute_b32 v8, v4, v3
	ds_read_b64 v[2:3], v5 offset:8
	s_and_saveexec_b64 s[0:1], s[10:11]
	s_cbranch_execz .LBB72_70
; %bb.69:
	s_add_u32 s2, s20, 0x400
	s_addc_u32 s3, s21, 0
	v_mov_b32_e32 v4, 2
	v_mov_b64_e32 v[28:29], s[2:3]
	s_waitcnt lgkmcnt(0)
	;;#ASMSTART
	global_store_dwordx4 v[28:29], v[2:5] off sc1	
s_waitcnt vmcnt(0)
	;;#ASMEND
.LBB72_70:
	s_or_b64 exec, exec, s[0:1]
	s_waitcnt lgkmcnt(2)
	v_cndmask_b32_e32 v1, v1, v6, vcc
	s_waitcnt lgkmcnt(1)
	v_cndmask_b32_e32 v4, v8, v7, vcc
	v_cndmask_b32_e64 v39, v4, 0, s[10:11]
	v_cndmask_b32_e64 v38, v1, 0, s[10:11]
	v_lshl_add_u64 v[36:37], v[38:39], 0, v[26:27]
	v_lshl_add_u64 v[34:35], v[36:37], 0, v[24:25]
	;; [unrolled: 1-line block ×6, first 2 shown]
	s_waitcnt lgkmcnt(0)
	s_barrier
	v_mov_b64_e32 v[4:5], 0
.LBB72_71:
	s_mov_b64 s[0:1], 0x81
	s_waitcnt lgkmcnt(0)
	v_cmp_gt_u64_e32 vcc, s[0:1], v[2:3]
	s_mov_b64 s[2:3], -1
	v_lshl_add_u64 v[28:29], v[4:5], 0, v[2:3]
	v_cmp_eq_u32_e64 s[0:1], 1, v26
	s_cbranch_vccnz .LBB72_75
; %bb.72:
	s_and_b64 vcc, exec, s[2:3]
	s_cbranch_vccnz .LBB72_90
.LBB72_73:
	s_and_b64 s[0:1], s[10:11], s[14:15]
	s_and_saveexec_b64 s[2:3], s[0:1]
	s_cbranch_execnz .LBB72_101
.LBB72_74:
	s_endpgm
.LBB72_75:
	v_cmp_lt_u64_e32 vcc, v[38:39], v[28:29]
	s_or_b64 s[2:3], s[18:19], vcc
	s_and_b64 s[2:3], s[2:3], s[0:1]
	s_and_saveexec_b64 s[0:1], s[2:3]
	s_cbranch_execz .LBB72_77
; %bb.76:
	s_waitcnt vmcnt(0)
	v_lshlrev_b64 v[40:41], 3, v[10:11]
	v_lshl_add_u64 v[40:41], s[16:17], 0, v[40:41]
	v_lshl_add_u64 v[40:41], v[38:39], 3, v[40:41]
	global_store_dwordx2 v[40:41], v[68:69], off
.LBB72_77:
	s_or_b64 exec, exec, s[0:1]
	v_cmp_lt_u64_e32 vcc, v[36:37], v[28:29]
	s_or_b64 s[0:1], s[18:19], vcc
	v_cmp_eq_u32_e32 vcc, 1, v24
	s_and_b64 s[2:3], s[0:1], vcc
	s_and_saveexec_b64 s[0:1], s[2:3]
	s_cbranch_execz .LBB72_79
; %bb.78:
	s_waitcnt vmcnt(0)
	v_lshlrev_b64 v[40:41], 3, v[10:11]
	v_lshl_add_u64 v[40:41], s[16:17], 0, v[40:41]
	v_lshl_add_u64 v[40:41], v[36:37], 3, v[40:41]
	global_store_dwordx2 v[40:41], v[70:71], off
.LBB72_79:
	s_or_b64 exec, exec, s[0:1]
	v_cmp_lt_u64_e32 vcc, v[34:35], v[28:29]
	s_or_b64 s[0:1], s[18:19], vcc
	v_cmp_eq_u32_e32 vcc, 1, v22
	s_and_b64 s[2:3], s[0:1], vcc
	;; [unrolled: 14-line block ×6, first 2 shown]
	s_and_saveexec_b64 s[0:1], s[2:3]
	s_cbranch_execz .LBB72_89
; %bb.88:
	s_waitcnt vmcnt(0)
	v_lshlrev_b64 v[40:41], 3, v[10:11]
	v_lshl_add_u64 v[40:41], s[16:17], 0, v[40:41]
	v_lshl_add_u64 v[40:41], v[6:7], 3, v[40:41]
	global_store_dwordx2 v[40:41], v[12:13], off
.LBB72_89:
	s_or_b64 exec, exec, s[0:1]
	s_branch .LBB72_73
.LBB72_90:
	v_cmp_eq_u32_e32 vcc, 1, v26
	s_and_saveexec_b64 s[0:1], vcc
	s_cbranch_execnz .LBB72_102
; %bb.91:
	s_or_b64 exec, exec, s[0:1]
	v_cmp_eq_u32_e32 vcc, 1, v24
	s_and_saveexec_b64 s[0:1], vcc
	s_cbranch_execnz .LBB72_103
.LBB72_92:
	s_or_b64 exec, exec, s[0:1]
	v_cmp_eq_u32_e32 vcc, 1, v22
	s_and_saveexec_b64 s[0:1], vcc
	s_cbranch_execnz .LBB72_104
.LBB72_93:
	s_or_b64 exec, exec, s[0:1]
	v_cmp_eq_u32_e32 vcc, 1, v20
	s_and_saveexec_b64 s[0:1], vcc
	s_cbranch_execnz .LBB72_105
.LBB72_94:
	s_or_b64 exec, exec, s[0:1]
	v_cmp_eq_u32_e32 vcc, 1, v18
	s_and_saveexec_b64 s[0:1], vcc
	s_cbranch_execnz .LBB72_106
.LBB72_95:
	s_or_b64 exec, exec, s[0:1]
	v_cmp_eq_u32_e32 vcc, 1, v16
	s_and_saveexec_b64 s[0:1], vcc
	s_cbranch_execnz .LBB72_107
.LBB72_96:
	s_or_b64 exec, exec, s[0:1]
	v_cmp_eq_u32_e32 vcc, 1, v14
	s_and_saveexec_b64 s[0:1], vcc
.LBB72_97:
	v_sub_u32_e32 v1, v6, v4
	v_lshlrev_b32_e32 v1, 3, v1
	ds_write_b64 v1, v[12:13]
.LBB72_98:
	s_or_b64 exec, exec, s[0:1]
	v_lshlrev_b64 v[4:5], 3, v[4:5]
	v_mov_b32_e32 v1, 0
	v_lshl_add_u64 v[4:5], s[16:17], 0, v[4:5]
	s_waitcnt vmcnt(0)
	v_lshlrev_b64 v[8:9], 3, v[10:11]
	v_mov_b64_e32 v[6:7], v[0:1]
	v_lshl_add_u64 v[4:5], v[4:5], 0, v[8:9]
	v_or_b32_e32 v0, 0x80, v0
	s_mov_b64 s[0:1], 0
	s_waitcnt lgkmcnt(0)
	s_barrier
.LBB72_99:                              ; =>This Inner Loop Header: Depth=1
	v_lshlrev_b32_e32 v12, 3, v6
	ds_read_b64 v[12:13], v12
	v_cmp_le_u64_e32 vcc, v[2:3], v[0:1]
	v_lshl_add_u64 v[8:9], v[6:7], 3, v[4:5]
	v_mov_b64_e32 v[6:7], v[0:1]
	v_add_u32_e32 v0, 0x80, v0
	s_or_b64 s[0:1], vcc, s[0:1]
	s_waitcnt lgkmcnt(0)
	global_store_dwordx2 v[8:9], v[12:13], off
	s_andn2_b64 exec, exec, s[0:1]
	s_cbranch_execnz .LBB72_99
; %bb.100:
	s_or_b64 exec, exec, s[0:1]
	s_and_b64 s[0:1], s[10:11], s[14:15]
	s_and_saveexec_b64 s[2:3], s[0:1]
	s_cbranch_execz .LBB72_74
.LBB72_101:
	v_mov_b32_e32 v2, 0
	s_waitcnt vmcnt(0)
	v_lshl_add_u64 v[0:1], v[28:29], 0, v[10:11]
	global_store_dwordx2 v2, v[0:1], s[12:13]
	s_endpgm
.LBB72_102:
	v_sub_u32_e32 v1, v38, v4
	v_lshlrev_b32_e32 v1, 3, v1
	ds_write_b64 v1, v[68:69]
	s_or_b64 exec, exec, s[0:1]
	v_cmp_eq_u32_e32 vcc, 1, v24
	s_and_saveexec_b64 s[0:1], vcc
	s_cbranch_execz .LBB72_92
.LBB72_103:
	v_sub_u32_e32 v1, v36, v4
	v_lshlrev_b32_e32 v1, 3, v1
	ds_write_b64 v1, v[70:71]
	s_or_b64 exec, exec, s[0:1]
	v_cmp_eq_u32_e32 vcc, 1, v22
	s_and_saveexec_b64 s[0:1], vcc
	s_cbranch_execz .LBB72_93
.LBB72_104:
	v_sub_u32_e32 v1, v34, v4
	v_lshlrev_b32_e32 v1, 3, v1
	ds_write_b64 v1, v[64:65]
	s_or_b64 exec, exec, s[0:1]
	v_cmp_eq_u32_e32 vcc, 1, v20
	s_and_saveexec_b64 s[0:1], vcc
	s_cbranch_execz .LBB72_94
.LBB72_105:
	v_sub_u32_e32 v1, v32, v4
	v_lshlrev_b32_e32 v1, 3, v1
	ds_write_b64 v1, v[66:67]
	s_or_b64 exec, exec, s[0:1]
	v_cmp_eq_u32_e32 vcc, 1, v18
	s_and_saveexec_b64 s[0:1], vcc
	s_cbranch_execz .LBB72_95
.LBB72_106:
	v_sub_u32_e32 v1, v30, v4
	v_lshlrev_b32_e32 v1, 3, v1
	ds_write_b64 v1, v[60:61]
	s_or_b64 exec, exec, s[0:1]
	v_cmp_eq_u32_e32 vcc, 1, v16
	s_and_saveexec_b64 s[0:1], vcc
	s_cbranch_execz .LBB72_96
.LBB72_107:
	v_sub_u32_e32 v1, v8, v4
	v_lshlrev_b32_e32 v1, 3, v1
	ds_write_b64 v1, v[62:63]
	s_or_b64 exec, exec, s[0:1]
	v_cmp_eq_u32_e32 vcc, 1, v14
	s_and_saveexec_b64 s[0:1], vcc
	s_cbranch_execnz .LBB72_97
	s_branch .LBB72_98
	.section	.rodata,"a",@progbits
	.p2align	6, 0x0
	.amdhsa_kernel _ZN7rocprim17ROCPRIM_400000_NS6detail17trampoline_kernelINS0_14default_configENS1_25partition_config_selectorILNS1_17partition_subalgoE5ElNS0_10empty_typeEbEEZZNS1_14partition_implILS5_5ELb0ES3_mN6hipcub16HIPCUB_304000_NS21CountingInputIteratorIllEEPS6_NSA_22TransformInputIteratorIb7NonZeroIaEPalEENS0_5tupleIJPlS6_EEENSJ_IJSD_SD_EEES6_SK_JS6_EEE10hipError_tPvRmT3_T4_T5_T6_T7_T9_mT8_P12ihipStream_tbDpT10_ENKUlT_T0_E_clISt17integral_constantIbLb0EES15_IbLb1EEEEDaS11_S12_EUlS11_E_NS1_11comp_targetILNS1_3genE0ELNS1_11target_archE4294967295ELNS1_3gpuE0ELNS1_3repE0EEENS1_30default_config_static_selectorELNS0_4arch9wavefront6targetE1EEEvT1_
		.amdhsa_group_segment_fixed_size 7184
		.amdhsa_private_segment_fixed_size 0
		.amdhsa_kernarg_size 136
		.amdhsa_user_sgpr_count 2
		.amdhsa_user_sgpr_dispatch_ptr 0
		.amdhsa_user_sgpr_queue_ptr 0
		.amdhsa_user_sgpr_kernarg_segment_ptr 1
		.amdhsa_user_sgpr_dispatch_id 0
		.amdhsa_user_sgpr_kernarg_preload_length 0
		.amdhsa_user_sgpr_kernarg_preload_offset 0
		.amdhsa_user_sgpr_private_segment_size 0
		.amdhsa_uses_dynamic_stack 0
		.amdhsa_enable_private_segment 0
		.amdhsa_system_sgpr_workgroup_id_x 1
		.amdhsa_system_sgpr_workgroup_id_y 0
		.amdhsa_system_sgpr_workgroup_id_z 0
		.amdhsa_system_sgpr_workgroup_info 0
		.amdhsa_system_vgpr_workitem_id 0
		.amdhsa_next_free_vgpr 72
		.amdhsa_next_free_sgpr 28
		.amdhsa_accum_offset 72
		.amdhsa_reserve_vcc 1
		.amdhsa_float_round_mode_32 0
		.amdhsa_float_round_mode_16_64 0
		.amdhsa_float_denorm_mode_32 3
		.amdhsa_float_denorm_mode_16_64 3
		.amdhsa_dx10_clamp 1
		.amdhsa_ieee_mode 1
		.amdhsa_fp16_overflow 0
		.amdhsa_tg_split 0
		.amdhsa_exception_fp_ieee_invalid_op 0
		.amdhsa_exception_fp_denorm_src 0
		.amdhsa_exception_fp_ieee_div_zero 0
		.amdhsa_exception_fp_ieee_overflow 0
		.amdhsa_exception_fp_ieee_underflow 0
		.amdhsa_exception_fp_ieee_inexact 0
		.amdhsa_exception_int_div_zero 0
	.end_amdhsa_kernel
	.section	.text._ZN7rocprim17ROCPRIM_400000_NS6detail17trampoline_kernelINS0_14default_configENS1_25partition_config_selectorILNS1_17partition_subalgoE5ElNS0_10empty_typeEbEEZZNS1_14partition_implILS5_5ELb0ES3_mN6hipcub16HIPCUB_304000_NS21CountingInputIteratorIllEEPS6_NSA_22TransformInputIteratorIb7NonZeroIaEPalEENS0_5tupleIJPlS6_EEENSJ_IJSD_SD_EEES6_SK_JS6_EEE10hipError_tPvRmT3_T4_T5_T6_T7_T9_mT8_P12ihipStream_tbDpT10_ENKUlT_T0_E_clISt17integral_constantIbLb0EES15_IbLb1EEEEDaS11_S12_EUlS11_E_NS1_11comp_targetILNS1_3genE0ELNS1_11target_archE4294967295ELNS1_3gpuE0ELNS1_3repE0EEENS1_30default_config_static_selectorELNS0_4arch9wavefront6targetE1EEEvT1_,"axG",@progbits,_ZN7rocprim17ROCPRIM_400000_NS6detail17trampoline_kernelINS0_14default_configENS1_25partition_config_selectorILNS1_17partition_subalgoE5ElNS0_10empty_typeEbEEZZNS1_14partition_implILS5_5ELb0ES3_mN6hipcub16HIPCUB_304000_NS21CountingInputIteratorIllEEPS6_NSA_22TransformInputIteratorIb7NonZeroIaEPalEENS0_5tupleIJPlS6_EEENSJ_IJSD_SD_EEES6_SK_JS6_EEE10hipError_tPvRmT3_T4_T5_T6_T7_T9_mT8_P12ihipStream_tbDpT10_ENKUlT_T0_E_clISt17integral_constantIbLb0EES15_IbLb1EEEEDaS11_S12_EUlS11_E_NS1_11comp_targetILNS1_3genE0ELNS1_11target_archE4294967295ELNS1_3gpuE0ELNS1_3repE0EEENS1_30default_config_static_selectorELNS0_4arch9wavefront6targetE1EEEvT1_,comdat
.Lfunc_end72:
	.size	_ZN7rocprim17ROCPRIM_400000_NS6detail17trampoline_kernelINS0_14default_configENS1_25partition_config_selectorILNS1_17partition_subalgoE5ElNS0_10empty_typeEbEEZZNS1_14partition_implILS5_5ELb0ES3_mN6hipcub16HIPCUB_304000_NS21CountingInputIteratorIllEEPS6_NSA_22TransformInputIteratorIb7NonZeroIaEPalEENS0_5tupleIJPlS6_EEENSJ_IJSD_SD_EEES6_SK_JS6_EEE10hipError_tPvRmT3_T4_T5_T6_T7_T9_mT8_P12ihipStream_tbDpT10_ENKUlT_T0_E_clISt17integral_constantIbLb0EES15_IbLb1EEEEDaS11_S12_EUlS11_E_NS1_11comp_targetILNS1_3genE0ELNS1_11target_archE4294967295ELNS1_3gpuE0ELNS1_3repE0EEENS1_30default_config_static_selectorELNS0_4arch9wavefront6targetE1EEEvT1_, .Lfunc_end72-_ZN7rocprim17ROCPRIM_400000_NS6detail17trampoline_kernelINS0_14default_configENS1_25partition_config_selectorILNS1_17partition_subalgoE5ElNS0_10empty_typeEbEEZZNS1_14partition_implILS5_5ELb0ES3_mN6hipcub16HIPCUB_304000_NS21CountingInputIteratorIllEEPS6_NSA_22TransformInputIteratorIb7NonZeroIaEPalEENS0_5tupleIJPlS6_EEENSJ_IJSD_SD_EEES6_SK_JS6_EEE10hipError_tPvRmT3_T4_T5_T6_T7_T9_mT8_P12ihipStream_tbDpT10_ENKUlT_T0_E_clISt17integral_constantIbLb0EES15_IbLb1EEEEDaS11_S12_EUlS11_E_NS1_11comp_targetILNS1_3genE0ELNS1_11target_archE4294967295ELNS1_3gpuE0ELNS1_3repE0EEENS1_30default_config_static_selectorELNS0_4arch9wavefront6targetE1EEEvT1_
                                        ; -- End function
	.set _ZN7rocprim17ROCPRIM_400000_NS6detail17trampoline_kernelINS0_14default_configENS1_25partition_config_selectorILNS1_17partition_subalgoE5ElNS0_10empty_typeEbEEZZNS1_14partition_implILS5_5ELb0ES3_mN6hipcub16HIPCUB_304000_NS21CountingInputIteratorIllEEPS6_NSA_22TransformInputIteratorIb7NonZeroIaEPalEENS0_5tupleIJPlS6_EEENSJ_IJSD_SD_EEES6_SK_JS6_EEE10hipError_tPvRmT3_T4_T5_T6_T7_T9_mT8_P12ihipStream_tbDpT10_ENKUlT_T0_E_clISt17integral_constantIbLb0EES15_IbLb1EEEEDaS11_S12_EUlS11_E_NS1_11comp_targetILNS1_3genE0ELNS1_11target_archE4294967295ELNS1_3gpuE0ELNS1_3repE0EEENS1_30default_config_static_selectorELNS0_4arch9wavefront6targetE1EEEvT1_.num_vgpr, 72
	.set _ZN7rocprim17ROCPRIM_400000_NS6detail17trampoline_kernelINS0_14default_configENS1_25partition_config_selectorILNS1_17partition_subalgoE5ElNS0_10empty_typeEbEEZZNS1_14partition_implILS5_5ELb0ES3_mN6hipcub16HIPCUB_304000_NS21CountingInputIteratorIllEEPS6_NSA_22TransformInputIteratorIb7NonZeroIaEPalEENS0_5tupleIJPlS6_EEENSJ_IJSD_SD_EEES6_SK_JS6_EEE10hipError_tPvRmT3_T4_T5_T6_T7_T9_mT8_P12ihipStream_tbDpT10_ENKUlT_T0_E_clISt17integral_constantIbLb0EES15_IbLb1EEEEDaS11_S12_EUlS11_E_NS1_11comp_targetILNS1_3genE0ELNS1_11target_archE4294967295ELNS1_3gpuE0ELNS1_3repE0EEENS1_30default_config_static_selectorELNS0_4arch9wavefront6targetE1EEEvT1_.num_agpr, 0
	.set _ZN7rocprim17ROCPRIM_400000_NS6detail17trampoline_kernelINS0_14default_configENS1_25partition_config_selectorILNS1_17partition_subalgoE5ElNS0_10empty_typeEbEEZZNS1_14partition_implILS5_5ELb0ES3_mN6hipcub16HIPCUB_304000_NS21CountingInputIteratorIllEEPS6_NSA_22TransformInputIteratorIb7NonZeroIaEPalEENS0_5tupleIJPlS6_EEENSJ_IJSD_SD_EEES6_SK_JS6_EEE10hipError_tPvRmT3_T4_T5_T6_T7_T9_mT8_P12ihipStream_tbDpT10_ENKUlT_T0_E_clISt17integral_constantIbLb0EES15_IbLb1EEEEDaS11_S12_EUlS11_E_NS1_11comp_targetILNS1_3genE0ELNS1_11target_archE4294967295ELNS1_3gpuE0ELNS1_3repE0EEENS1_30default_config_static_selectorELNS0_4arch9wavefront6targetE1EEEvT1_.numbered_sgpr, 28
	.set _ZN7rocprim17ROCPRIM_400000_NS6detail17trampoline_kernelINS0_14default_configENS1_25partition_config_selectorILNS1_17partition_subalgoE5ElNS0_10empty_typeEbEEZZNS1_14partition_implILS5_5ELb0ES3_mN6hipcub16HIPCUB_304000_NS21CountingInputIteratorIllEEPS6_NSA_22TransformInputIteratorIb7NonZeroIaEPalEENS0_5tupleIJPlS6_EEENSJ_IJSD_SD_EEES6_SK_JS6_EEE10hipError_tPvRmT3_T4_T5_T6_T7_T9_mT8_P12ihipStream_tbDpT10_ENKUlT_T0_E_clISt17integral_constantIbLb0EES15_IbLb1EEEEDaS11_S12_EUlS11_E_NS1_11comp_targetILNS1_3genE0ELNS1_11target_archE4294967295ELNS1_3gpuE0ELNS1_3repE0EEENS1_30default_config_static_selectorELNS0_4arch9wavefront6targetE1EEEvT1_.num_named_barrier, 0
	.set _ZN7rocprim17ROCPRIM_400000_NS6detail17trampoline_kernelINS0_14default_configENS1_25partition_config_selectorILNS1_17partition_subalgoE5ElNS0_10empty_typeEbEEZZNS1_14partition_implILS5_5ELb0ES3_mN6hipcub16HIPCUB_304000_NS21CountingInputIteratorIllEEPS6_NSA_22TransformInputIteratorIb7NonZeroIaEPalEENS0_5tupleIJPlS6_EEENSJ_IJSD_SD_EEES6_SK_JS6_EEE10hipError_tPvRmT3_T4_T5_T6_T7_T9_mT8_P12ihipStream_tbDpT10_ENKUlT_T0_E_clISt17integral_constantIbLb0EES15_IbLb1EEEEDaS11_S12_EUlS11_E_NS1_11comp_targetILNS1_3genE0ELNS1_11target_archE4294967295ELNS1_3gpuE0ELNS1_3repE0EEENS1_30default_config_static_selectorELNS0_4arch9wavefront6targetE1EEEvT1_.private_seg_size, 0
	.set _ZN7rocprim17ROCPRIM_400000_NS6detail17trampoline_kernelINS0_14default_configENS1_25partition_config_selectorILNS1_17partition_subalgoE5ElNS0_10empty_typeEbEEZZNS1_14partition_implILS5_5ELb0ES3_mN6hipcub16HIPCUB_304000_NS21CountingInputIteratorIllEEPS6_NSA_22TransformInputIteratorIb7NonZeroIaEPalEENS0_5tupleIJPlS6_EEENSJ_IJSD_SD_EEES6_SK_JS6_EEE10hipError_tPvRmT3_T4_T5_T6_T7_T9_mT8_P12ihipStream_tbDpT10_ENKUlT_T0_E_clISt17integral_constantIbLb0EES15_IbLb1EEEEDaS11_S12_EUlS11_E_NS1_11comp_targetILNS1_3genE0ELNS1_11target_archE4294967295ELNS1_3gpuE0ELNS1_3repE0EEENS1_30default_config_static_selectorELNS0_4arch9wavefront6targetE1EEEvT1_.uses_vcc, 1
	.set _ZN7rocprim17ROCPRIM_400000_NS6detail17trampoline_kernelINS0_14default_configENS1_25partition_config_selectorILNS1_17partition_subalgoE5ElNS0_10empty_typeEbEEZZNS1_14partition_implILS5_5ELb0ES3_mN6hipcub16HIPCUB_304000_NS21CountingInputIteratorIllEEPS6_NSA_22TransformInputIteratorIb7NonZeroIaEPalEENS0_5tupleIJPlS6_EEENSJ_IJSD_SD_EEES6_SK_JS6_EEE10hipError_tPvRmT3_T4_T5_T6_T7_T9_mT8_P12ihipStream_tbDpT10_ENKUlT_T0_E_clISt17integral_constantIbLb0EES15_IbLb1EEEEDaS11_S12_EUlS11_E_NS1_11comp_targetILNS1_3genE0ELNS1_11target_archE4294967295ELNS1_3gpuE0ELNS1_3repE0EEENS1_30default_config_static_selectorELNS0_4arch9wavefront6targetE1EEEvT1_.uses_flat_scratch, 0
	.set _ZN7rocprim17ROCPRIM_400000_NS6detail17trampoline_kernelINS0_14default_configENS1_25partition_config_selectorILNS1_17partition_subalgoE5ElNS0_10empty_typeEbEEZZNS1_14partition_implILS5_5ELb0ES3_mN6hipcub16HIPCUB_304000_NS21CountingInputIteratorIllEEPS6_NSA_22TransformInputIteratorIb7NonZeroIaEPalEENS0_5tupleIJPlS6_EEENSJ_IJSD_SD_EEES6_SK_JS6_EEE10hipError_tPvRmT3_T4_T5_T6_T7_T9_mT8_P12ihipStream_tbDpT10_ENKUlT_T0_E_clISt17integral_constantIbLb0EES15_IbLb1EEEEDaS11_S12_EUlS11_E_NS1_11comp_targetILNS1_3genE0ELNS1_11target_archE4294967295ELNS1_3gpuE0ELNS1_3repE0EEENS1_30default_config_static_selectorELNS0_4arch9wavefront6targetE1EEEvT1_.has_dyn_sized_stack, 0
	.set _ZN7rocprim17ROCPRIM_400000_NS6detail17trampoline_kernelINS0_14default_configENS1_25partition_config_selectorILNS1_17partition_subalgoE5ElNS0_10empty_typeEbEEZZNS1_14partition_implILS5_5ELb0ES3_mN6hipcub16HIPCUB_304000_NS21CountingInputIteratorIllEEPS6_NSA_22TransformInputIteratorIb7NonZeroIaEPalEENS0_5tupleIJPlS6_EEENSJ_IJSD_SD_EEES6_SK_JS6_EEE10hipError_tPvRmT3_T4_T5_T6_T7_T9_mT8_P12ihipStream_tbDpT10_ENKUlT_T0_E_clISt17integral_constantIbLb0EES15_IbLb1EEEEDaS11_S12_EUlS11_E_NS1_11comp_targetILNS1_3genE0ELNS1_11target_archE4294967295ELNS1_3gpuE0ELNS1_3repE0EEENS1_30default_config_static_selectorELNS0_4arch9wavefront6targetE1EEEvT1_.has_recursion, 0
	.set _ZN7rocprim17ROCPRIM_400000_NS6detail17trampoline_kernelINS0_14default_configENS1_25partition_config_selectorILNS1_17partition_subalgoE5ElNS0_10empty_typeEbEEZZNS1_14partition_implILS5_5ELb0ES3_mN6hipcub16HIPCUB_304000_NS21CountingInputIteratorIllEEPS6_NSA_22TransformInputIteratorIb7NonZeroIaEPalEENS0_5tupleIJPlS6_EEENSJ_IJSD_SD_EEES6_SK_JS6_EEE10hipError_tPvRmT3_T4_T5_T6_T7_T9_mT8_P12ihipStream_tbDpT10_ENKUlT_T0_E_clISt17integral_constantIbLb0EES15_IbLb1EEEEDaS11_S12_EUlS11_E_NS1_11comp_targetILNS1_3genE0ELNS1_11target_archE4294967295ELNS1_3gpuE0ELNS1_3repE0EEENS1_30default_config_static_selectorELNS0_4arch9wavefront6targetE1EEEvT1_.has_indirect_call, 0
	.section	.AMDGPU.csdata,"",@progbits
; Kernel info:
; codeLenInByte = 6188
; TotalNumSgprs: 34
; NumVgprs: 72
; NumAgprs: 0
; TotalNumVgprs: 72
; ScratchSize: 0
; MemoryBound: 0
; FloatMode: 240
; IeeeMode: 1
; LDSByteSize: 7184 bytes/workgroup (compile time only)
; SGPRBlocks: 4
; VGPRBlocks: 8
; NumSGPRsForWavesPerEU: 34
; NumVGPRsForWavesPerEU: 72
; AccumOffset: 72
; Occupancy: 7
; WaveLimiterHint : 1
; COMPUTE_PGM_RSRC2:SCRATCH_EN: 0
; COMPUTE_PGM_RSRC2:USER_SGPR: 2
; COMPUTE_PGM_RSRC2:TRAP_HANDLER: 0
; COMPUTE_PGM_RSRC2:TGID_X_EN: 1
; COMPUTE_PGM_RSRC2:TGID_Y_EN: 0
; COMPUTE_PGM_RSRC2:TGID_Z_EN: 0
; COMPUTE_PGM_RSRC2:TIDIG_COMP_CNT: 0
; COMPUTE_PGM_RSRC3_GFX90A:ACCUM_OFFSET: 17
; COMPUTE_PGM_RSRC3_GFX90A:TG_SPLIT: 0
	.section	.text._ZN7rocprim17ROCPRIM_400000_NS6detail17trampoline_kernelINS0_14default_configENS1_25partition_config_selectorILNS1_17partition_subalgoE5ElNS0_10empty_typeEbEEZZNS1_14partition_implILS5_5ELb0ES3_mN6hipcub16HIPCUB_304000_NS21CountingInputIteratorIllEEPS6_NSA_22TransformInputIteratorIb7NonZeroIaEPalEENS0_5tupleIJPlS6_EEENSJ_IJSD_SD_EEES6_SK_JS6_EEE10hipError_tPvRmT3_T4_T5_T6_T7_T9_mT8_P12ihipStream_tbDpT10_ENKUlT_T0_E_clISt17integral_constantIbLb0EES15_IbLb1EEEEDaS11_S12_EUlS11_E_NS1_11comp_targetILNS1_3genE5ELNS1_11target_archE942ELNS1_3gpuE9ELNS1_3repE0EEENS1_30default_config_static_selectorELNS0_4arch9wavefront6targetE1EEEvT1_,"axG",@progbits,_ZN7rocprim17ROCPRIM_400000_NS6detail17trampoline_kernelINS0_14default_configENS1_25partition_config_selectorILNS1_17partition_subalgoE5ElNS0_10empty_typeEbEEZZNS1_14partition_implILS5_5ELb0ES3_mN6hipcub16HIPCUB_304000_NS21CountingInputIteratorIllEEPS6_NSA_22TransformInputIteratorIb7NonZeroIaEPalEENS0_5tupleIJPlS6_EEENSJ_IJSD_SD_EEES6_SK_JS6_EEE10hipError_tPvRmT3_T4_T5_T6_T7_T9_mT8_P12ihipStream_tbDpT10_ENKUlT_T0_E_clISt17integral_constantIbLb0EES15_IbLb1EEEEDaS11_S12_EUlS11_E_NS1_11comp_targetILNS1_3genE5ELNS1_11target_archE942ELNS1_3gpuE9ELNS1_3repE0EEENS1_30default_config_static_selectorELNS0_4arch9wavefront6targetE1EEEvT1_,comdat
	.protected	_ZN7rocprim17ROCPRIM_400000_NS6detail17trampoline_kernelINS0_14default_configENS1_25partition_config_selectorILNS1_17partition_subalgoE5ElNS0_10empty_typeEbEEZZNS1_14partition_implILS5_5ELb0ES3_mN6hipcub16HIPCUB_304000_NS21CountingInputIteratorIllEEPS6_NSA_22TransformInputIteratorIb7NonZeroIaEPalEENS0_5tupleIJPlS6_EEENSJ_IJSD_SD_EEES6_SK_JS6_EEE10hipError_tPvRmT3_T4_T5_T6_T7_T9_mT8_P12ihipStream_tbDpT10_ENKUlT_T0_E_clISt17integral_constantIbLb0EES15_IbLb1EEEEDaS11_S12_EUlS11_E_NS1_11comp_targetILNS1_3genE5ELNS1_11target_archE942ELNS1_3gpuE9ELNS1_3repE0EEENS1_30default_config_static_selectorELNS0_4arch9wavefront6targetE1EEEvT1_ ; -- Begin function _ZN7rocprim17ROCPRIM_400000_NS6detail17trampoline_kernelINS0_14default_configENS1_25partition_config_selectorILNS1_17partition_subalgoE5ElNS0_10empty_typeEbEEZZNS1_14partition_implILS5_5ELb0ES3_mN6hipcub16HIPCUB_304000_NS21CountingInputIteratorIllEEPS6_NSA_22TransformInputIteratorIb7NonZeroIaEPalEENS0_5tupleIJPlS6_EEENSJ_IJSD_SD_EEES6_SK_JS6_EEE10hipError_tPvRmT3_T4_T5_T6_T7_T9_mT8_P12ihipStream_tbDpT10_ENKUlT_T0_E_clISt17integral_constantIbLb0EES15_IbLb1EEEEDaS11_S12_EUlS11_E_NS1_11comp_targetILNS1_3genE5ELNS1_11target_archE942ELNS1_3gpuE9ELNS1_3repE0EEENS1_30default_config_static_selectorELNS0_4arch9wavefront6targetE1EEEvT1_
	.globl	_ZN7rocprim17ROCPRIM_400000_NS6detail17trampoline_kernelINS0_14default_configENS1_25partition_config_selectorILNS1_17partition_subalgoE5ElNS0_10empty_typeEbEEZZNS1_14partition_implILS5_5ELb0ES3_mN6hipcub16HIPCUB_304000_NS21CountingInputIteratorIllEEPS6_NSA_22TransformInputIteratorIb7NonZeroIaEPalEENS0_5tupleIJPlS6_EEENSJ_IJSD_SD_EEES6_SK_JS6_EEE10hipError_tPvRmT3_T4_T5_T6_T7_T9_mT8_P12ihipStream_tbDpT10_ENKUlT_T0_E_clISt17integral_constantIbLb0EES15_IbLb1EEEEDaS11_S12_EUlS11_E_NS1_11comp_targetILNS1_3genE5ELNS1_11target_archE942ELNS1_3gpuE9ELNS1_3repE0EEENS1_30default_config_static_selectorELNS0_4arch9wavefront6targetE1EEEvT1_
	.p2align	8
	.type	_ZN7rocprim17ROCPRIM_400000_NS6detail17trampoline_kernelINS0_14default_configENS1_25partition_config_selectorILNS1_17partition_subalgoE5ElNS0_10empty_typeEbEEZZNS1_14partition_implILS5_5ELb0ES3_mN6hipcub16HIPCUB_304000_NS21CountingInputIteratorIllEEPS6_NSA_22TransformInputIteratorIb7NonZeroIaEPalEENS0_5tupleIJPlS6_EEENSJ_IJSD_SD_EEES6_SK_JS6_EEE10hipError_tPvRmT3_T4_T5_T6_T7_T9_mT8_P12ihipStream_tbDpT10_ENKUlT_T0_E_clISt17integral_constantIbLb0EES15_IbLb1EEEEDaS11_S12_EUlS11_E_NS1_11comp_targetILNS1_3genE5ELNS1_11target_archE942ELNS1_3gpuE9ELNS1_3repE0EEENS1_30default_config_static_selectorELNS0_4arch9wavefront6targetE1EEEvT1_,@function
_ZN7rocprim17ROCPRIM_400000_NS6detail17trampoline_kernelINS0_14default_configENS1_25partition_config_selectorILNS1_17partition_subalgoE5ElNS0_10empty_typeEbEEZZNS1_14partition_implILS5_5ELb0ES3_mN6hipcub16HIPCUB_304000_NS21CountingInputIteratorIllEEPS6_NSA_22TransformInputIteratorIb7NonZeroIaEPalEENS0_5tupleIJPlS6_EEENSJ_IJSD_SD_EEES6_SK_JS6_EEE10hipError_tPvRmT3_T4_T5_T6_T7_T9_mT8_P12ihipStream_tbDpT10_ENKUlT_T0_E_clISt17integral_constantIbLb0EES15_IbLb1EEEEDaS11_S12_EUlS11_E_NS1_11comp_targetILNS1_3genE5ELNS1_11target_archE942ELNS1_3gpuE9ELNS1_3repE0EEENS1_30default_config_static_selectorELNS0_4arch9wavefront6targetE1EEEvT1_: ; @_ZN7rocprim17ROCPRIM_400000_NS6detail17trampoline_kernelINS0_14default_configENS1_25partition_config_selectorILNS1_17partition_subalgoE5ElNS0_10empty_typeEbEEZZNS1_14partition_implILS5_5ELb0ES3_mN6hipcub16HIPCUB_304000_NS21CountingInputIteratorIllEEPS6_NSA_22TransformInputIteratorIb7NonZeroIaEPalEENS0_5tupleIJPlS6_EEENSJ_IJSD_SD_EEES6_SK_JS6_EEE10hipError_tPvRmT3_T4_T5_T6_T7_T9_mT8_P12ihipStream_tbDpT10_ENKUlT_T0_E_clISt17integral_constantIbLb0EES15_IbLb1EEEEDaS11_S12_EUlS11_E_NS1_11comp_targetILNS1_3genE5ELNS1_11target_archE942ELNS1_3gpuE9ELNS1_3repE0EEENS1_30default_config_static_selectorELNS0_4arch9wavefront6targetE1EEEvT1_
; %bb.0:
	.section	.rodata,"a",@progbits
	.p2align	6, 0x0
	.amdhsa_kernel _ZN7rocprim17ROCPRIM_400000_NS6detail17trampoline_kernelINS0_14default_configENS1_25partition_config_selectorILNS1_17partition_subalgoE5ElNS0_10empty_typeEbEEZZNS1_14partition_implILS5_5ELb0ES3_mN6hipcub16HIPCUB_304000_NS21CountingInputIteratorIllEEPS6_NSA_22TransformInputIteratorIb7NonZeroIaEPalEENS0_5tupleIJPlS6_EEENSJ_IJSD_SD_EEES6_SK_JS6_EEE10hipError_tPvRmT3_T4_T5_T6_T7_T9_mT8_P12ihipStream_tbDpT10_ENKUlT_T0_E_clISt17integral_constantIbLb0EES15_IbLb1EEEEDaS11_S12_EUlS11_E_NS1_11comp_targetILNS1_3genE5ELNS1_11target_archE942ELNS1_3gpuE9ELNS1_3repE0EEENS1_30default_config_static_selectorELNS0_4arch9wavefront6targetE1EEEvT1_
		.amdhsa_group_segment_fixed_size 0
		.amdhsa_private_segment_fixed_size 0
		.amdhsa_kernarg_size 136
		.amdhsa_user_sgpr_count 2
		.amdhsa_user_sgpr_dispatch_ptr 0
		.amdhsa_user_sgpr_queue_ptr 0
		.amdhsa_user_sgpr_kernarg_segment_ptr 1
		.amdhsa_user_sgpr_dispatch_id 0
		.amdhsa_user_sgpr_kernarg_preload_length 0
		.amdhsa_user_sgpr_kernarg_preload_offset 0
		.amdhsa_user_sgpr_private_segment_size 0
		.amdhsa_uses_dynamic_stack 0
		.amdhsa_enable_private_segment 0
		.amdhsa_system_sgpr_workgroup_id_x 1
		.amdhsa_system_sgpr_workgroup_id_y 0
		.amdhsa_system_sgpr_workgroup_id_z 0
		.amdhsa_system_sgpr_workgroup_info 0
		.amdhsa_system_vgpr_workitem_id 0
		.amdhsa_next_free_vgpr 1
		.amdhsa_next_free_sgpr 0
		.amdhsa_accum_offset 4
		.amdhsa_reserve_vcc 0
		.amdhsa_float_round_mode_32 0
		.amdhsa_float_round_mode_16_64 0
		.amdhsa_float_denorm_mode_32 3
		.amdhsa_float_denorm_mode_16_64 3
		.amdhsa_dx10_clamp 1
		.amdhsa_ieee_mode 1
		.amdhsa_fp16_overflow 0
		.amdhsa_tg_split 0
		.amdhsa_exception_fp_ieee_invalid_op 0
		.amdhsa_exception_fp_denorm_src 0
		.amdhsa_exception_fp_ieee_div_zero 0
		.amdhsa_exception_fp_ieee_overflow 0
		.amdhsa_exception_fp_ieee_underflow 0
		.amdhsa_exception_fp_ieee_inexact 0
		.amdhsa_exception_int_div_zero 0
	.end_amdhsa_kernel
	.section	.text._ZN7rocprim17ROCPRIM_400000_NS6detail17trampoline_kernelINS0_14default_configENS1_25partition_config_selectorILNS1_17partition_subalgoE5ElNS0_10empty_typeEbEEZZNS1_14partition_implILS5_5ELb0ES3_mN6hipcub16HIPCUB_304000_NS21CountingInputIteratorIllEEPS6_NSA_22TransformInputIteratorIb7NonZeroIaEPalEENS0_5tupleIJPlS6_EEENSJ_IJSD_SD_EEES6_SK_JS6_EEE10hipError_tPvRmT3_T4_T5_T6_T7_T9_mT8_P12ihipStream_tbDpT10_ENKUlT_T0_E_clISt17integral_constantIbLb0EES15_IbLb1EEEEDaS11_S12_EUlS11_E_NS1_11comp_targetILNS1_3genE5ELNS1_11target_archE942ELNS1_3gpuE9ELNS1_3repE0EEENS1_30default_config_static_selectorELNS0_4arch9wavefront6targetE1EEEvT1_,"axG",@progbits,_ZN7rocprim17ROCPRIM_400000_NS6detail17trampoline_kernelINS0_14default_configENS1_25partition_config_selectorILNS1_17partition_subalgoE5ElNS0_10empty_typeEbEEZZNS1_14partition_implILS5_5ELb0ES3_mN6hipcub16HIPCUB_304000_NS21CountingInputIteratorIllEEPS6_NSA_22TransformInputIteratorIb7NonZeroIaEPalEENS0_5tupleIJPlS6_EEENSJ_IJSD_SD_EEES6_SK_JS6_EEE10hipError_tPvRmT3_T4_T5_T6_T7_T9_mT8_P12ihipStream_tbDpT10_ENKUlT_T0_E_clISt17integral_constantIbLb0EES15_IbLb1EEEEDaS11_S12_EUlS11_E_NS1_11comp_targetILNS1_3genE5ELNS1_11target_archE942ELNS1_3gpuE9ELNS1_3repE0EEENS1_30default_config_static_selectorELNS0_4arch9wavefront6targetE1EEEvT1_,comdat
.Lfunc_end73:
	.size	_ZN7rocprim17ROCPRIM_400000_NS6detail17trampoline_kernelINS0_14default_configENS1_25partition_config_selectorILNS1_17partition_subalgoE5ElNS0_10empty_typeEbEEZZNS1_14partition_implILS5_5ELb0ES3_mN6hipcub16HIPCUB_304000_NS21CountingInputIteratorIllEEPS6_NSA_22TransformInputIteratorIb7NonZeroIaEPalEENS0_5tupleIJPlS6_EEENSJ_IJSD_SD_EEES6_SK_JS6_EEE10hipError_tPvRmT3_T4_T5_T6_T7_T9_mT8_P12ihipStream_tbDpT10_ENKUlT_T0_E_clISt17integral_constantIbLb0EES15_IbLb1EEEEDaS11_S12_EUlS11_E_NS1_11comp_targetILNS1_3genE5ELNS1_11target_archE942ELNS1_3gpuE9ELNS1_3repE0EEENS1_30default_config_static_selectorELNS0_4arch9wavefront6targetE1EEEvT1_, .Lfunc_end73-_ZN7rocprim17ROCPRIM_400000_NS6detail17trampoline_kernelINS0_14default_configENS1_25partition_config_selectorILNS1_17partition_subalgoE5ElNS0_10empty_typeEbEEZZNS1_14partition_implILS5_5ELb0ES3_mN6hipcub16HIPCUB_304000_NS21CountingInputIteratorIllEEPS6_NSA_22TransformInputIteratorIb7NonZeroIaEPalEENS0_5tupleIJPlS6_EEENSJ_IJSD_SD_EEES6_SK_JS6_EEE10hipError_tPvRmT3_T4_T5_T6_T7_T9_mT8_P12ihipStream_tbDpT10_ENKUlT_T0_E_clISt17integral_constantIbLb0EES15_IbLb1EEEEDaS11_S12_EUlS11_E_NS1_11comp_targetILNS1_3genE5ELNS1_11target_archE942ELNS1_3gpuE9ELNS1_3repE0EEENS1_30default_config_static_selectorELNS0_4arch9wavefront6targetE1EEEvT1_
                                        ; -- End function
	.set _ZN7rocprim17ROCPRIM_400000_NS6detail17trampoline_kernelINS0_14default_configENS1_25partition_config_selectorILNS1_17partition_subalgoE5ElNS0_10empty_typeEbEEZZNS1_14partition_implILS5_5ELb0ES3_mN6hipcub16HIPCUB_304000_NS21CountingInputIteratorIllEEPS6_NSA_22TransformInputIteratorIb7NonZeroIaEPalEENS0_5tupleIJPlS6_EEENSJ_IJSD_SD_EEES6_SK_JS6_EEE10hipError_tPvRmT3_T4_T5_T6_T7_T9_mT8_P12ihipStream_tbDpT10_ENKUlT_T0_E_clISt17integral_constantIbLb0EES15_IbLb1EEEEDaS11_S12_EUlS11_E_NS1_11comp_targetILNS1_3genE5ELNS1_11target_archE942ELNS1_3gpuE9ELNS1_3repE0EEENS1_30default_config_static_selectorELNS0_4arch9wavefront6targetE1EEEvT1_.num_vgpr, 0
	.set _ZN7rocprim17ROCPRIM_400000_NS6detail17trampoline_kernelINS0_14default_configENS1_25partition_config_selectorILNS1_17partition_subalgoE5ElNS0_10empty_typeEbEEZZNS1_14partition_implILS5_5ELb0ES3_mN6hipcub16HIPCUB_304000_NS21CountingInputIteratorIllEEPS6_NSA_22TransformInputIteratorIb7NonZeroIaEPalEENS0_5tupleIJPlS6_EEENSJ_IJSD_SD_EEES6_SK_JS6_EEE10hipError_tPvRmT3_T4_T5_T6_T7_T9_mT8_P12ihipStream_tbDpT10_ENKUlT_T0_E_clISt17integral_constantIbLb0EES15_IbLb1EEEEDaS11_S12_EUlS11_E_NS1_11comp_targetILNS1_3genE5ELNS1_11target_archE942ELNS1_3gpuE9ELNS1_3repE0EEENS1_30default_config_static_selectorELNS0_4arch9wavefront6targetE1EEEvT1_.num_agpr, 0
	.set _ZN7rocprim17ROCPRIM_400000_NS6detail17trampoline_kernelINS0_14default_configENS1_25partition_config_selectorILNS1_17partition_subalgoE5ElNS0_10empty_typeEbEEZZNS1_14partition_implILS5_5ELb0ES3_mN6hipcub16HIPCUB_304000_NS21CountingInputIteratorIllEEPS6_NSA_22TransformInputIteratorIb7NonZeroIaEPalEENS0_5tupleIJPlS6_EEENSJ_IJSD_SD_EEES6_SK_JS6_EEE10hipError_tPvRmT3_T4_T5_T6_T7_T9_mT8_P12ihipStream_tbDpT10_ENKUlT_T0_E_clISt17integral_constantIbLb0EES15_IbLb1EEEEDaS11_S12_EUlS11_E_NS1_11comp_targetILNS1_3genE5ELNS1_11target_archE942ELNS1_3gpuE9ELNS1_3repE0EEENS1_30default_config_static_selectorELNS0_4arch9wavefront6targetE1EEEvT1_.numbered_sgpr, 0
	.set _ZN7rocprim17ROCPRIM_400000_NS6detail17trampoline_kernelINS0_14default_configENS1_25partition_config_selectorILNS1_17partition_subalgoE5ElNS0_10empty_typeEbEEZZNS1_14partition_implILS5_5ELb0ES3_mN6hipcub16HIPCUB_304000_NS21CountingInputIteratorIllEEPS6_NSA_22TransformInputIteratorIb7NonZeroIaEPalEENS0_5tupleIJPlS6_EEENSJ_IJSD_SD_EEES6_SK_JS6_EEE10hipError_tPvRmT3_T4_T5_T6_T7_T9_mT8_P12ihipStream_tbDpT10_ENKUlT_T0_E_clISt17integral_constantIbLb0EES15_IbLb1EEEEDaS11_S12_EUlS11_E_NS1_11comp_targetILNS1_3genE5ELNS1_11target_archE942ELNS1_3gpuE9ELNS1_3repE0EEENS1_30default_config_static_selectorELNS0_4arch9wavefront6targetE1EEEvT1_.num_named_barrier, 0
	.set _ZN7rocprim17ROCPRIM_400000_NS6detail17trampoline_kernelINS0_14default_configENS1_25partition_config_selectorILNS1_17partition_subalgoE5ElNS0_10empty_typeEbEEZZNS1_14partition_implILS5_5ELb0ES3_mN6hipcub16HIPCUB_304000_NS21CountingInputIteratorIllEEPS6_NSA_22TransformInputIteratorIb7NonZeroIaEPalEENS0_5tupleIJPlS6_EEENSJ_IJSD_SD_EEES6_SK_JS6_EEE10hipError_tPvRmT3_T4_T5_T6_T7_T9_mT8_P12ihipStream_tbDpT10_ENKUlT_T0_E_clISt17integral_constantIbLb0EES15_IbLb1EEEEDaS11_S12_EUlS11_E_NS1_11comp_targetILNS1_3genE5ELNS1_11target_archE942ELNS1_3gpuE9ELNS1_3repE0EEENS1_30default_config_static_selectorELNS0_4arch9wavefront6targetE1EEEvT1_.private_seg_size, 0
	.set _ZN7rocprim17ROCPRIM_400000_NS6detail17trampoline_kernelINS0_14default_configENS1_25partition_config_selectorILNS1_17partition_subalgoE5ElNS0_10empty_typeEbEEZZNS1_14partition_implILS5_5ELb0ES3_mN6hipcub16HIPCUB_304000_NS21CountingInputIteratorIllEEPS6_NSA_22TransformInputIteratorIb7NonZeroIaEPalEENS0_5tupleIJPlS6_EEENSJ_IJSD_SD_EEES6_SK_JS6_EEE10hipError_tPvRmT3_T4_T5_T6_T7_T9_mT8_P12ihipStream_tbDpT10_ENKUlT_T0_E_clISt17integral_constantIbLb0EES15_IbLb1EEEEDaS11_S12_EUlS11_E_NS1_11comp_targetILNS1_3genE5ELNS1_11target_archE942ELNS1_3gpuE9ELNS1_3repE0EEENS1_30default_config_static_selectorELNS0_4arch9wavefront6targetE1EEEvT1_.uses_vcc, 0
	.set _ZN7rocprim17ROCPRIM_400000_NS6detail17trampoline_kernelINS0_14default_configENS1_25partition_config_selectorILNS1_17partition_subalgoE5ElNS0_10empty_typeEbEEZZNS1_14partition_implILS5_5ELb0ES3_mN6hipcub16HIPCUB_304000_NS21CountingInputIteratorIllEEPS6_NSA_22TransformInputIteratorIb7NonZeroIaEPalEENS0_5tupleIJPlS6_EEENSJ_IJSD_SD_EEES6_SK_JS6_EEE10hipError_tPvRmT3_T4_T5_T6_T7_T9_mT8_P12ihipStream_tbDpT10_ENKUlT_T0_E_clISt17integral_constantIbLb0EES15_IbLb1EEEEDaS11_S12_EUlS11_E_NS1_11comp_targetILNS1_3genE5ELNS1_11target_archE942ELNS1_3gpuE9ELNS1_3repE0EEENS1_30default_config_static_selectorELNS0_4arch9wavefront6targetE1EEEvT1_.uses_flat_scratch, 0
	.set _ZN7rocprim17ROCPRIM_400000_NS6detail17trampoline_kernelINS0_14default_configENS1_25partition_config_selectorILNS1_17partition_subalgoE5ElNS0_10empty_typeEbEEZZNS1_14partition_implILS5_5ELb0ES3_mN6hipcub16HIPCUB_304000_NS21CountingInputIteratorIllEEPS6_NSA_22TransformInputIteratorIb7NonZeroIaEPalEENS0_5tupleIJPlS6_EEENSJ_IJSD_SD_EEES6_SK_JS6_EEE10hipError_tPvRmT3_T4_T5_T6_T7_T9_mT8_P12ihipStream_tbDpT10_ENKUlT_T0_E_clISt17integral_constantIbLb0EES15_IbLb1EEEEDaS11_S12_EUlS11_E_NS1_11comp_targetILNS1_3genE5ELNS1_11target_archE942ELNS1_3gpuE9ELNS1_3repE0EEENS1_30default_config_static_selectorELNS0_4arch9wavefront6targetE1EEEvT1_.has_dyn_sized_stack, 0
	.set _ZN7rocprim17ROCPRIM_400000_NS6detail17trampoline_kernelINS0_14default_configENS1_25partition_config_selectorILNS1_17partition_subalgoE5ElNS0_10empty_typeEbEEZZNS1_14partition_implILS5_5ELb0ES3_mN6hipcub16HIPCUB_304000_NS21CountingInputIteratorIllEEPS6_NSA_22TransformInputIteratorIb7NonZeroIaEPalEENS0_5tupleIJPlS6_EEENSJ_IJSD_SD_EEES6_SK_JS6_EEE10hipError_tPvRmT3_T4_T5_T6_T7_T9_mT8_P12ihipStream_tbDpT10_ENKUlT_T0_E_clISt17integral_constantIbLb0EES15_IbLb1EEEEDaS11_S12_EUlS11_E_NS1_11comp_targetILNS1_3genE5ELNS1_11target_archE942ELNS1_3gpuE9ELNS1_3repE0EEENS1_30default_config_static_selectorELNS0_4arch9wavefront6targetE1EEEvT1_.has_recursion, 0
	.set _ZN7rocprim17ROCPRIM_400000_NS6detail17trampoline_kernelINS0_14default_configENS1_25partition_config_selectorILNS1_17partition_subalgoE5ElNS0_10empty_typeEbEEZZNS1_14partition_implILS5_5ELb0ES3_mN6hipcub16HIPCUB_304000_NS21CountingInputIteratorIllEEPS6_NSA_22TransformInputIteratorIb7NonZeroIaEPalEENS0_5tupleIJPlS6_EEENSJ_IJSD_SD_EEES6_SK_JS6_EEE10hipError_tPvRmT3_T4_T5_T6_T7_T9_mT8_P12ihipStream_tbDpT10_ENKUlT_T0_E_clISt17integral_constantIbLb0EES15_IbLb1EEEEDaS11_S12_EUlS11_E_NS1_11comp_targetILNS1_3genE5ELNS1_11target_archE942ELNS1_3gpuE9ELNS1_3repE0EEENS1_30default_config_static_selectorELNS0_4arch9wavefront6targetE1EEEvT1_.has_indirect_call, 0
	.section	.AMDGPU.csdata,"",@progbits
; Kernel info:
; codeLenInByte = 0
; TotalNumSgprs: 6
; NumVgprs: 0
; NumAgprs: 0
; TotalNumVgprs: 0
; ScratchSize: 0
; MemoryBound: 0
; FloatMode: 240
; IeeeMode: 1
; LDSByteSize: 0 bytes/workgroup (compile time only)
; SGPRBlocks: 0
; VGPRBlocks: 0
; NumSGPRsForWavesPerEU: 6
; NumVGPRsForWavesPerEU: 1
; AccumOffset: 4
; Occupancy: 8
; WaveLimiterHint : 0
; COMPUTE_PGM_RSRC2:SCRATCH_EN: 0
; COMPUTE_PGM_RSRC2:USER_SGPR: 2
; COMPUTE_PGM_RSRC2:TRAP_HANDLER: 0
; COMPUTE_PGM_RSRC2:TGID_X_EN: 1
; COMPUTE_PGM_RSRC2:TGID_Y_EN: 0
; COMPUTE_PGM_RSRC2:TGID_Z_EN: 0
; COMPUTE_PGM_RSRC2:TIDIG_COMP_CNT: 0
; COMPUTE_PGM_RSRC3_GFX90A:ACCUM_OFFSET: 0
; COMPUTE_PGM_RSRC3_GFX90A:TG_SPLIT: 0
	.section	.text._ZN7rocprim17ROCPRIM_400000_NS6detail17trampoline_kernelINS0_14default_configENS1_25partition_config_selectorILNS1_17partition_subalgoE5ElNS0_10empty_typeEbEEZZNS1_14partition_implILS5_5ELb0ES3_mN6hipcub16HIPCUB_304000_NS21CountingInputIteratorIllEEPS6_NSA_22TransformInputIteratorIb7NonZeroIaEPalEENS0_5tupleIJPlS6_EEENSJ_IJSD_SD_EEES6_SK_JS6_EEE10hipError_tPvRmT3_T4_T5_T6_T7_T9_mT8_P12ihipStream_tbDpT10_ENKUlT_T0_E_clISt17integral_constantIbLb0EES15_IbLb1EEEEDaS11_S12_EUlS11_E_NS1_11comp_targetILNS1_3genE4ELNS1_11target_archE910ELNS1_3gpuE8ELNS1_3repE0EEENS1_30default_config_static_selectorELNS0_4arch9wavefront6targetE1EEEvT1_,"axG",@progbits,_ZN7rocprim17ROCPRIM_400000_NS6detail17trampoline_kernelINS0_14default_configENS1_25partition_config_selectorILNS1_17partition_subalgoE5ElNS0_10empty_typeEbEEZZNS1_14partition_implILS5_5ELb0ES3_mN6hipcub16HIPCUB_304000_NS21CountingInputIteratorIllEEPS6_NSA_22TransformInputIteratorIb7NonZeroIaEPalEENS0_5tupleIJPlS6_EEENSJ_IJSD_SD_EEES6_SK_JS6_EEE10hipError_tPvRmT3_T4_T5_T6_T7_T9_mT8_P12ihipStream_tbDpT10_ENKUlT_T0_E_clISt17integral_constantIbLb0EES15_IbLb1EEEEDaS11_S12_EUlS11_E_NS1_11comp_targetILNS1_3genE4ELNS1_11target_archE910ELNS1_3gpuE8ELNS1_3repE0EEENS1_30default_config_static_selectorELNS0_4arch9wavefront6targetE1EEEvT1_,comdat
	.protected	_ZN7rocprim17ROCPRIM_400000_NS6detail17trampoline_kernelINS0_14default_configENS1_25partition_config_selectorILNS1_17partition_subalgoE5ElNS0_10empty_typeEbEEZZNS1_14partition_implILS5_5ELb0ES3_mN6hipcub16HIPCUB_304000_NS21CountingInputIteratorIllEEPS6_NSA_22TransformInputIteratorIb7NonZeroIaEPalEENS0_5tupleIJPlS6_EEENSJ_IJSD_SD_EEES6_SK_JS6_EEE10hipError_tPvRmT3_T4_T5_T6_T7_T9_mT8_P12ihipStream_tbDpT10_ENKUlT_T0_E_clISt17integral_constantIbLb0EES15_IbLb1EEEEDaS11_S12_EUlS11_E_NS1_11comp_targetILNS1_3genE4ELNS1_11target_archE910ELNS1_3gpuE8ELNS1_3repE0EEENS1_30default_config_static_selectorELNS0_4arch9wavefront6targetE1EEEvT1_ ; -- Begin function _ZN7rocprim17ROCPRIM_400000_NS6detail17trampoline_kernelINS0_14default_configENS1_25partition_config_selectorILNS1_17partition_subalgoE5ElNS0_10empty_typeEbEEZZNS1_14partition_implILS5_5ELb0ES3_mN6hipcub16HIPCUB_304000_NS21CountingInputIteratorIllEEPS6_NSA_22TransformInputIteratorIb7NonZeroIaEPalEENS0_5tupleIJPlS6_EEENSJ_IJSD_SD_EEES6_SK_JS6_EEE10hipError_tPvRmT3_T4_T5_T6_T7_T9_mT8_P12ihipStream_tbDpT10_ENKUlT_T0_E_clISt17integral_constantIbLb0EES15_IbLb1EEEEDaS11_S12_EUlS11_E_NS1_11comp_targetILNS1_3genE4ELNS1_11target_archE910ELNS1_3gpuE8ELNS1_3repE0EEENS1_30default_config_static_selectorELNS0_4arch9wavefront6targetE1EEEvT1_
	.globl	_ZN7rocprim17ROCPRIM_400000_NS6detail17trampoline_kernelINS0_14default_configENS1_25partition_config_selectorILNS1_17partition_subalgoE5ElNS0_10empty_typeEbEEZZNS1_14partition_implILS5_5ELb0ES3_mN6hipcub16HIPCUB_304000_NS21CountingInputIteratorIllEEPS6_NSA_22TransformInputIteratorIb7NonZeroIaEPalEENS0_5tupleIJPlS6_EEENSJ_IJSD_SD_EEES6_SK_JS6_EEE10hipError_tPvRmT3_T4_T5_T6_T7_T9_mT8_P12ihipStream_tbDpT10_ENKUlT_T0_E_clISt17integral_constantIbLb0EES15_IbLb1EEEEDaS11_S12_EUlS11_E_NS1_11comp_targetILNS1_3genE4ELNS1_11target_archE910ELNS1_3gpuE8ELNS1_3repE0EEENS1_30default_config_static_selectorELNS0_4arch9wavefront6targetE1EEEvT1_
	.p2align	8
	.type	_ZN7rocprim17ROCPRIM_400000_NS6detail17trampoline_kernelINS0_14default_configENS1_25partition_config_selectorILNS1_17partition_subalgoE5ElNS0_10empty_typeEbEEZZNS1_14partition_implILS5_5ELb0ES3_mN6hipcub16HIPCUB_304000_NS21CountingInputIteratorIllEEPS6_NSA_22TransformInputIteratorIb7NonZeroIaEPalEENS0_5tupleIJPlS6_EEENSJ_IJSD_SD_EEES6_SK_JS6_EEE10hipError_tPvRmT3_T4_T5_T6_T7_T9_mT8_P12ihipStream_tbDpT10_ENKUlT_T0_E_clISt17integral_constantIbLb0EES15_IbLb1EEEEDaS11_S12_EUlS11_E_NS1_11comp_targetILNS1_3genE4ELNS1_11target_archE910ELNS1_3gpuE8ELNS1_3repE0EEENS1_30default_config_static_selectorELNS0_4arch9wavefront6targetE1EEEvT1_,@function
_ZN7rocprim17ROCPRIM_400000_NS6detail17trampoline_kernelINS0_14default_configENS1_25partition_config_selectorILNS1_17partition_subalgoE5ElNS0_10empty_typeEbEEZZNS1_14partition_implILS5_5ELb0ES3_mN6hipcub16HIPCUB_304000_NS21CountingInputIteratorIllEEPS6_NSA_22TransformInputIteratorIb7NonZeroIaEPalEENS0_5tupleIJPlS6_EEENSJ_IJSD_SD_EEES6_SK_JS6_EEE10hipError_tPvRmT3_T4_T5_T6_T7_T9_mT8_P12ihipStream_tbDpT10_ENKUlT_T0_E_clISt17integral_constantIbLb0EES15_IbLb1EEEEDaS11_S12_EUlS11_E_NS1_11comp_targetILNS1_3genE4ELNS1_11target_archE910ELNS1_3gpuE8ELNS1_3repE0EEENS1_30default_config_static_selectorELNS0_4arch9wavefront6targetE1EEEvT1_: ; @_ZN7rocprim17ROCPRIM_400000_NS6detail17trampoline_kernelINS0_14default_configENS1_25partition_config_selectorILNS1_17partition_subalgoE5ElNS0_10empty_typeEbEEZZNS1_14partition_implILS5_5ELb0ES3_mN6hipcub16HIPCUB_304000_NS21CountingInputIteratorIllEEPS6_NSA_22TransformInputIteratorIb7NonZeroIaEPalEENS0_5tupleIJPlS6_EEENSJ_IJSD_SD_EEES6_SK_JS6_EEE10hipError_tPvRmT3_T4_T5_T6_T7_T9_mT8_P12ihipStream_tbDpT10_ENKUlT_T0_E_clISt17integral_constantIbLb0EES15_IbLb1EEEEDaS11_S12_EUlS11_E_NS1_11comp_targetILNS1_3genE4ELNS1_11target_archE910ELNS1_3gpuE8ELNS1_3repE0EEENS1_30default_config_static_selectorELNS0_4arch9wavefront6targetE1EEEvT1_
; %bb.0:
	.section	.rodata,"a",@progbits
	.p2align	6, 0x0
	.amdhsa_kernel _ZN7rocprim17ROCPRIM_400000_NS6detail17trampoline_kernelINS0_14default_configENS1_25partition_config_selectorILNS1_17partition_subalgoE5ElNS0_10empty_typeEbEEZZNS1_14partition_implILS5_5ELb0ES3_mN6hipcub16HIPCUB_304000_NS21CountingInputIteratorIllEEPS6_NSA_22TransformInputIteratorIb7NonZeroIaEPalEENS0_5tupleIJPlS6_EEENSJ_IJSD_SD_EEES6_SK_JS6_EEE10hipError_tPvRmT3_T4_T5_T6_T7_T9_mT8_P12ihipStream_tbDpT10_ENKUlT_T0_E_clISt17integral_constantIbLb0EES15_IbLb1EEEEDaS11_S12_EUlS11_E_NS1_11comp_targetILNS1_3genE4ELNS1_11target_archE910ELNS1_3gpuE8ELNS1_3repE0EEENS1_30default_config_static_selectorELNS0_4arch9wavefront6targetE1EEEvT1_
		.amdhsa_group_segment_fixed_size 0
		.amdhsa_private_segment_fixed_size 0
		.amdhsa_kernarg_size 136
		.amdhsa_user_sgpr_count 2
		.amdhsa_user_sgpr_dispatch_ptr 0
		.amdhsa_user_sgpr_queue_ptr 0
		.amdhsa_user_sgpr_kernarg_segment_ptr 1
		.amdhsa_user_sgpr_dispatch_id 0
		.amdhsa_user_sgpr_kernarg_preload_length 0
		.amdhsa_user_sgpr_kernarg_preload_offset 0
		.amdhsa_user_sgpr_private_segment_size 0
		.amdhsa_uses_dynamic_stack 0
		.amdhsa_enable_private_segment 0
		.amdhsa_system_sgpr_workgroup_id_x 1
		.amdhsa_system_sgpr_workgroup_id_y 0
		.amdhsa_system_sgpr_workgroup_id_z 0
		.amdhsa_system_sgpr_workgroup_info 0
		.amdhsa_system_vgpr_workitem_id 0
		.amdhsa_next_free_vgpr 1
		.amdhsa_next_free_sgpr 0
		.amdhsa_accum_offset 4
		.amdhsa_reserve_vcc 0
		.amdhsa_float_round_mode_32 0
		.amdhsa_float_round_mode_16_64 0
		.amdhsa_float_denorm_mode_32 3
		.amdhsa_float_denorm_mode_16_64 3
		.amdhsa_dx10_clamp 1
		.amdhsa_ieee_mode 1
		.amdhsa_fp16_overflow 0
		.amdhsa_tg_split 0
		.amdhsa_exception_fp_ieee_invalid_op 0
		.amdhsa_exception_fp_denorm_src 0
		.amdhsa_exception_fp_ieee_div_zero 0
		.amdhsa_exception_fp_ieee_overflow 0
		.amdhsa_exception_fp_ieee_underflow 0
		.amdhsa_exception_fp_ieee_inexact 0
		.amdhsa_exception_int_div_zero 0
	.end_amdhsa_kernel
	.section	.text._ZN7rocprim17ROCPRIM_400000_NS6detail17trampoline_kernelINS0_14default_configENS1_25partition_config_selectorILNS1_17partition_subalgoE5ElNS0_10empty_typeEbEEZZNS1_14partition_implILS5_5ELb0ES3_mN6hipcub16HIPCUB_304000_NS21CountingInputIteratorIllEEPS6_NSA_22TransformInputIteratorIb7NonZeroIaEPalEENS0_5tupleIJPlS6_EEENSJ_IJSD_SD_EEES6_SK_JS6_EEE10hipError_tPvRmT3_T4_T5_T6_T7_T9_mT8_P12ihipStream_tbDpT10_ENKUlT_T0_E_clISt17integral_constantIbLb0EES15_IbLb1EEEEDaS11_S12_EUlS11_E_NS1_11comp_targetILNS1_3genE4ELNS1_11target_archE910ELNS1_3gpuE8ELNS1_3repE0EEENS1_30default_config_static_selectorELNS0_4arch9wavefront6targetE1EEEvT1_,"axG",@progbits,_ZN7rocprim17ROCPRIM_400000_NS6detail17trampoline_kernelINS0_14default_configENS1_25partition_config_selectorILNS1_17partition_subalgoE5ElNS0_10empty_typeEbEEZZNS1_14partition_implILS5_5ELb0ES3_mN6hipcub16HIPCUB_304000_NS21CountingInputIteratorIllEEPS6_NSA_22TransformInputIteratorIb7NonZeroIaEPalEENS0_5tupleIJPlS6_EEENSJ_IJSD_SD_EEES6_SK_JS6_EEE10hipError_tPvRmT3_T4_T5_T6_T7_T9_mT8_P12ihipStream_tbDpT10_ENKUlT_T0_E_clISt17integral_constantIbLb0EES15_IbLb1EEEEDaS11_S12_EUlS11_E_NS1_11comp_targetILNS1_3genE4ELNS1_11target_archE910ELNS1_3gpuE8ELNS1_3repE0EEENS1_30default_config_static_selectorELNS0_4arch9wavefront6targetE1EEEvT1_,comdat
.Lfunc_end74:
	.size	_ZN7rocprim17ROCPRIM_400000_NS6detail17trampoline_kernelINS0_14default_configENS1_25partition_config_selectorILNS1_17partition_subalgoE5ElNS0_10empty_typeEbEEZZNS1_14partition_implILS5_5ELb0ES3_mN6hipcub16HIPCUB_304000_NS21CountingInputIteratorIllEEPS6_NSA_22TransformInputIteratorIb7NonZeroIaEPalEENS0_5tupleIJPlS6_EEENSJ_IJSD_SD_EEES6_SK_JS6_EEE10hipError_tPvRmT3_T4_T5_T6_T7_T9_mT8_P12ihipStream_tbDpT10_ENKUlT_T0_E_clISt17integral_constantIbLb0EES15_IbLb1EEEEDaS11_S12_EUlS11_E_NS1_11comp_targetILNS1_3genE4ELNS1_11target_archE910ELNS1_3gpuE8ELNS1_3repE0EEENS1_30default_config_static_selectorELNS0_4arch9wavefront6targetE1EEEvT1_, .Lfunc_end74-_ZN7rocprim17ROCPRIM_400000_NS6detail17trampoline_kernelINS0_14default_configENS1_25partition_config_selectorILNS1_17partition_subalgoE5ElNS0_10empty_typeEbEEZZNS1_14partition_implILS5_5ELb0ES3_mN6hipcub16HIPCUB_304000_NS21CountingInputIteratorIllEEPS6_NSA_22TransformInputIteratorIb7NonZeroIaEPalEENS0_5tupleIJPlS6_EEENSJ_IJSD_SD_EEES6_SK_JS6_EEE10hipError_tPvRmT3_T4_T5_T6_T7_T9_mT8_P12ihipStream_tbDpT10_ENKUlT_T0_E_clISt17integral_constantIbLb0EES15_IbLb1EEEEDaS11_S12_EUlS11_E_NS1_11comp_targetILNS1_3genE4ELNS1_11target_archE910ELNS1_3gpuE8ELNS1_3repE0EEENS1_30default_config_static_selectorELNS0_4arch9wavefront6targetE1EEEvT1_
                                        ; -- End function
	.set _ZN7rocprim17ROCPRIM_400000_NS6detail17trampoline_kernelINS0_14default_configENS1_25partition_config_selectorILNS1_17partition_subalgoE5ElNS0_10empty_typeEbEEZZNS1_14partition_implILS5_5ELb0ES3_mN6hipcub16HIPCUB_304000_NS21CountingInputIteratorIllEEPS6_NSA_22TransformInputIteratorIb7NonZeroIaEPalEENS0_5tupleIJPlS6_EEENSJ_IJSD_SD_EEES6_SK_JS6_EEE10hipError_tPvRmT3_T4_T5_T6_T7_T9_mT8_P12ihipStream_tbDpT10_ENKUlT_T0_E_clISt17integral_constantIbLb0EES15_IbLb1EEEEDaS11_S12_EUlS11_E_NS1_11comp_targetILNS1_3genE4ELNS1_11target_archE910ELNS1_3gpuE8ELNS1_3repE0EEENS1_30default_config_static_selectorELNS0_4arch9wavefront6targetE1EEEvT1_.num_vgpr, 0
	.set _ZN7rocprim17ROCPRIM_400000_NS6detail17trampoline_kernelINS0_14default_configENS1_25partition_config_selectorILNS1_17partition_subalgoE5ElNS0_10empty_typeEbEEZZNS1_14partition_implILS5_5ELb0ES3_mN6hipcub16HIPCUB_304000_NS21CountingInputIteratorIllEEPS6_NSA_22TransformInputIteratorIb7NonZeroIaEPalEENS0_5tupleIJPlS6_EEENSJ_IJSD_SD_EEES6_SK_JS6_EEE10hipError_tPvRmT3_T4_T5_T6_T7_T9_mT8_P12ihipStream_tbDpT10_ENKUlT_T0_E_clISt17integral_constantIbLb0EES15_IbLb1EEEEDaS11_S12_EUlS11_E_NS1_11comp_targetILNS1_3genE4ELNS1_11target_archE910ELNS1_3gpuE8ELNS1_3repE0EEENS1_30default_config_static_selectorELNS0_4arch9wavefront6targetE1EEEvT1_.num_agpr, 0
	.set _ZN7rocprim17ROCPRIM_400000_NS6detail17trampoline_kernelINS0_14default_configENS1_25partition_config_selectorILNS1_17partition_subalgoE5ElNS0_10empty_typeEbEEZZNS1_14partition_implILS5_5ELb0ES3_mN6hipcub16HIPCUB_304000_NS21CountingInputIteratorIllEEPS6_NSA_22TransformInputIteratorIb7NonZeroIaEPalEENS0_5tupleIJPlS6_EEENSJ_IJSD_SD_EEES6_SK_JS6_EEE10hipError_tPvRmT3_T4_T5_T6_T7_T9_mT8_P12ihipStream_tbDpT10_ENKUlT_T0_E_clISt17integral_constantIbLb0EES15_IbLb1EEEEDaS11_S12_EUlS11_E_NS1_11comp_targetILNS1_3genE4ELNS1_11target_archE910ELNS1_3gpuE8ELNS1_3repE0EEENS1_30default_config_static_selectorELNS0_4arch9wavefront6targetE1EEEvT1_.numbered_sgpr, 0
	.set _ZN7rocprim17ROCPRIM_400000_NS6detail17trampoline_kernelINS0_14default_configENS1_25partition_config_selectorILNS1_17partition_subalgoE5ElNS0_10empty_typeEbEEZZNS1_14partition_implILS5_5ELb0ES3_mN6hipcub16HIPCUB_304000_NS21CountingInputIteratorIllEEPS6_NSA_22TransformInputIteratorIb7NonZeroIaEPalEENS0_5tupleIJPlS6_EEENSJ_IJSD_SD_EEES6_SK_JS6_EEE10hipError_tPvRmT3_T4_T5_T6_T7_T9_mT8_P12ihipStream_tbDpT10_ENKUlT_T0_E_clISt17integral_constantIbLb0EES15_IbLb1EEEEDaS11_S12_EUlS11_E_NS1_11comp_targetILNS1_3genE4ELNS1_11target_archE910ELNS1_3gpuE8ELNS1_3repE0EEENS1_30default_config_static_selectorELNS0_4arch9wavefront6targetE1EEEvT1_.num_named_barrier, 0
	.set _ZN7rocprim17ROCPRIM_400000_NS6detail17trampoline_kernelINS0_14default_configENS1_25partition_config_selectorILNS1_17partition_subalgoE5ElNS0_10empty_typeEbEEZZNS1_14partition_implILS5_5ELb0ES3_mN6hipcub16HIPCUB_304000_NS21CountingInputIteratorIllEEPS6_NSA_22TransformInputIteratorIb7NonZeroIaEPalEENS0_5tupleIJPlS6_EEENSJ_IJSD_SD_EEES6_SK_JS6_EEE10hipError_tPvRmT3_T4_T5_T6_T7_T9_mT8_P12ihipStream_tbDpT10_ENKUlT_T0_E_clISt17integral_constantIbLb0EES15_IbLb1EEEEDaS11_S12_EUlS11_E_NS1_11comp_targetILNS1_3genE4ELNS1_11target_archE910ELNS1_3gpuE8ELNS1_3repE0EEENS1_30default_config_static_selectorELNS0_4arch9wavefront6targetE1EEEvT1_.private_seg_size, 0
	.set _ZN7rocprim17ROCPRIM_400000_NS6detail17trampoline_kernelINS0_14default_configENS1_25partition_config_selectorILNS1_17partition_subalgoE5ElNS0_10empty_typeEbEEZZNS1_14partition_implILS5_5ELb0ES3_mN6hipcub16HIPCUB_304000_NS21CountingInputIteratorIllEEPS6_NSA_22TransformInputIteratorIb7NonZeroIaEPalEENS0_5tupleIJPlS6_EEENSJ_IJSD_SD_EEES6_SK_JS6_EEE10hipError_tPvRmT3_T4_T5_T6_T7_T9_mT8_P12ihipStream_tbDpT10_ENKUlT_T0_E_clISt17integral_constantIbLb0EES15_IbLb1EEEEDaS11_S12_EUlS11_E_NS1_11comp_targetILNS1_3genE4ELNS1_11target_archE910ELNS1_3gpuE8ELNS1_3repE0EEENS1_30default_config_static_selectorELNS0_4arch9wavefront6targetE1EEEvT1_.uses_vcc, 0
	.set _ZN7rocprim17ROCPRIM_400000_NS6detail17trampoline_kernelINS0_14default_configENS1_25partition_config_selectorILNS1_17partition_subalgoE5ElNS0_10empty_typeEbEEZZNS1_14partition_implILS5_5ELb0ES3_mN6hipcub16HIPCUB_304000_NS21CountingInputIteratorIllEEPS6_NSA_22TransformInputIteratorIb7NonZeroIaEPalEENS0_5tupleIJPlS6_EEENSJ_IJSD_SD_EEES6_SK_JS6_EEE10hipError_tPvRmT3_T4_T5_T6_T7_T9_mT8_P12ihipStream_tbDpT10_ENKUlT_T0_E_clISt17integral_constantIbLb0EES15_IbLb1EEEEDaS11_S12_EUlS11_E_NS1_11comp_targetILNS1_3genE4ELNS1_11target_archE910ELNS1_3gpuE8ELNS1_3repE0EEENS1_30default_config_static_selectorELNS0_4arch9wavefront6targetE1EEEvT1_.uses_flat_scratch, 0
	.set _ZN7rocprim17ROCPRIM_400000_NS6detail17trampoline_kernelINS0_14default_configENS1_25partition_config_selectorILNS1_17partition_subalgoE5ElNS0_10empty_typeEbEEZZNS1_14partition_implILS5_5ELb0ES3_mN6hipcub16HIPCUB_304000_NS21CountingInputIteratorIllEEPS6_NSA_22TransformInputIteratorIb7NonZeroIaEPalEENS0_5tupleIJPlS6_EEENSJ_IJSD_SD_EEES6_SK_JS6_EEE10hipError_tPvRmT3_T4_T5_T6_T7_T9_mT8_P12ihipStream_tbDpT10_ENKUlT_T0_E_clISt17integral_constantIbLb0EES15_IbLb1EEEEDaS11_S12_EUlS11_E_NS1_11comp_targetILNS1_3genE4ELNS1_11target_archE910ELNS1_3gpuE8ELNS1_3repE0EEENS1_30default_config_static_selectorELNS0_4arch9wavefront6targetE1EEEvT1_.has_dyn_sized_stack, 0
	.set _ZN7rocprim17ROCPRIM_400000_NS6detail17trampoline_kernelINS0_14default_configENS1_25partition_config_selectorILNS1_17partition_subalgoE5ElNS0_10empty_typeEbEEZZNS1_14partition_implILS5_5ELb0ES3_mN6hipcub16HIPCUB_304000_NS21CountingInputIteratorIllEEPS6_NSA_22TransformInputIteratorIb7NonZeroIaEPalEENS0_5tupleIJPlS6_EEENSJ_IJSD_SD_EEES6_SK_JS6_EEE10hipError_tPvRmT3_T4_T5_T6_T7_T9_mT8_P12ihipStream_tbDpT10_ENKUlT_T0_E_clISt17integral_constantIbLb0EES15_IbLb1EEEEDaS11_S12_EUlS11_E_NS1_11comp_targetILNS1_3genE4ELNS1_11target_archE910ELNS1_3gpuE8ELNS1_3repE0EEENS1_30default_config_static_selectorELNS0_4arch9wavefront6targetE1EEEvT1_.has_recursion, 0
	.set _ZN7rocprim17ROCPRIM_400000_NS6detail17trampoline_kernelINS0_14default_configENS1_25partition_config_selectorILNS1_17partition_subalgoE5ElNS0_10empty_typeEbEEZZNS1_14partition_implILS5_5ELb0ES3_mN6hipcub16HIPCUB_304000_NS21CountingInputIteratorIllEEPS6_NSA_22TransformInputIteratorIb7NonZeroIaEPalEENS0_5tupleIJPlS6_EEENSJ_IJSD_SD_EEES6_SK_JS6_EEE10hipError_tPvRmT3_T4_T5_T6_T7_T9_mT8_P12ihipStream_tbDpT10_ENKUlT_T0_E_clISt17integral_constantIbLb0EES15_IbLb1EEEEDaS11_S12_EUlS11_E_NS1_11comp_targetILNS1_3genE4ELNS1_11target_archE910ELNS1_3gpuE8ELNS1_3repE0EEENS1_30default_config_static_selectorELNS0_4arch9wavefront6targetE1EEEvT1_.has_indirect_call, 0
	.section	.AMDGPU.csdata,"",@progbits
; Kernel info:
; codeLenInByte = 0
; TotalNumSgprs: 6
; NumVgprs: 0
; NumAgprs: 0
; TotalNumVgprs: 0
; ScratchSize: 0
; MemoryBound: 0
; FloatMode: 240
; IeeeMode: 1
; LDSByteSize: 0 bytes/workgroup (compile time only)
; SGPRBlocks: 0
; VGPRBlocks: 0
; NumSGPRsForWavesPerEU: 6
; NumVGPRsForWavesPerEU: 1
; AccumOffset: 4
; Occupancy: 8
; WaveLimiterHint : 0
; COMPUTE_PGM_RSRC2:SCRATCH_EN: 0
; COMPUTE_PGM_RSRC2:USER_SGPR: 2
; COMPUTE_PGM_RSRC2:TRAP_HANDLER: 0
; COMPUTE_PGM_RSRC2:TGID_X_EN: 1
; COMPUTE_PGM_RSRC2:TGID_Y_EN: 0
; COMPUTE_PGM_RSRC2:TGID_Z_EN: 0
; COMPUTE_PGM_RSRC2:TIDIG_COMP_CNT: 0
; COMPUTE_PGM_RSRC3_GFX90A:ACCUM_OFFSET: 0
; COMPUTE_PGM_RSRC3_GFX90A:TG_SPLIT: 0
	.section	.text._ZN7rocprim17ROCPRIM_400000_NS6detail17trampoline_kernelINS0_14default_configENS1_25partition_config_selectorILNS1_17partition_subalgoE5ElNS0_10empty_typeEbEEZZNS1_14partition_implILS5_5ELb0ES3_mN6hipcub16HIPCUB_304000_NS21CountingInputIteratorIllEEPS6_NSA_22TransformInputIteratorIb7NonZeroIaEPalEENS0_5tupleIJPlS6_EEENSJ_IJSD_SD_EEES6_SK_JS6_EEE10hipError_tPvRmT3_T4_T5_T6_T7_T9_mT8_P12ihipStream_tbDpT10_ENKUlT_T0_E_clISt17integral_constantIbLb0EES15_IbLb1EEEEDaS11_S12_EUlS11_E_NS1_11comp_targetILNS1_3genE3ELNS1_11target_archE908ELNS1_3gpuE7ELNS1_3repE0EEENS1_30default_config_static_selectorELNS0_4arch9wavefront6targetE1EEEvT1_,"axG",@progbits,_ZN7rocprim17ROCPRIM_400000_NS6detail17trampoline_kernelINS0_14default_configENS1_25partition_config_selectorILNS1_17partition_subalgoE5ElNS0_10empty_typeEbEEZZNS1_14partition_implILS5_5ELb0ES3_mN6hipcub16HIPCUB_304000_NS21CountingInputIteratorIllEEPS6_NSA_22TransformInputIteratorIb7NonZeroIaEPalEENS0_5tupleIJPlS6_EEENSJ_IJSD_SD_EEES6_SK_JS6_EEE10hipError_tPvRmT3_T4_T5_T6_T7_T9_mT8_P12ihipStream_tbDpT10_ENKUlT_T0_E_clISt17integral_constantIbLb0EES15_IbLb1EEEEDaS11_S12_EUlS11_E_NS1_11comp_targetILNS1_3genE3ELNS1_11target_archE908ELNS1_3gpuE7ELNS1_3repE0EEENS1_30default_config_static_selectorELNS0_4arch9wavefront6targetE1EEEvT1_,comdat
	.protected	_ZN7rocprim17ROCPRIM_400000_NS6detail17trampoline_kernelINS0_14default_configENS1_25partition_config_selectorILNS1_17partition_subalgoE5ElNS0_10empty_typeEbEEZZNS1_14partition_implILS5_5ELb0ES3_mN6hipcub16HIPCUB_304000_NS21CountingInputIteratorIllEEPS6_NSA_22TransformInputIteratorIb7NonZeroIaEPalEENS0_5tupleIJPlS6_EEENSJ_IJSD_SD_EEES6_SK_JS6_EEE10hipError_tPvRmT3_T4_T5_T6_T7_T9_mT8_P12ihipStream_tbDpT10_ENKUlT_T0_E_clISt17integral_constantIbLb0EES15_IbLb1EEEEDaS11_S12_EUlS11_E_NS1_11comp_targetILNS1_3genE3ELNS1_11target_archE908ELNS1_3gpuE7ELNS1_3repE0EEENS1_30default_config_static_selectorELNS0_4arch9wavefront6targetE1EEEvT1_ ; -- Begin function _ZN7rocprim17ROCPRIM_400000_NS6detail17trampoline_kernelINS0_14default_configENS1_25partition_config_selectorILNS1_17partition_subalgoE5ElNS0_10empty_typeEbEEZZNS1_14partition_implILS5_5ELb0ES3_mN6hipcub16HIPCUB_304000_NS21CountingInputIteratorIllEEPS6_NSA_22TransformInputIteratorIb7NonZeroIaEPalEENS0_5tupleIJPlS6_EEENSJ_IJSD_SD_EEES6_SK_JS6_EEE10hipError_tPvRmT3_T4_T5_T6_T7_T9_mT8_P12ihipStream_tbDpT10_ENKUlT_T0_E_clISt17integral_constantIbLb0EES15_IbLb1EEEEDaS11_S12_EUlS11_E_NS1_11comp_targetILNS1_3genE3ELNS1_11target_archE908ELNS1_3gpuE7ELNS1_3repE0EEENS1_30default_config_static_selectorELNS0_4arch9wavefront6targetE1EEEvT1_
	.globl	_ZN7rocprim17ROCPRIM_400000_NS6detail17trampoline_kernelINS0_14default_configENS1_25partition_config_selectorILNS1_17partition_subalgoE5ElNS0_10empty_typeEbEEZZNS1_14partition_implILS5_5ELb0ES3_mN6hipcub16HIPCUB_304000_NS21CountingInputIteratorIllEEPS6_NSA_22TransformInputIteratorIb7NonZeroIaEPalEENS0_5tupleIJPlS6_EEENSJ_IJSD_SD_EEES6_SK_JS6_EEE10hipError_tPvRmT3_T4_T5_T6_T7_T9_mT8_P12ihipStream_tbDpT10_ENKUlT_T0_E_clISt17integral_constantIbLb0EES15_IbLb1EEEEDaS11_S12_EUlS11_E_NS1_11comp_targetILNS1_3genE3ELNS1_11target_archE908ELNS1_3gpuE7ELNS1_3repE0EEENS1_30default_config_static_selectorELNS0_4arch9wavefront6targetE1EEEvT1_
	.p2align	8
	.type	_ZN7rocprim17ROCPRIM_400000_NS6detail17trampoline_kernelINS0_14default_configENS1_25partition_config_selectorILNS1_17partition_subalgoE5ElNS0_10empty_typeEbEEZZNS1_14partition_implILS5_5ELb0ES3_mN6hipcub16HIPCUB_304000_NS21CountingInputIteratorIllEEPS6_NSA_22TransformInputIteratorIb7NonZeroIaEPalEENS0_5tupleIJPlS6_EEENSJ_IJSD_SD_EEES6_SK_JS6_EEE10hipError_tPvRmT3_T4_T5_T6_T7_T9_mT8_P12ihipStream_tbDpT10_ENKUlT_T0_E_clISt17integral_constantIbLb0EES15_IbLb1EEEEDaS11_S12_EUlS11_E_NS1_11comp_targetILNS1_3genE3ELNS1_11target_archE908ELNS1_3gpuE7ELNS1_3repE0EEENS1_30default_config_static_selectorELNS0_4arch9wavefront6targetE1EEEvT1_,@function
_ZN7rocprim17ROCPRIM_400000_NS6detail17trampoline_kernelINS0_14default_configENS1_25partition_config_selectorILNS1_17partition_subalgoE5ElNS0_10empty_typeEbEEZZNS1_14partition_implILS5_5ELb0ES3_mN6hipcub16HIPCUB_304000_NS21CountingInputIteratorIllEEPS6_NSA_22TransformInputIteratorIb7NonZeroIaEPalEENS0_5tupleIJPlS6_EEENSJ_IJSD_SD_EEES6_SK_JS6_EEE10hipError_tPvRmT3_T4_T5_T6_T7_T9_mT8_P12ihipStream_tbDpT10_ENKUlT_T0_E_clISt17integral_constantIbLb0EES15_IbLb1EEEEDaS11_S12_EUlS11_E_NS1_11comp_targetILNS1_3genE3ELNS1_11target_archE908ELNS1_3gpuE7ELNS1_3repE0EEENS1_30default_config_static_selectorELNS0_4arch9wavefront6targetE1EEEvT1_: ; @_ZN7rocprim17ROCPRIM_400000_NS6detail17trampoline_kernelINS0_14default_configENS1_25partition_config_selectorILNS1_17partition_subalgoE5ElNS0_10empty_typeEbEEZZNS1_14partition_implILS5_5ELb0ES3_mN6hipcub16HIPCUB_304000_NS21CountingInputIteratorIllEEPS6_NSA_22TransformInputIteratorIb7NonZeroIaEPalEENS0_5tupleIJPlS6_EEENSJ_IJSD_SD_EEES6_SK_JS6_EEE10hipError_tPvRmT3_T4_T5_T6_T7_T9_mT8_P12ihipStream_tbDpT10_ENKUlT_T0_E_clISt17integral_constantIbLb0EES15_IbLb1EEEEDaS11_S12_EUlS11_E_NS1_11comp_targetILNS1_3genE3ELNS1_11target_archE908ELNS1_3gpuE7ELNS1_3repE0EEENS1_30default_config_static_selectorELNS0_4arch9wavefront6targetE1EEEvT1_
; %bb.0:
	.section	.rodata,"a",@progbits
	.p2align	6, 0x0
	.amdhsa_kernel _ZN7rocprim17ROCPRIM_400000_NS6detail17trampoline_kernelINS0_14default_configENS1_25partition_config_selectorILNS1_17partition_subalgoE5ElNS0_10empty_typeEbEEZZNS1_14partition_implILS5_5ELb0ES3_mN6hipcub16HIPCUB_304000_NS21CountingInputIteratorIllEEPS6_NSA_22TransformInputIteratorIb7NonZeroIaEPalEENS0_5tupleIJPlS6_EEENSJ_IJSD_SD_EEES6_SK_JS6_EEE10hipError_tPvRmT3_T4_T5_T6_T7_T9_mT8_P12ihipStream_tbDpT10_ENKUlT_T0_E_clISt17integral_constantIbLb0EES15_IbLb1EEEEDaS11_S12_EUlS11_E_NS1_11comp_targetILNS1_3genE3ELNS1_11target_archE908ELNS1_3gpuE7ELNS1_3repE0EEENS1_30default_config_static_selectorELNS0_4arch9wavefront6targetE1EEEvT1_
		.amdhsa_group_segment_fixed_size 0
		.amdhsa_private_segment_fixed_size 0
		.amdhsa_kernarg_size 136
		.amdhsa_user_sgpr_count 2
		.amdhsa_user_sgpr_dispatch_ptr 0
		.amdhsa_user_sgpr_queue_ptr 0
		.amdhsa_user_sgpr_kernarg_segment_ptr 1
		.amdhsa_user_sgpr_dispatch_id 0
		.amdhsa_user_sgpr_kernarg_preload_length 0
		.amdhsa_user_sgpr_kernarg_preload_offset 0
		.amdhsa_user_sgpr_private_segment_size 0
		.amdhsa_uses_dynamic_stack 0
		.amdhsa_enable_private_segment 0
		.amdhsa_system_sgpr_workgroup_id_x 1
		.amdhsa_system_sgpr_workgroup_id_y 0
		.amdhsa_system_sgpr_workgroup_id_z 0
		.amdhsa_system_sgpr_workgroup_info 0
		.amdhsa_system_vgpr_workitem_id 0
		.amdhsa_next_free_vgpr 1
		.amdhsa_next_free_sgpr 0
		.amdhsa_accum_offset 4
		.amdhsa_reserve_vcc 0
		.amdhsa_float_round_mode_32 0
		.amdhsa_float_round_mode_16_64 0
		.amdhsa_float_denorm_mode_32 3
		.amdhsa_float_denorm_mode_16_64 3
		.amdhsa_dx10_clamp 1
		.amdhsa_ieee_mode 1
		.amdhsa_fp16_overflow 0
		.amdhsa_tg_split 0
		.amdhsa_exception_fp_ieee_invalid_op 0
		.amdhsa_exception_fp_denorm_src 0
		.amdhsa_exception_fp_ieee_div_zero 0
		.amdhsa_exception_fp_ieee_overflow 0
		.amdhsa_exception_fp_ieee_underflow 0
		.amdhsa_exception_fp_ieee_inexact 0
		.amdhsa_exception_int_div_zero 0
	.end_amdhsa_kernel
	.section	.text._ZN7rocprim17ROCPRIM_400000_NS6detail17trampoline_kernelINS0_14default_configENS1_25partition_config_selectorILNS1_17partition_subalgoE5ElNS0_10empty_typeEbEEZZNS1_14partition_implILS5_5ELb0ES3_mN6hipcub16HIPCUB_304000_NS21CountingInputIteratorIllEEPS6_NSA_22TransformInputIteratorIb7NonZeroIaEPalEENS0_5tupleIJPlS6_EEENSJ_IJSD_SD_EEES6_SK_JS6_EEE10hipError_tPvRmT3_T4_T5_T6_T7_T9_mT8_P12ihipStream_tbDpT10_ENKUlT_T0_E_clISt17integral_constantIbLb0EES15_IbLb1EEEEDaS11_S12_EUlS11_E_NS1_11comp_targetILNS1_3genE3ELNS1_11target_archE908ELNS1_3gpuE7ELNS1_3repE0EEENS1_30default_config_static_selectorELNS0_4arch9wavefront6targetE1EEEvT1_,"axG",@progbits,_ZN7rocprim17ROCPRIM_400000_NS6detail17trampoline_kernelINS0_14default_configENS1_25partition_config_selectorILNS1_17partition_subalgoE5ElNS0_10empty_typeEbEEZZNS1_14partition_implILS5_5ELb0ES3_mN6hipcub16HIPCUB_304000_NS21CountingInputIteratorIllEEPS6_NSA_22TransformInputIteratorIb7NonZeroIaEPalEENS0_5tupleIJPlS6_EEENSJ_IJSD_SD_EEES6_SK_JS6_EEE10hipError_tPvRmT3_T4_T5_T6_T7_T9_mT8_P12ihipStream_tbDpT10_ENKUlT_T0_E_clISt17integral_constantIbLb0EES15_IbLb1EEEEDaS11_S12_EUlS11_E_NS1_11comp_targetILNS1_3genE3ELNS1_11target_archE908ELNS1_3gpuE7ELNS1_3repE0EEENS1_30default_config_static_selectorELNS0_4arch9wavefront6targetE1EEEvT1_,comdat
.Lfunc_end75:
	.size	_ZN7rocprim17ROCPRIM_400000_NS6detail17trampoline_kernelINS0_14default_configENS1_25partition_config_selectorILNS1_17partition_subalgoE5ElNS0_10empty_typeEbEEZZNS1_14partition_implILS5_5ELb0ES3_mN6hipcub16HIPCUB_304000_NS21CountingInputIteratorIllEEPS6_NSA_22TransformInputIteratorIb7NonZeroIaEPalEENS0_5tupleIJPlS6_EEENSJ_IJSD_SD_EEES6_SK_JS6_EEE10hipError_tPvRmT3_T4_T5_T6_T7_T9_mT8_P12ihipStream_tbDpT10_ENKUlT_T0_E_clISt17integral_constantIbLb0EES15_IbLb1EEEEDaS11_S12_EUlS11_E_NS1_11comp_targetILNS1_3genE3ELNS1_11target_archE908ELNS1_3gpuE7ELNS1_3repE0EEENS1_30default_config_static_selectorELNS0_4arch9wavefront6targetE1EEEvT1_, .Lfunc_end75-_ZN7rocprim17ROCPRIM_400000_NS6detail17trampoline_kernelINS0_14default_configENS1_25partition_config_selectorILNS1_17partition_subalgoE5ElNS0_10empty_typeEbEEZZNS1_14partition_implILS5_5ELb0ES3_mN6hipcub16HIPCUB_304000_NS21CountingInputIteratorIllEEPS6_NSA_22TransformInputIteratorIb7NonZeroIaEPalEENS0_5tupleIJPlS6_EEENSJ_IJSD_SD_EEES6_SK_JS6_EEE10hipError_tPvRmT3_T4_T5_T6_T7_T9_mT8_P12ihipStream_tbDpT10_ENKUlT_T0_E_clISt17integral_constantIbLb0EES15_IbLb1EEEEDaS11_S12_EUlS11_E_NS1_11comp_targetILNS1_3genE3ELNS1_11target_archE908ELNS1_3gpuE7ELNS1_3repE0EEENS1_30default_config_static_selectorELNS0_4arch9wavefront6targetE1EEEvT1_
                                        ; -- End function
	.set _ZN7rocprim17ROCPRIM_400000_NS6detail17trampoline_kernelINS0_14default_configENS1_25partition_config_selectorILNS1_17partition_subalgoE5ElNS0_10empty_typeEbEEZZNS1_14partition_implILS5_5ELb0ES3_mN6hipcub16HIPCUB_304000_NS21CountingInputIteratorIllEEPS6_NSA_22TransformInputIteratorIb7NonZeroIaEPalEENS0_5tupleIJPlS6_EEENSJ_IJSD_SD_EEES6_SK_JS6_EEE10hipError_tPvRmT3_T4_T5_T6_T7_T9_mT8_P12ihipStream_tbDpT10_ENKUlT_T0_E_clISt17integral_constantIbLb0EES15_IbLb1EEEEDaS11_S12_EUlS11_E_NS1_11comp_targetILNS1_3genE3ELNS1_11target_archE908ELNS1_3gpuE7ELNS1_3repE0EEENS1_30default_config_static_selectorELNS0_4arch9wavefront6targetE1EEEvT1_.num_vgpr, 0
	.set _ZN7rocprim17ROCPRIM_400000_NS6detail17trampoline_kernelINS0_14default_configENS1_25partition_config_selectorILNS1_17partition_subalgoE5ElNS0_10empty_typeEbEEZZNS1_14partition_implILS5_5ELb0ES3_mN6hipcub16HIPCUB_304000_NS21CountingInputIteratorIllEEPS6_NSA_22TransformInputIteratorIb7NonZeroIaEPalEENS0_5tupleIJPlS6_EEENSJ_IJSD_SD_EEES6_SK_JS6_EEE10hipError_tPvRmT3_T4_T5_T6_T7_T9_mT8_P12ihipStream_tbDpT10_ENKUlT_T0_E_clISt17integral_constantIbLb0EES15_IbLb1EEEEDaS11_S12_EUlS11_E_NS1_11comp_targetILNS1_3genE3ELNS1_11target_archE908ELNS1_3gpuE7ELNS1_3repE0EEENS1_30default_config_static_selectorELNS0_4arch9wavefront6targetE1EEEvT1_.num_agpr, 0
	.set _ZN7rocprim17ROCPRIM_400000_NS6detail17trampoline_kernelINS0_14default_configENS1_25partition_config_selectorILNS1_17partition_subalgoE5ElNS0_10empty_typeEbEEZZNS1_14partition_implILS5_5ELb0ES3_mN6hipcub16HIPCUB_304000_NS21CountingInputIteratorIllEEPS6_NSA_22TransformInputIteratorIb7NonZeroIaEPalEENS0_5tupleIJPlS6_EEENSJ_IJSD_SD_EEES6_SK_JS6_EEE10hipError_tPvRmT3_T4_T5_T6_T7_T9_mT8_P12ihipStream_tbDpT10_ENKUlT_T0_E_clISt17integral_constantIbLb0EES15_IbLb1EEEEDaS11_S12_EUlS11_E_NS1_11comp_targetILNS1_3genE3ELNS1_11target_archE908ELNS1_3gpuE7ELNS1_3repE0EEENS1_30default_config_static_selectorELNS0_4arch9wavefront6targetE1EEEvT1_.numbered_sgpr, 0
	.set _ZN7rocprim17ROCPRIM_400000_NS6detail17trampoline_kernelINS0_14default_configENS1_25partition_config_selectorILNS1_17partition_subalgoE5ElNS0_10empty_typeEbEEZZNS1_14partition_implILS5_5ELb0ES3_mN6hipcub16HIPCUB_304000_NS21CountingInputIteratorIllEEPS6_NSA_22TransformInputIteratorIb7NonZeroIaEPalEENS0_5tupleIJPlS6_EEENSJ_IJSD_SD_EEES6_SK_JS6_EEE10hipError_tPvRmT3_T4_T5_T6_T7_T9_mT8_P12ihipStream_tbDpT10_ENKUlT_T0_E_clISt17integral_constantIbLb0EES15_IbLb1EEEEDaS11_S12_EUlS11_E_NS1_11comp_targetILNS1_3genE3ELNS1_11target_archE908ELNS1_3gpuE7ELNS1_3repE0EEENS1_30default_config_static_selectorELNS0_4arch9wavefront6targetE1EEEvT1_.num_named_barrier, 0
	.set _ZN7rocprim17ROCPRIM_400000_NS6detail17trampoline_kernelINS0_14default_configENS1_25partition_config_selectorILNS1_17partition_subalgoE5ElNS0_10empty_typeEbEEZZNS1_14partition_implILS5_5ELb0ES3_mN6hipcub16HIPCUB_304000_NS21CountingInputIteratorIllEEPS6_NSA_22TransformInputIteratorIb7NonZeroIaEPalEENS0_5tupleIJPlS6_EEENSJ_IJSD_SD_EEES6_SK_JS6_EEE10hipError_tPvRmT3_T4_T5_T6_T7_T9_mT8_P12ihipStream_tbDpT10_ENKUlT_T0_E_clISt17integral_constantIbLb0EES15_IbLb1EEEEDaS11_S12_EUlS11_E_NS1_11comp_targetILNS1_3genE3ELNS1_11target_archE908ELNS1_3gpuE7ELNS1_3repE0EEENS1_30default_config_static_selectorELNS0_4arch9wavefront6targetE1EEEvT1_.private_seg_size, 0
	.set _ZN7rocprim17ROCPRIM_400000_NS6detail17trampoline_kernelINS0_14default_configENS1_25partition_config_selectorILNS1_17partition_subalgoE5ElNS0_10empty_typeEbEEZZNS1_14partition_implILS5_5ELb0ES3_mN6hipcub16HIPCUB_304000_NS21CountingInputIteratorIllEEPS6_NSA_22TransformInputIteratorIb7NonZeroIaEPalEENS0_5tupleIJPlS6_EEENSJ_IJSD_SD_EEES6_SK_JS6_EEE10hipError_tPvRmT3_T4_T5_T6_T7_T9_mT8_P12ihipStream_tbDpT10_ENKUlT_T0_E_clISt17integral_constantIbLb0EES15_IbLb1EEEEDaS11_S12_EUlS11_E_NS1_11comp_targetILNS1_3genE3ELNS1_11target_archE908ELNS1_3gpuE7ELNS1_3repE0EEENS1_30default_config_static_selectorELNS0_4arch9wavefront6targetE1EEEvT1_.uses_vcc, 0
	.set _ZN7rocprim17ROCPRIM_400000_NS6detail17trampoline_kernelINS0_14default_configENS1_25partition_config_selectorILNS1_17partition_subalgoE5ElNS0_10empty_typeEbEEZZNS1_14partition_implILS5_5ELb0ES3_mN6hipcub16HIPCUB_304000_NS21CountingInputIteratorIllEEPS6_NSA_22TransformInputIteratorIb7NonZeroIaEPalEENS0_5tupleIJPlS6_EEENSJ_IJSD_SD_EEES6_SK_JS6_EEE10hipError_tPvRmT3_T4_T5_T6_T7_T9_mT8_P12ihipStream_tbDpT10_ENKUlT_T0_E_clISt17integral_constantIbLb0EES15_IbLb1EEEEDaS11_S12_EUlS11_E_NS1_11comp_targetILNS1_3genE3ELNS1_11target_archE908ELNS1_3gpuE7ELNS1_3repE0EEENS1_30default_config_static_selectorELNS0_4arch9wavefront6targetE1EEEvT1_.uses_flat_scratch, 0
	.set _ZN7rocprim17ROCPRIM_400000_NS6detail17trampoline_kernelINS0_14default_configENS1_25partition_config_selectorILNS1_17partition_subalgoE5ElNS0_10empty_typeEbEEZZNS1_14partition_implILS5_5ELb0ES3_mN6hipcub16HIPCUB_304000_NS21CountingInputIteratorIllEEPS6_NSA_22TransformInputIteratorIb7NonZeroIaEPalEENS0_5tupleIJPlS6_EEENSJ_IJSD_SD_EEES6_SK_JS6_EEE10hipError_tPvRmT3_T4_T5_T6_T7_T9_mT8_P12ihipStream_tbDpT10_ENKUlT_T0_E_clISt17integral_constantIbLb0EES15_IbLb1EEEEDaS11_S12_EUlS11_E_NS1_11comp_targetILNS1_3genE3ELNS1_11target_archE908ELNS1_3gpuE7ELNS1_3repE0EEENS1_30default_config_static_selectorELNS0_4arch9wavefront6targetE1EEEvT1_.has_dyn_sized_stack, 0
	.set _ZN7rocprim17ROCPRIM_400000_NS6detail17trampoline_kernelINS0_14default_configENS1_25partition_config_selectorILNS1_17partition_subalgoE5ElNS0_10empty_typeEbEEZZNS1_14partition_implILS5_5ELb0ES3_mN6hipcub16HIPCUB_304000_NS21CountingInputIteratorIllEEPS6_NSA_22TransformInputIteratorIb7NonZeroIaEPalEENS0_5tupleIJPlS6_EEENSJ_IJSD_SD_EEES6_SK_JS6_EEE10hipError_tPvRmT3_T4_T5_T6_T7_T9_mT8_P12ihipStream_tbDpT10_ENKUlT_T0_E_clISt17integral_constantIbLb0EES15_IbLb1EEEEDaS11_S12_EUlS11_E_NS1_11comp_targetILNS1_3genE3ELNS1_11target_archE908ELNS1_3gpuE7ELNS1_3repE0EEENS1_30default_config_static_selectorELNS0_4arch9wavefront6targetE1EEEvT1_.has_recursion, 0
	.set _ZN7rocprim17ROCPRIM_400000_NS6detail17trampoline_kernelINS0_14default_configENS1_25partition_config_selectorILNS1_17partition_subalgoE5ElNS0_10empty_typeEbEEZZNS1_14partition_implILS5_5ELb0ES3_mN6hipcub16HIPCUB_304000_NS21CountingInputIteratorIllEEPS6_NSA_22TransformInputIteratorIb7NonZeroIaEPalEENS0_5tupleIJPlS6_EEENSJ_IJSD_SD_EEES6_SK_JS6_EEE10hipError_tPvRmT3_T4_T5_T6_T7_T9_mT8_P12ihipStream_tbDpT10_ENKUlT_T0_E_clISt17integral_constantIbLb0EES15_IbLb1EEEEDaS11_S12_EUlS11_E_NS1_11comp_targetILNS1_3genE3ELNS1_11target_archE908ELNS1_3gpuE7ELNS1_3repE0EEENS1_30default_config_static_selectorELNS0_4arch9wavefront6targetE1EEEvT1_.has_indirect_call, 0
	.section	.AMDGPU.csdata,"",@progbits
; Kernel info:
; codeLenInByte = 0
; TotalNumSgprs: 6
; NumVgprs: 0
; NumAgprs: 0
; TotalNumVgprs: 0
; ScratchSize: 0
; MemoryBound: 0
; FloatMode: 240
; IeeeMode: 1
; LDSByteSize: 0 bytes/workgroup (compile time only)
; SGPRBlocks: 0
; VGPRBlocks: 0
; NumSGPRsForWavesPerEU: 6
; NumVGPRsForWavesPerEU: 1
; AccumOffset: 4
; Occupancy: 8
; WaveLimiterHint : 0
; COMPUTE_PGM_RSRC2:SCRATCH_EN: 0
; COMPUTE_PGM_RSRC2:USER_SGPR: 2
; COMPUTE_PGM_RSRC2:TRAP_HANDLER: 0
; COMPUTE_PGM_RSRC2:TGID_X_EN: 1
; COMPUTE_PGM_RSRC2:TGID_Y_EN: 0
; COMPUTE_PGM_RSRC2:TGID_Z_EN: 0
; COMPUTE_PGM_RSRC2:TIDIG_COMP_CNT: 0
; COMPUTE_PGM_RSRC3_GFX90A:ACCUM_OFFSET: 0
; COMPUTE_PGM_RSRC3_GFX90A:TG_SPLIT: 0
	.section	.text._ZN7rocprim17ROCPRIM_400000_NS6detail17trampoline_kernelINS0_14default_configENS1_25partition_config_selectorILNS1_17partition_subalgoE5ElNS0_10empty_typeEbEEZZNS1_14partition_implILS5_5ELb0ES3_mN6hipcub16HIPCUB_304000_NS21CountingInputIteratorIllEEPS6_NSA_22TransformInputIteratorIb7NonZeroIaEPalEENS0_5tupleIJPlS6_EEENSJ_IJSD_SD_EEES6_SK_JS6_EEE10hipError_tPvRmT3_T4_T5_T6_T7_T9_mT8_P12ihipStream_tbDpT10_ENKUlT_T0_E_clISt17integral_constantIbLb0EES15_IbLb1EEEEDaS11_S12_EUlS11_E_NS1_11comp_targetILNS1_3genE2ELNS1_11target_archE906ELNS1_3gpuE6ELNS1_3repE0EEENS1_30default_config_static_selectorELNS0_4arch9wavefront6targetE1EEEvT1_,"axG",@progbits,_ZN7rocprim17ROCPRIM_400000_NS6detail17trampoline_kernelINS0_14default_configENS1_25partition_config_selectorILNS1_17partition_subalgoE5ElNS0_10empty_typeEbEEZZNS1_14partition_implILS5_5ELb0ES3_mN6hipcub16HIPCUB_304000_NS21CountingInputIteratorIllEEPS6_NSA_22TransformInputIteratorIb7NonZeroIaEPalEENS0_5tupleIJPlS6_EEENSJ_IJSD_SD_EEES6_SK_JS6_EEE10hipError_tPvRmT3_T4_T5_T6_T7_T9_mT8_P12ihipStream_tbDpT10_ENKUlT_T0_E_clISt17integral_constantIbLb0EES15_IbLb1EEEEDaS11_S12_EUlS11_E_NS1_11comp_targetILNS1_3genE2ELNS1_11target_archE906ELNS1_3gpuE6ELNS1_3repE0EEENS1_30default_config_static_selectorELNS0_4arch9wavefront6targetE1EEEvT1_,comdat
	.protected	_ZN7rocprim17ROCPRIM_400000_NS6detail17trampoline_kernelINS0_14default_configENS1_25partition_config_selectorILNS1_17partition_subalgoE5ElNS0_10empty_typeEbEEZZNS1_14partition_implILS5_5ELb0ES3_mN6hipcub16HIPCUB_304000_NS21CountingInputIteratorIllEEPS6_NSA_22TransformInputIteratorIb7NonZeroIaEPalEENS0_5tupleIJPlS6_EEENSJ_IJSD_SD_EEES6_SK_JS6_EEE10hipError_tPvRmT3_T4_T5_T6_T7_T9_mT8_P12ihipStream_tbDpT10_ENKUlT_T0_E_clISt17integral_constantIbLb0EES15_IbLb1EEEEDaS11_S12_EUlS11_E_NS1_11comp_targetILNS1_3genE2ELNS1_11target_archE906ELNS1_3gpuE6ELNS1_3repE0EEENS1_30default_config_static_selectorELNS0_4arch9wavefront6targetE1EEEvT1_ ; -- Begin function _ZN7rocprim17ROCPRIM_400000_NS6detail17trampoline_kernelINS0_14default_configENS1_25partition_config_selectorILNS1_17partition_subalgoE5ElNS0_10empty_typeEbEEZZNS1_14partition_implILS5_5ELb0ES3_mN6hipcub16HIPCUB_304000_NS21CountingInputIteratorIllEEPS6_NSA_22TransformInputIteratorIb7NonZeroIaEPalEENS0_5tupleIJPlS6_EEENSJ_IJSD_SD_EEES6_SK_JS6_EEE10hipError_tPvRmT3_T4_T5_T6_T7_T9_mT8_P12ihipStream_tbDpT10_ENKUlT_T0_E_clISt17integral_constantIbLb0EES15_IbLb1EEEEDaS11_S12_EUlS11_E_NS1_11comp_targetILNS1_3genE2ELNS1_11target_archE906ELNS1_3gpuE6ELNS1_3repE0EEENS1_30default_config_static_selectorELNS0_4arch9wavefront6targetE1EEEvT1_
	.globl	_ZN7rocprim17ROCPRIM_400000_NS6detail17trampoline_kernelINS0_14default_configENS1_25partition_config_selectorILNS1_17partition_subalgoE5ElNS0_10empty_typeEbEEZZNS1_14partition_implILS5_5ELb0ES3_mN6hipcub16HIPCUB_304000_NS21CountingInputIteratorIllEEPS6_NSA_22TransformInputIteratorIb7NonZeroIaEPalEENS0_5tupleIJPlS6_EEENSJ_IJSD_SD_EEES6_SK_JS6_EEE10hipError_tPvRmT3_T4_T5_T6_T7_T9_mT8_P12ihipStream_tbDpT10_ENKUlT_T0_E_clISt17integral_constantIbLb0EES15_IbLb1EEEEDaS11_S12_EUlS11_E_NS1_11comp_targetILNS1_3genE2ELNS1_11target_archE906ELNS1_3gpuE6ELNS1_3repE0EEENS1_30default_config_static_selectorELNS0_4arch9wavefront6targetE1EEEvT1_
	.p2align	8
	.type	_ZN7rocprim17ROCPRIM_400000_NS6detail17trampoline_kernelINS0_14default_configENS1_25partition_config_selectorILNS1_17partition_subalgoE5ElNS0_10empty_typeEbEEZZNS1_14partition_implILS5_5ELb0ES3_mN6hipcub16HIPCUB_304000_NS21CountingInputIteratorIllEEPS6_NSA_22TransformInputIteratorIb7NonZeroIaEPalEENS0_5tupleIJPlS6_EEENSJ_IJSD_SD_EEES6_SK_JS6_EEE10hipError_tPvRmT3_T4_T5_T6_T7_T9_mT8_P12ihipStream_tbDpT10_ENKUlT_T0_E_clISt17integral_constantIbLb0EES15_IbLb1EEEEDaS11_S12_EUlS11_E_NS1_11comp_targetILNS1_3genE2ELNS1_11target_archE906ELNS1_3gpuE6ELNS1_3repE0EEENS1_30default_config_static_selectorELNS0_4arch9wavefront6targetE1EEEvT1_,@function
_ZN7rocprim17ROCPRIM_400000_NS6detail17trampoline_kernelINS0_14default_configENS1_25partition_config_selectorILNS1_17partition_subalgoE5ElNS0_10empty_typeEbEEZZNS1_14partition_implILS5_5ELb0ES3_mN6hipcub16HIPCUB_304000_NS21CountingInputIteratorIllEEPS6_NSA_22TransformInputIteratorIb7NonZeroIaEPalEENS0_5tupleIJPlS6_EEENSJ_IJSD_SD_EEES6_SK_JS6_EEE10hipError_tPvRmT3_T4_T5_T6_T7_T9_mT8_P12ihipStream_tbDpT10_ENKUlT_T0_E_clISt17integral_constantIbLb0EES15_IbLb1EEEEDaS11_S12_EUlS11_E_NS1_11comp_targetILNS1_3genE2ELNS1_11target_archE906ELNS1_3gpuE6ELNS1_3repE0EEENS1_30default_config_static_selectorELNS0_4arch9wavefront6targetE1EEEvT1_: ; @_ZN7rocprim17ROCPRIM_400000_NS6detail17trampoline_kernelINS0_14default_configENS1_25partition_config_selectorILNS1_17partition_subalgoE5ElNS0_10empty_typeEbEEZZNS1_14partition_implILS5_5ELb0ES3_mN6hipcub16HIPCUB_304000_NS21CountingInputIteratorIllEEPS6_NSA_22TransformInputIteratorIb7NonZeroIaEPalEENS0_5tupleIJPlS6_EEENSJ_IJSD_SD_EEES6_SK_JS6_EEE10hipError_tPvRmT3_T4_T5_T6_T7_T9_mT8_P12ihipStream_tbDpT10_ENKUlT_T0_E_clISt17integral_constantIbLb0EES15_IbLb1EEEEDaS11_S12_EUlS11_E_NS1_11comp_targetILNS1_3genE2ELNS1_11target_archE906ELNS1_3gpuE6ELNS1_3repE0EEENS1_30default_config_static_selectorELNS0_4arch9wavefront6targetE1EEEvT1_
; %bb.0:
	.section	.rodata,"a",@progbits
	.p2align	6, 0x0
	.amdhsa_kernel _ZN7rocprim17ROCPRIM_400000_NS6detail17trampoline_kernelINS0_14default_configENS1_25partition_config_selectorILNS1_17partition_subalgoE5ElNS0_10empty_typeEbEEZZNS1_14partition_implILS5_5ELb0ES3_mN6hipcub16HIPCUB_304000_NS21CountingInputIteratorIllEEPS6_NSA_22TransformInputIteratorIb7NonZeroIaEPalEENS0_5tupleIJPlS6_EEENSJ_IJSD_SD_EEES6_SK_JS6_EEE10hipError_tPvRmT3_T4_T5_T6_T7_T9_mT8_P12ihipStream_tbDpT10_ENKUlT_T0_E_clISt17integral_constantIbLb0EES15_IbLb1EEEEDaS11_S12_EUlS11_E_NS1_11comp_targetILNS1_3genE2ELNS1_11target_archE906ELNS1_3gpuE6ELNS1_3repE0EEENS1_30default_config_static_selectorELNS0_4arch9wavefront6targetE1EEEvT1_
		.amdhsa_group_segment_fixed_size 0
		.amdhsa_private_segment_fixed_size 0
		.amdhsa_kernarg_size 136
		.amdhsa_user_sgpr_count 2
		.amdhsa_user_sgpr_dispatch_ptr 0
		.amdhsa_user_sgpr_queue_ptr 0
		.amdhsa_user_sgpr_kernarg_segment_ptr 1
		.amdhsa_user_sgpr_dispatch_id 0
		.amdhsa_user_sgpr_kernarg_preload_length 0
		.amdhsa_user_sgpr_kernarg_preload_offset 0
		.amdhsa_user_sgpr_private_segment_size 0
		.amdhsa_uses_dynamic_stack 0
		.amdhsa_enable_private_segment 0
		.amdhsa_system_sgpr_workgroup_id_x 1
		.amdhsa_system_sgpr_workgroup_id_y 0
		.amdhsa_system_sgpr_workgroup_id_z 0
		.amdhsa_system_sgpr_workgroup_info 0
		.amdhsa_system_vgpr_workitem_id 0
		.amdhsa_next_free_vgpr 1
		.amdhsa_next_free_sgpr 0
		.amdhsa_accum_offset 4
		.amdhsa_reserve_vcc 0
		.amdhsa_float_round_mode_32 0
		.amdhsa_float_round_mode_16_64 0
		.amdhsa_float_denorm_mode_32 3
		.amdhsa_float_denorm_mode_16_64 3
		.amdhsa_dx10_clamp 1
		.amdhsa_ieee_mode 1
		.amdhsa_fp16_overflow 0
		.amdhsa_tg_split 0
		.amdhsa_exception_fp_ieee_invalid_op 0
		.amdhsa_exception_fp_denorm_src 0
		.amdhsa_exception_fp_ieee_div_zero 0
		.amdhsa_exception_fp_ieee_overflow 0
		.amdhsa_exception_fp_ieee_underflow 0
		.amdhsa_exception_fp_ieee_inexact 0
		.amdhsa_exception_int_div_zero 0
	.end_amdhsa_kernel
	.section	.text._ZN7rocprim17ROCPRIM_400000_NS6detail17trampoline_kernelINS0_14default_configENS1_25partition_config_selectorILNS1_17partition_subalgoE5ElNS0_10empty_typeEbEEZZNS1_14partition_implILS5_5ELb0ES3_mN6hipcub16HIPCUB_304000_NS21CountingInputIteratorIllEEPS6_NSA_22TransformInputIteratorIb7NonZeroIaEPalEENS0_5tupleIJPlS6_EEENSJ_IJSD_SD_EEES6_SK_JS6_EEE10hipError_tPvRmT3_T4_T5_T6_T7_T9_mT8_P12ihipStream_tbDpT10_ENKUlT_T0_E_clISt17integral_constantIbLb0EES15_IbLb1EEEEDaS11_S12_EUlS11_E_NS1_11comp_targetILNS1_3genE2ELNS1_11target_archE906ELNS1_3gpuE6ELNS1_3repE0EEENS1_30default_config_static_selectorELNS0_4arch9wavefront6targetE1EEEvT1_,"axG",@progbits,_ZN7rocprim17ROCPRIM_400000_NS6detail17trampoline_kernelINS0_14default_configENS1_25partition_config_selectorILNS1_17partition_subalgoE5ElNS0_10empty_typeEbEEZZNS1_14partition_implILS5_5ELb0ES3_mN6hipcub16HIPCUB_304000_NS21CountingInputIteratorIllEEPS6_NSA_22TransformInputIteratorIb7NonZeroIaEPalEENS0_5tupleIJPlS6_EEENSJ_IJSD_SD_EEES6_SK_JS6_EEE10hipError_tPvRmT3_T4_T5_T6_T7_T9_mT8_P12ihipStream_tbDpT10_ENKUlT_T0_E_clISt17integral_constantIbLb0EES15_IbLb1EEEEDaS11_S12_EUlS11_E_NS1_11comp_targetILNS1_3genE2ELNS1_11target_archE906ELNS1_3gpuE6ELNS1_3repE0EEENS1_30default_config_static_selectorELNS0_4arch9wavefront6targetE1EEEvT1_,comdat
.Lfunc_end76:
	.size	_ZN7rocprim17ROCPRIM_400000_NS6detail17trampoline_kernelINS0_14default_configENS1_25partition_config_selectorILNS1_17partition_subalgoE5ElNS0_10empty_typeEbEEZZNS1_14partition_implILS5_5ELb0ES3_mN6hipcub16HIPCUB_304000_NS21CountingInputIteratorIllEEPS6_NSA_22TransformInputIteratorIb7NonZeroIaEPalEENS0_5tupleIJPlS6_EEENSJ_IJSD_SD_EEES6_SK_JS6_EEE10hipError_tPvRmT3_T4_T5_T6_T7_T9_mT8_P12ihipStream_tbDpT10_ENKUlT_T0_E_clISt17integral_constantIbLb0EES15_IbLb1EEEEDaS11_S12_EUlS11_E_NS1_11comp_targetILNS1_3genE2ELNS1_11target_archE906ELNS1_3gpuE6ELNS1_3repE0EEENS1_30default_config_static_selectorELNS0_4arch9wavefront6targetE1EEEvT1_, .Lfunc_end76-_ZN7rocprim17ROCPRIM_400000_NS6detail17trampoline_kernelINS0_14default_configENS1_25partition_config_selectorILNS1_17partition_subalgoE5ElNS0_10empty_typeEbEEZZNS1_14partition_implILS5_5ELb0ES3_mN6hipcub16HIPCUB_304000_NS21CountingInputIteratorIllEEPS6_NSA_22TransformInputIteratorIb7NonZeroIaEPalEENS0_5tupleIJPlS6_EEENSJ_IJSD_SD_EEES6_SK_JS6_EEE10hipError_tPvRmT3_T4_T5_T6_T7_T9_mT8_P12ihipStream_tbDpT10_ENKUlT_T0_E_clISt17integral_constantIbLb0EES15_IbLb1EEEEDaS11_S12_EUlS11_E_NS1_11comp_targetILNS1_3genE2ELNS1_11target_archE906ELNS1_3gpuE6ELNS1_3repE0EEENS1_30default_config_static_selectorELNS0_4arch9wavefront6targetE1EEEvT1_
                                        ; -- End function
	.set _ZN7rocprim17ROCPRIM_400000_NS6detail17trampoline_kernelINS0_14default_configENS1_25partition_config_selectorILNS1_17partition_subalgoE5ElNS0_10empty_typeEbEEZZNS1_14partition_implILS5_5ELb0ES3_mN6hipcub16HIPCUB_304000_NS21CountingInputIteratorIllEEPS6_NSA_22TransformInputIteratorIb7NonZeroIaEPalEENS0_5tupleIJPlS6_EEENSJ_IJSD_SD_EEES6_SK_JS6_EEE10hipError_tPvRmT3_T4_T5_T6_T7_T9_mT8_P12ihipStream_tbDpT10_ENKUlT_T0_E_clISt17integral_constantIbLb0EES15_IbLb1EEEEDaS11_S12_EUlS11_E_NS1_11comp_targetILNS1_3genE2ELNS1_11target_archE906ELNS1_3gpuE6ELNS1_3repE0EEENS1_30default_config_static_selectorELNS0_4arch9wavefront6targetE1EEEvT1_.num_vgpr, 0
	.set _ZN7rocprim17ROCPRIM_400000_NS6detail17trampoline_kernelINS0_14default_configENS1_25partition_config_selectorILNS1_17partition_subalgoE5ElNS0_10empty_typeEbEEZZNS1_14partition_implILS5_5ELb0ES3_mN6hipcub16HIPCUB_304000_NS21CountingInputIteratorIllEEPS6_NSA_22TransformInputIteratorIb7NonZeroIaEPalEENS0_5tupleIJPlS6_EEENSJ_IJSD_SD_EEES6_SK_JS6_EEE10hipError_tPvRmT3_T4_T5_T6_T7_T9_mT8_P12ihipStream_tbDpT10_ENKUlT_T0_E_clISt17integral_constantIbLb0EES15_IbLb1EEEEDaS11_S12_EUlS11_E_NS1_11comp_targetILNS1_3genE2ELNS1_11target_archE906ELNS1_3gpuE6ELNS1_3repE0EEENS1_30default_config_static_selectorELNS0_4arch9wavefront6targetE1EEEvT1_.num_agpr, 0
	.set _ZN7rocprim17ROCPRIM_400000_NS6detail17trampoline_kernelINS0_14default_configENS1_25partition_config_selectorILNS1_17partition_subalgoE5ElNS0_10empty_typeEbEEZZNS1_14partition_implILS5_5ELb0ES3_mN6hipcub16HIPCUB_304000_NS21CountingInputIteratorIllEEPS6_NSA_22TransformInputIteratorIb7NonZeroIaEPalEENS0_5tupleIJPlS6_EEENSJ_IJSD_SD_EEES6_SK_JS6_EEE10hipError_tPvRmT3_T4_T5_T6_T7_T9_mT8_P12ihipStream_tbDpT10_ENKUlT_T0_E_clISt17integral_constantIbLb0EES15_IbLb1EEEEDaS11_S12_EUlS11_E_NS1_11comp_targetILNS1_3genE2ELNS1_11target_archE906ELNS1_3gpuE6ELNS1_3repE0EEENS1_30default_config_static_selectorELNS0_4arch9wavefront6targetE1EEEvT1_.numbered_sgpr, 0
	.set _ZN7rocprim17ROCPRIM_400000_NS6detail17trampoline_kernelINS0_14default_configENS1_25partition_config_selectorILNS1_17partition_subalgoE5ElNS0_10empty_typeEbEEZZNS1_14partition_implILS5_5ELb0ES3_mN6hipcub16HIPCUB_304000_NS21CountingInputIteratorIllEEPS6_NSA_22TransformInputIteratorIb7NonZeroIaEPalEENS0_5tupleIJPlS6_EEENSJ_IJSD_SD_EEES6_SK_JS6_EEE10hipError_tPvRmT3_T4_T5_T6_T7_T9_mT8_P12ihipStream_tbDpT10_ENKUlT_T0_E_clISt17integral_constantIbLb0EES15_IbLb1EEEEDaS11_S12_EUlS11_E_NS1_11comp_targetILNS1_3genE2ELNS1_11target_archE906ELNS1_3gpuE6ELNS1_3repE0EEENS1_30default_config_static_selectorELNS0_4arch9wavefront6targetE1EEEvT1_.num_named_barrier, 0
	.set _ZN7rocprim17ROCPRIM_400000_NS6detail17trampoline_kernelINS0_14default_configENS1_25partition_config_selectorILNS1_17partition_subalgoE5ElNS0_10empty_typeEbEEZZNS1_14partition_implILS5_5ELb0ES3_mN6hipcub16HIPCUB_304000_NS21CountingInputIteratorIllEEPS6_NSA_22TransformInputIteratorIb7NonZeroIaEPalEENS0_5tupleIJPlS6_EEENSJ_IJSD_SD_EEES6_SK_JS6_EEE10hipError_tPvRmT3_T4_T5_T6_T7_T9_mT8_P12ihipStream_tbDpT10_ENKUlT_T0_E_clISt17integral_constantIbLb0EES15_IbLb1EEEEDaS11_S12_EUlS11_E_NS1_11comp_targetILNS1_3genE2ELNS1_11target_archE906ELNS1_3gpuE6ELNS1_3repE0EEENS1_30default_config_static_selectorELNS0_4arch9wavefront6targetE1EEEvT1_.private_seg_size, 0
	.set _ZN7rocprim17ROCPRIM_400000_NS6detail17trampoline_kernelINS0_14default_configENS1_25partition_config_selectorILNS1_17partition_subalgoE5ElNS0_10empty_typeEbEEZZNS1_14partition_implILS5_5ELb0ES3_mN6hipcub16HIPCUB_304000_NS21CountingInputIteratorIllEEPS6_NSA_22TransformInputIteratorIb7NonZeroIaEPalEENS0_5tupleIJPlS6_EEENSJ_IJSD_SD_EEES6_SK_JS6_EEE10hipError_tPvRmT3_T4_T5_T6_T7_T9_mT8_P12ihipStream_tbDpT10_ENKUlT_T0_E_clISt17integral_constantIbLb0EES15_IbLb1EEEEDaS11_S12_EUlS11_E_NS1_11comp_targetILNS1_3genE2ELNS1_11target_archE906ELNS1_3gpuE6ELNS1_3repE0EEENS1_30default_config_static_selectorELNS0_4arch9wavefront6targetE1EEEvT1_.uses_vcc, 0
	.set _ZN7rocprim17ROCPRIM_400000_NS6detail17trampoline_kernelINS0_14default_configENS1_25partition_config_selectorILNS1_17partition_subalgoE5ElNS0_10empty_typeEbEEZZNS1_14partition_implILS5_5ELb0ES3_mN6hipcub16HIPCUB_304000_NS21CountingInputIteratorIllEEPS6_NSA_22TransformInputIteratorIb7NonZeroIaEPalEENS0_5tupleIJPlS6_EEENSJ_IJSD_SD_EEES6_SK_JS6_EEE10hipError_tPvRmT3_T4_T5_T6_T7_T9_mT8_P12ihipStream_tbDpT10_ENKUlT_T0_E_clISt17integral_constantIbLb0EES15_IbLb1EEEEDaS11_S12_EUlS11_E_NS1_11comp_targetILNS1_3genE2ELNS1_11target_archE906ELNS1_3gpuE6ELNS1_3repE0EEENS1_30default_config_static_selectorELNS0_4arch9wavefront6targetE1EEEvT1_.uses_flat_scratch, 0
	.set _ZN7rocprim17ROCPRIM_400000_NS6detail17trampoline_kernelINS0_14default_configENS1_25partition_config_selectorILNS1_17partition_subalgoE5ElNS0_10empty_typeEbEEZZNS1_14partition_implILS5_5ELb0ES3_mN6hipcub16HIPCUB_304000_NS21CountingInputIteratorIllEEPS6_NSA_22TransformInputIteratorIb7NonZeroIaEPalEENS0_5tupleIJPlS6_EEENSJ_IJSD_SD_EEES6_SK_JS6_EEE10hipError_tPvRmT3_T4_T5_T6_T7_T9_mT8_P12ihipStream_tbDpT10_ENKUlT_T0_E_clISt17integral_constantIbLb0EES15_IbLb1EEEEDaS11_S12_EUlS11_E_NS1_11comp_targetILNS1_3genE2ELNS1_11target_archE906ELNS1_3gpuE6ELNS1_3repE0EEENS1_30default_config_static_selectorELNS0_4arch9wavefront6targetE1EEEvT1_.has_dyn_sized_stack, 0
	.set _ZN7rocprim17ROCPRIM_400000_NS6detail17trampoline_kernelINS0_14default_configENS1_25partition_config_selectorILNS1_17partition_subalgoE5ElNS0_10empty_typeEbEEZZNS1_14partition_implILS5_5ELb0ES3_mN6hipcub16HIPCUB_304000_NS21CountingInputIteratorIllEEPS6_NSA_22TransformInputIteratorIb7NonZeroIaEPalEENS0_5tupleIJPlS6_EEENSJ_IJSD_SD_EEES6_SK_JS6_EEE10hipError_tPvRmT3_T4_T5_T6_T7_T9_mT8_P12ihipStream_tbDpT10_ENKUlT_T0_E_clISt17integral_constantIbLb0EES15_IbLb1EEEEDaS11_S12_EUlS11_E_NS1_11comp_targetILNS1_3genE2ELNS1_11target_archE906ELNS1_3gpuE6ELNS1_3repE0EEENS1_30default_config_static_selectorELNS0_4arch9wavefront6targetE1EEEvT1_.has_recursion, 0
	.set _ZN7rocprim17ROCPRIM_400000_NS6detail17trampoline_kernelINS0_14default_configENS1_25partition_config_selectorILNS1_17partition_subalgoE5ElNS0_10empty_typeEbEEZZNS1_14partition_implILS5_5ELb0ES3_mN6hipcub16HIPCUB_304000_NS21CountingInputIteratorIllEEPS6_NSA_22TransformInputIteratorIb7NonZeroIaEPalEENS0_5tupleIJPlS6_EEENSJ_IJSD_SD_EEES6_SK_JS6_EEE10hipError_tPvRmT3_T4_T5_T6_T7_T9_mT8_P12ihipStream_tbDpT10_ENKUlT_T0_E_clISt17integral_constantIbLb0EES15_IbLb1EEEEDaS11_S12_EUlS11_E_NS1_11comp_targetILNS1_3genE2ELNS1_11target_archE906ELNS1_3gpuE6ELNS1_3repE0EEENS1_30default_config_static_selectorELNS0_4arch9wavefront6targetE1EEEvT1_.has_indirect_call, 0
	.section	.AMDGPU.csdata,"",@progbits
; Kernel info:
; codeLenInByte = 0
; TotalNumSgprs: 6
; NumVgprs: 0
; NumAgprs: 0
; TotalNumVgprs: 0
; ScratchSize: 0
; MemoryBound: 0
; FloatMode: 240
; IeeeMode: 1
; LDSByteSize: 0 bytes/workgroup (compile time only)
; SGPRBlocks: 0
; VGPRBlocks: 0
; NumSGPRsForWavesPerEU: 6
; NumVGPRsForWavesPerEU: 1
; AccumOffset: 4
; Occupancy: 8
; WaveLimiterHint : 0
; COMPUTE_PGM_RSRC2:SCRATCH_EN: 0
; COMPUTE_PGM_RSRC2:USER_SGPR: 2
; COMPUTE_PGM_RSRC2:TRAP_HANDLER: 0
; COMPUTE_PGM_RSRC2:TGID_X_EN: 1
; COMPUTE_PGM_RSRC2:TGID_Y_EN: 0
; COMPUTE_PGM_RSRC2:TGID_Z_EN: 0
; COMPUTE_PGM_RSRC2:TIDIG_COMP_CNT: 0
; COMPUTE_PGM_RSRC3_GFX90A:ACCUM_OFFSET: 0
; COMPUTE_PGM_RSRC3_GFX90A:TG_SPLIT: 0
	.section	.text._ZN7rocprim17ROCPRIM_400000_NS6detail17trampoline_kernelINS0_14default_configENS1_25partition_config_selectorILNS1_17partition_subalgoE5ElNS0_10empty_typeEbEEZZNS1_14partition_implILS5_5ELb0ES3_mN6hipcub16HIPCUB_304000_NS21CountingInputIteratorIllEEPS6_NSA_22TransformInputIteratorIb7NonZeroIaEPalEENS0_5tupleIJPlS6_EEENSJ_IJSD_SD_EEES6_SK_JS6_EEE10hipError_tPvRmT3_T4_T5_T6_T7_T9_mT8_P12ihipStream_tbDpT10_ENKUlT_T0_E_clISt17integral_constantIbLb0EES15_IbLb1EEEEDaS11_S12_EUlS11_E_NS1_11comp_targetILNS1_3genE10ELNS1_11target_archE1200ELNS1_3gpuE4ELNS1_3repE0EEENS1_30default_config_static_selectorELNS0_4arch9wavefront6targetE1EEEvT1_,"axG",@progbits,_ZN7rocprim17ROCPRIM_400000_NS6detail17trampoline_kernelINS0_14default_configENS1_25partition_config_selectorILNS1_17partition_subalgoE5ElNS0_10empty_typeEbEEZZNS1_14partition_implILS5_5ELb0ES3_mN6hipcub16HIPCUB_304000_NS21CountingInputIteratorIllEEPS6_NSA_22TransformInputIteratorIb7NonZeroIaEPalEENS0_5tupleIJPlS6_EEENSJ_IJSD_SD_EEES6_SK_JS6_EEE10hipError_tPvRmT3_T4_T5_T6_T7_T9_mT8_P12ihipStream_tbDpT10_ENKUlT_T0_E_clISt17integral_constantIbLb0EES15_IbLb1EEEEDaS11_S12_EUlS11_E_NS1_11comp_targetILNS1_3genE10ELNS1_11target_archE1200ELNS1_3gpuE4ELNS1_3repE0EEENS1_30default_config_static_selectorELNS0_4arch9wavefront6targetE1EEEvT1_,comdat
	.protected	_ZN7rocprim17ROCPRIM_400000_NS6detail17trampoline_kernelINS0_14default_configENS1_25partition_config_selectorILNS1_17partition_subalgoE5ElNS0_10empty_typeEbEEZZNS1_14partition_implILS5_5ELb0ES3_mN6hipcub16HIPCUB_304000_NS21CountingInputIteratorIllEEPS6_NSA_22TransformInputIteratorIb7NonZeroIaEPalEENS0_5tupleIJPlS6_EEENSJ_IJSD_SD_EEES6_SK_JS6_EEE10hipError_tPvRmT3_T4_T5_T6_T7_T9_mT8_P12ihipStream_tbDpT10_ENKUlT_T0_E_clISt17integral_constantIbLb0EES15_IbLb1EEEEDaS11_S12_EUlS11_E_NS1_11comp_targetILNS1_3genE10ELNS1_11target_archE1200ELNS1_3gpuE4ELNS1_3repE0EEENS1_30default_config_static_selectorELNS0_4arch9wavefront6targetE1EEEvT1_ ; -- Begin function _ZN7rocprim17ROCPRIM_400000_NS6detail17trampoline_kernelINS0_14default_configENS1_25partition_config_selectorILNS1_17partition_subalgoE5ElNS0_10empty_typeEbEEZZNS1_14partition_implILS5_5ELb0ES3_mN6hipcub16HIPCUB_304000_NS21CountingInputIteratorIllEEPS6_NSA_22TransformInputIteratorIb7NonZeroIaEPalEENS0_5tupleIJPlS6_EEENSJ_IJSD_SD_EEES6_SK_JS6_EEE10hipError_tPvRmT3_T4_T5_T6_T7_T9_mT8_P12ihipStream_tbDpT10_ENKUlT_T0_E_clISt17integral_constantIbLb0EES15_IbLb1EEEEDaS11_S12_EUlS11_E_NS1_11comp_targetILNS1_3genE10ELNS1_11target_archE1200ELNS1_3gpuE4ELNS1_3repE0EEENS1_30default_config_static_selectorELNS0_4arch9wavefront6targetE1EEEvT1_
	.globl	_ZN7rocprim17ROCPRIM_400000_NS6detail17trampoline_kernelINS0_14default_configENS1_25partition_config_selectorILNS1_17partition_subalgoE5ElNS0_10empty_typeEbEEZZNS1_14partition_implILS5_5ELb0ES3_mN6hipcub16HIPCUB_304000_NS21CountingInputIteratorIllEEPS6_NSA_22TransformInputIteratorIb7NonZeroIaEPalEENS0_5tupleIJPlS6_EEENSJ_IJSD_SD_EEES6_SK_JS6_EEE10hipError_tPvRmT3_T4_T5_T6_T7_T9_mT8_P12ihipStream_tbDpT10_ENKUlT_T0_E_clISt17integral_constantIbLb0EES15_IbLb1EEEEDaS11_S12_EUlS11_E_NS1_11comp_targetILNS1_3genE10ELNS1_11target_archE1200ELNS1_3gpuE4ELNS1_3repE0EEENS1_30default_config_static_selectorELNS0_4arch9wavefront6targetE1EEEvT1_
	.p2align	8
	.type	_ZN7rocprim17ROCPRIM_400000_NS6detail17trampoline_kernelINS0_14default_configENS1_25partition_config_selectorILNS1_17partition_subalgoE5ElNS0_10empty_typeEbEEZZNS1_14partition_implILS5_5ELb0ES3_mN6hipcub16HIPCUB_304000_NS21CountingInputIteratorIllEEPS6_NSA_22TransformInputIteratorIb7NonZeroIaEPalEENS0_5tupleIJPlS6_EEENSJ_IJSD_SD_EEES6_SK_JS6_EEE10hipError_tPvRmT3_T4_T5_T6_T7_T9_mT8_P12ihipStream_tbDpT10_ENKUlT_T0_E_clISt17integral_constantIbLb0EES15_IbLb1EEEEDaS11_S12_EUlS11_E_NS1_11comp_targetILNS1_3genE10ELNS1_11target_archE1200ELNS1_3gpuE4ELNS1_3repE0EEENS1_30default_config_static_selectorELNS0_4arch9wavefront6targetE1EEEvT1_,@function
_ZN7rocprim17ROCPRIM_400000_NS6detail17trampoline_kernelINS0_14default_configENS1_25partition_config_selectorILNS1_17partition_subalgoE5ElNS0_10empty_typeEbEEZZNS1_14partition_implILS5_5ELb0ES3_mN6hipcub16HIPCUB_304000_NS21CountingInputIteratorIllEEPS6_NSA_22TransformInputIteratorIb7NonZeroIaEPalEENS0_5tupleIJPlS6_EEENSJ_IJSD_SD_EEES6_SK_JS6_EEE10hipError_tPvRmT3_T4_T5_T6_T7_T9_mT8_P12ihipStream_tbDpT10_ENKUlT_T0_E_clISt17integral_constantIbLb0EES15_IbLb1EEEEDaS11_S12_EUlS11_E_NS1_11comp_targetILNS1_3genE10ELNS1_11target_archE1200ELNS1_3gpuE4ELNS1_3repE0EEENS1_30default_config_static_selectorELNS0_4arch9wavefront6targetE1EEEvT1_: ; @_ZN7rocprim17ROCPRIM_400000_NS6detail17trampoline_kernelINS0_14default_configENS1_25partition_config_selectorILNS1_17partition_subalgoE5ElNS0_10empty_typeEbEEZZNS1_14partition_implILS5_5ELb0ES3_mN6hipcub16HIPCUB_304000_NS21CountingInputIteratorIllEEPS6_NSA_22TransformInputIteratorIb7NonZeroIaEPalEENS0_5tupleIJPlS6_EEENSJ_IJSD_SD_EEES6_SK_JS6_EEE10hipError_tPvRmT3_T4_T5_T6_T7_T9_mT8_P12ihipStream_tbDpT10_ENKUlT_T0_E_clISt17integral_constantIbLb0EES15_IbLb1EEEEDaS11_S12_EUlS11_E_NS1_11comp_targetILNS1_3genE10ELNS1_11target_archE1200ELNS1_3gpuE4ELNS1_3repE0EEENS1_30default_config_static_selectorELNS0_4arch9wavefront6targetE1EEEvT1_
; %bb.0:
	.section	.rodata,"a",@progbits
	.p2align	6, 0x0
	.amdhsa_kernel _ZN7rocprim17ROCPRIM_400000_NS6detail17trampoline_kernelINS0_14default_configENS1_25partition_config_selectorILNS1_17partition_subalgoE5ElNS0_10empty_typeEbEEZZNS1_14partition_implILS5_5ELb0ES3_mN6hipcub16HIPCUB_304000_NS21CountingInputIteratorIllEEPS6_NSA_22TransformInputIteratorIb7NonZeroIaEPalEENS0_5tupleIJPlS6_EEENSJ_IJSD_SD_EEES6_SK_JS6_EEE10hipError_tPvRmT3_T4_T5_T6_T7_T9_mT8_P12ihipStream_tbDpT10_ENKUlT_T0_E_clISt17integral_constantIbLb0EES15_IbLb1EEEEDaS11_S12_EUlS11_E_NS1_11comp_targetILNS1_3genE10ELNS1_11target_archE1200ELNS1_3gpuE4ELNS1_3repE0EEENS1_30default_config_static_selectorELNS0_4arch9wavefront6targetE1EEEvT1_
		.amdhsa_group_segment_fixed_size 0
		.amdhsa_private_segment_fixed_size 0
		.amdhsa_kernarg_size 136
		.amdhsa_user_sgpr_count 2
		.amdhsa_user_sgpr_dispatch_ptr 0
		.amdhsa_user_sgpr_queue_ptr 0
		.amdhsa_user_sgpr_kernarg_segment_ptr 1
		.amdhsa_user_sgpr_dispatch_id 0
		.amdhsa_user_sgpr_kernarg_preload_length 0
		.amdhsa_user_sgpr_kernarg_preload_offset 0
		.amdhsa_user_sgpr_private_segment_size 0
		.amdhsa_uses_dynamic_stack 0
		.amdhsa_enable_private_segment 0
		.amdhsa_system_sgpr_workgroup_id_x 1
		.amdhsa_system_sgpr_workgroup_id_y 0
		.amdhsa_system_sgpr_workgroup_id_z 0
		.amdhsa_system_sgpr_workgroup_info 0
		.amdhsa_system_vgpr_workitem_id 0
		.amdhsa_next_free_vgpr 1
		.amdhsa_next_free_sgpr 0
		.amdhsa_accum_offset 4
		.amdhsa_reserve_vcc 0
		.amdhsa_float_round_mode_32 0
		.amdhsa_float_round_mode_16_64 0
		.amdhsa_float_denorm_mode_32 3
		.amdhsa_float_denorm_mode_16_64 3
		.amdhsa_dx10_clamp 1
		.amdhsa_ieee_mode 1
		.amdhsa_fp16_overflow 0
		.amdhsa_tg_split 0
		.amdhsa_exception_fp_ieee_invalid_op 0
		.amdhsa_exception_fp_denorm_src 0
		.amdhsa_exception_fp_ieee_div_zero 0
		.amdhsa_exception_fp_ieee_overflow 0
		.amdhsa_exception_fp_ieee_underflow 0
		.amdhsa_exception_fp_ieee_inexact 0
		.amdhsa_exception_int_div_zero 0
	.end_amdhsa_kernel
	.section	.text._ZN7rocprim17ROCPRIM_400000_NS6detail17trampoline_kernelINS0_14default_configENS1_25partition_config_selectorILNS1_17partition_subalgoE5ElNS0_10empty_typeEbEEZZNS1_14partition_implILS5_5ELb0ES3_mN6hipcub16HIPCUB_304000_NS21CountingInputIteratorIllEEPS6_NSA_22TransformInputIteratorIb7NonZeroIaEPalEENS0_5tupleIJPlS6_EEENSJ_IJSD_SD_EEES6_SK_JS6_EEE10hipError_tPvRmT3_T4_T5_T6_T7_T9_mT8_P12ihipStream_tbDpT10_ENKUlT_T0_E_clISt17integral_constantIbLb0EES15_IbLb1EEEEDaS11_S12_EUlS11_E_NS1_11comp_targetILNS1_3genE10ELNS1_11target_archE1200ELNS1_3gpuE4ELNS1_3repE0EEENS1_30default_config_static_selectorELNS0_4arch9wavefront6targetE1EEEvT1_,"axG",@progbits,_ZN7rocprim17ROCPRIM_400000_NS6detail17trampoline_kernelINS0_14default_configENS1_25partition_config_selectorILNS1_17partition_subalgoE5ElNS0_10empty_typeEbEEZZNS1_14partition_implILS5_5ELb0ES3_mN6hipcub16HIPCUB_304000_NS21CountingInputIteratorIllEEPS6_NSA_22TransformInputIteratorIb7NonZeroIaEPalEENS0_5tupleIJPlS6_EEENSJ_IJSD_SD_EEES6_SK_JS6_EEE10hipError_tPvRmT3_T4_T5_T6_T7_T9_mT8_P12ihipStream_tbDpT10_ENKUlT_T0_E_clISt17integral_constantIbLb0EES15_IbLb1EEEEDaS11_S12_EUlS11_E_NS1_11comp_targetILNS1_3genE10ELNS1_11target_archE1200ELNS1_3gpuE4ELNS1_3repE0EEENS1_30default_config_static_selectorELNS0_4arch9wavefront6targetE1EEEvT1_,comdat
.Lfunc_end77:
	.size	_ZN7rocprim17ROCPRIM_400000_NS6detail17trampoline_kernelINS0_14default_configENS1_25partition_config_selectorILNS1_17partition_subalgoE5ElNS0_10empty_typeEbEEZZNS1_14partition_implILS5_5ELb0ES3_mN6hipcub16HIPCUB_304000_NS21CountingInputIteratorIllEEPS6_NSA_22TransformInputIteratorIb7NonZeroIaEPalEENS0_5tupleIJPlS6_EEENSJ_IJSD_SD_EEES6_SK_JS6_EEE10hipError_tPvRmT3_T4_T5_T6_T7_T9_mT8_P12ihipStream_tbDpT10_ENKUlT_T0_E_clISt17integral_constantIbLb0EES15_IbLb1EEEEDaS11_S12_EUlS11_E_NS1_11comp_targetILNS1_3genE10ELNS1_11target_archE1200ELNS1_3gpuE4ELNS1_3repE0EEENS1_30default_config_static_selectorELNS0_4arch9wavefront6targetE1EEEvT1_, .Lfunc_end77-_ZN7rocprim17ROCPRIM_400000_NS6detail17trampoline_kernelINS0_14default_configENS1_25partition_config_selectorILNS1_17partition_subalgoE5ElNS0_10empty_typeEbEEZZNS1_14partition_implILS5_5ELb0ES3_mN6hipcub16HIPCUB_304000_NS21CountingInputIteratorIllEEPS6_NSA_22TransformInputIteratorIb7NonZeroIaEPalEENS0_5tupleIJPlS6_EEENSJ_IJSD_SD_EEES6_SK_JS6_EEE10hipError_tPvRmT3_T4_T5_T6_T7_T9_mT8_P12ihipStream_tbDpT10_ENKUlT_T0_E_clISt17integral_constantIbLb0EES15_IbLb1EEEEDaS11_S12_EUlS11_E_NS1_11comp_targetILNS1_3genE10ELNS1_11target_archE1200ELNS1_3gpuE4ELNS1_3repE0EEENS1_30default_config_static_selectorELNS0_4arch9wavefront6targetE1EEEvT1_
                                        ; -- End function
	.set _ZN7rocprim17ROCPRIM_400000_NS6detail17trampoline_kernelINS0_14default_configENS1_25partition_config_selectorILNS1_17partition_subalgoE5ElNS0_10empty_typeEbEEZZNS1_14partition_implILS5_5ELb0ES3_mN6hipcub16HIPCUB_304000_NS21CountingInputIteratorIllEEPS6_NSA_22TransformInputIteratorIb7NonZeroIaEPalEENS0_5tupleIJPlS6_EEENSJ_IJSD_SD_EEES6_SK_JS6_EEE10hipError_tPvRmT3_T4_T5_T6_T7_T9_mT8_P12ihipStream_tbDpT10_ENKUlT_T0_E_clISt17integral_constantIbLb0EES15_IbLb1EEEEDaS11_S12_EUlS11_E_NS1_11comp_targetILNS1_3genE10ELNS1_11target_archE1200ELNS1_3gpuE4ELNS1_3repE0EEENS1_30default_config_static_selectorELNS0_4arch9wavefront6targetE1EEEvT1_.num_vgpr, 0
	.set _ZN7rocprim17ROCPRIM_400000_NS6detail17trampoline_kernelINS0_14default_configENS1_25partition_config_selectorILNS1_17partition_subalgoE5ElNS0_10empty_typeEbEEZZNS1_14partition_implILS5_5ELb0ES3_mN6hipcub16HIPCUB_304000_NS21CountingInputIteratorIllEEPS6_NSA_22TransformInputIteratorIb7NonZeroIaEPalEENS0_5tupleIJPlS6_EEENSJ_IJSD_SD_EEES6_SK_JS6_EEE10hipError_tPvRmT3_T4_T5_T6_T7_T9_mT8_P12ihipStream_tbDpT10_ENKUlT_T0_E_clISt17integral_constantIbLb0EES15_IbLb1EEEEDaS11_S12_EUlS11_E_NS1_11comp_targetILNS1_3genE10ELNS1_11target_archE1200ELNS1_3gpuE4ELNS1_3repE0EEENS1_30default_config_static_selectorELNS0_4arch9wavefront6targetE1EEEvT1_.num_agpr, 0
	.set _ZN7rocprim17ROCPRIM_400000_NS6detail17trampoline_kernelINS0_14default_configENS1_25partition_config_selectorILNS1_17partition_subalgoE5ElNS0_10empty_typeEbEEZZNS1_14partition_implILS5_5ELb0ES3_mN6hipcub16HIPCUB_304000_NS21CountingInputIteratorIllEEPS6_NSA_22TransformInputIteratorIb7NonZeroIaEPalEENS0_5tupleIJPlS6_EEENSJ_IJSD_SD_EEES6_SK_JS6_EEE10hipError_tPvRmT3_T4_T5_T6_T7_T9_mT8_P12ihipStream_tbDpT10_ENKUlT_T0_E_clISt17integral_constantIbLb0EES15_IbLb1EEEEDaS11_S12_EUlS11_E_NS1_11comp_targetILNS1_3genE10ELNS1_11target_archE1200ELNS1_3gpuE4ELNS1_3repE0EEENS1_30default_config_static_selectorELNS0_4arch9wavefront6targetE1EEEvT1_.numbered_sgpr, 0
	.set _ZN7rocprim17ROCPRIM_400000_NS6detail17trampoline_kernelINS0_14default_configENS1_25partition_config_selectorILNS1_17partition_subalgoE5ElNS0_10empty_typeEbEEZZNS1_14partition_implILS5_5ELb0ES3_mN6hipcub16HIPCUB_304000_NS21CountingInputIteratorIllEEPS6_NSA_22TransformInputIteratorIb7NonZeroIaEPalEENS0_5tupleIJPlS6_EEENSJ_IJSD_SD_EEES6_SK_JS6_EEE10hipError_tPvRmT3_T4_T5_T6_T7_T9_mT8_P12ihipStream_tbDpT10_ENKUlT_T0_E_clISt17integral_constantIbLb0EES15_IbLb1EEEEDaS11_S12_EUlS11_E_NS1_11comp_targetILNS1_3genE10ELNS1_11target_archE1200ELNS1_3gpuE4ELNS1_3repE0EEENS1_30default_config_static_selectorELNS0_4arch9wavefront6targetE1EEEvT1_.num_named_barrier, 0
	.set _ZN7rocprim17ROCPRIM_400000_NS6detail17trampoline_kernelINS0_14default_configENS1_25partition_config_selectorILNS1_17partition_subalgoE5ElNS0_10empty_typeEbEEZZNS1_14partition_implILS5_5ELb0ES3_mN6hipcub16HIPCUB_304000_NS21CountingInputIteratorIllEEPS6_NSA_22TransformInputIteratorIb7NonZeroIaEPalEENS0_5tupleIJPlS6_EEENSJ_IJSD_SD_EEES6_SK_JS6_EEE10hipError_tPvRmT3_T4_T5_T6_T7_T9_mT8_P12ihipStream_tbDpT10_ENKUlT_T0_E_clISt17integral_constantIbLb0EES15_IbLb1EEEEDaS11_S12_EUlS11_E_NS1_11comp_targetILNS1_3genE10ELNS1_11target_archE1200ELNS1_3gpuE4ELNS1_3repE0EEENS1_30default_config_static_selectorELNS0_4arch9wavefront6targetE1EEEvT1_.private_seg_size, 0
	.set _ZN7rocprim17ROCPRIM_400000_NS6detail17trampoline_kernelINS0_14default_configENS1_25partition_config_selectorILNS1_17partition_subalgoE5ElNS0_10empty_typeEbEEZZNS1_14partition_implILS5_5ELb0ES3_mN6hipcub16HIPCUB_304000_NS21CountingInputIteratorIllEEPS6_NSA_22TransformInputIteratorIb7NonZeroIaEPalEENS0_5tupleIJPlS6_EEENSJ_IJSD_SD_EEES6_SK_JS6_EEE10hipError_tPvRmT3_T4_T5_T6_T7_T9_mT8_P12ihipStream_tbDpT10_ENKUlT_T0_E_clISt17integral_constantIbLb0EES15_IbLb1EEEEDaS11_S12_EUlS11_E_NS1_11comp_targetILNS1_3genE10ELNS1_11target_archE1200ELNS1_3gpuE4ELNS1_3repE0EEENS1_30default_config_static_selectorELNS0_4arch9wavefront6targetE1EEEvT1_.uses_vcc, 0
	.set _ZN7rocprim17ROCPRIM_400000_NS6detail17trampoline_kernelINS0_14default_configENS1_25partition_config_selectorILNS1_17partition_subalgoE5ElNS0_10empty_typeEbEEZZNS1_14partition_implILS5_5ELb0ES3_mN6hipcub16HIPCUB_304000_NS21CountingInputIteratorIllEEPS6_NSA_22TransformInputIteratorIb7NonZeroIaEPalEENS0_5tupleIJPlS6_EEENSJ_IJSD_SD_EEES6_SK_JS6_EEE10hipError_tPvRmT3_T4_T5_T6_T7_T9_mT8_P12ihipStream_tbDpT10_ENKUlT_T0_E_clISt17integral_constantIbLb0EES15_IbLb1EEEEDaS11_S12_EUlS11_E_NS1_11comp_targetILNS1_3genE10ELNS1_11target_archE1200ELNS1_3gpuE4ELNS1_3repE0EEENS1_30default_config_static_selectorELNS0_4arch9wavefront6targetE1EEEvT1_.uses_flat_scratch, 0
	.set _ZN7rocprim17ROCPRIM_400000_NS6detail17trampoline_kernelINS0_14default_configENS1_25partition_config_selectorILNS1_17partition_subalgoE5ElNS0_10empty_typeEbEEZZNS1_14partition_implILS5_5ELb0ES3_mN6hipcub16HIPCUB_304000_NS21CountingInputIteratorIllEEPS6_NSA_22TransformInputIteratorIb7NonZeroIaEPalEENS0_5tupleIJPlS6_EEENSJ_IJSD_SD_EEES6_SK_JS6_EEE10hipError_tPvRmT3_T4_T5_T6_T7_T9_mT8_P12ihipStream_tbDpT10_ENKUlT_T0_E_clISt17integral_constantIbLb0EES15_IbLb1EEEEDaS11_S12_EUlS11_E_NS1_11comp_targetILNS1_3genE10ELNS1_11target_archE1200ELNS1_3gpuE4ELNS1_3repE0EEENS1_30default_config_static_selectorELNS0_4arch9wavefront6targetE1EEEvT1_.has_dyn_sized_stack, 0
	.set _ZN7rocprim17ROCPRIM_400000_NS6detail17trampoline_kernelINS0_14default_configENS1_25partition_config_selectorILNS1_17partition_subalgoE5ElNS0_10empty_typeEbEEZZNS1_14partition_implILS5_5ELb0ES3_mN6hipcub16HIPCUB_304000_NS21CountingInputIteratorIllEEPS6_NSA_22TransformInputIteratorIb7NonZeroIaEPalEENS0_5tupleIJPlS6_EEENSJ_IJSD_SD_EEES6_SK_JS6_EEE10hipError_tPvRmT3_T4_T5_T6_T7_T9_mT8_P12ihipStream_tbDpT10_ENKUlT_T0_E_clISt17integral_constantIbLb0EES15_IbLb1EEEEDaS11_S12_EUlS11_E_NS1_11comp_targetILNS1_3genE10ELNS1_11target_archE1200ELNS1_3gpuE4ELNS1_3repE0EEENS1_30default_config_static_selectorELNS0_4arch9wavefront6targetE1EEEvT1_.has_recursion, 0
	.set _ZN7rocprim17ROCPRIM_400000_NS6detail17trampoline_kernelINS0_14default_configENS1_25partition_config_selectorILNS1_17partition_subalgoE5ElNS0_10empty_typeEbEEZZNS1_14partition_implILS5_5ELb0ES3_mN6hipcub16HIPCUB_304000_NS21CountingInputIteratorIllEEPS6_NSA_22TransformInputIteratorIb7NonZeroIaEPalEENS0_5tupleIJPlS6_EEENSJ_IJSD_SD_EEES6_SK_JS6_EEE10hipError_tPvRmT3_T4_T5_T6_T7_T9_mT8_P12ihipStream_tbDpT10_ENKUlT_T0_E_clISt17integral_constantIbLb0EES15_IbLb1EEEEDaS11_S12_EUlS11_E_NS1_11comp_targetILNS1_3genE10ELNS1_11target_archE1200ELNS1_3gpuE4ELNS1_3repE0EEENS1_30default_config_static_selectorELNS0_4arch9wavefront6targetE1EEEvT1_.has_indirect_call, 0
	.section	.AMDGPU.csdata,"",@progbits
; Kernel info:
; codeLenInByte = 0
; TotalNumSgprs: 6
; NumVgprs: 0
; NumAgprs: 0
; TotalNumVgprs: 0
; ScratchSize: 0
; MemoryBound: 0
; FloatMode: 240
; IeeeMode: 1
; LDSByteSize: 0 bytes/workgroup (compile time only)
; SGPRBlocks: 0
; VGPRBlocks: 0
; NumSGPRsForWavesPerEU: 6
; NumVGPRsForWavesPerEU: 1
; AccumOffset: 4
; Occupancy: 8
; WaveLimiterHint : 0
; COMPUTE_PGM_RSRC2:SCRATCH_EN: 0
; COMPUTE_PGM_RSRC2:USER_SGPR: 2
; COMPUTE_PGM_RSRC2:TRAP_HANDLER: 0
; COMPUTE_PGM_RSRC2:TGID_X_EN: 1
; COMPUTE_PGM_RSRC2:TGID_Y_EN: 0
; COMPUTE_PGM_RSRC2:TGID_Z_EN: 0
; COMPUTE_PGM_RSRC2:TIDIG_COMP_CNT: 0
; COMPUTE_PGM_RSRC3_GFX90A:ACCUM_OFFSET: 0
; COMPUTE_PGM_RSRC3_GFX90A:TG_SPLIT: 0
	.section	.text._ZN7rocprim17ROCPRIM_400000_NS6detail17trampoline_kernelINS0_14default_configENS1_25partition_config_selectorILNS1_17partition_subalgoE5ElNS0_10empty_typeEbEEZZNS1_14partition_implILS5_5ELb0ES3_mN6hipcub16HIPCUB_304000_NS21CountingInputIteratorIllEEPS6_NSA_22TransformInputIteratorIb7NonZeroIaEPalEENS0_5tupleIJPlS6_EEENSJ_IJSD_SD_EEES6_SK_JS6_EEE10hipError_tPvRmT3_T4_T5_T6_T7_T9_mT8_P12ihipStream_tbDpT10_ENKUlT_T0_E_clISt17integral_constantIbLb0EES15_IbLb1EEEEDaS11_S12_EUlS11_E_NS1_11comp_targetILNS1_3genE9ELNS1_11target_archE1100ELNS1_3gpuE3ELNS1_3repE0EEENS1_30default_config_static_selectorELNS0_4arch9wavefront6targetE1EEEvT1_,"axG",@progbits,_ZN7rocprim17ROCPRIM_400000_NS6detail17trampoline_kernelINS0_14default_configENS1_25partition_config_selectorILNS1_17partition_subalgoE5ElNS0_10empty_typeEbEEZZNS1_14partition_implILS5_5ELb0ES3_mN6hipcub16HIPCUB_304000_NS21CountingInputIteratorIllEEPS6_NSA_22TransformInputIteratorIb7NonZeroIaEPalEENS0_5tupleIJPlS6_EEENSJ_IJSD_SD_EEES6_SK_JS6_EEE10hipError_tPvRmT3_T4_T5_T6_T7_T9_mT8_P12ihipStream_tbDpT10_ENKUlT_T0_E_clISt17integral_constantIbLb0EES15_IbLb1EEEEDaS11_S12_EUlS11_E_NS1_11comp_targetILNS1_3genE9ELNS1_11target_archE1100ELNS1_3gpuE3ELNS1_3repE0EEENS1_30default_config_static_selectorELNS0_4arch9wavefront6targetE1EEEvT1_,comdat
	.protected	_ZN7rocprim17ROCPRIM_400000_NS6detail17trampoline_kernelINS0_14default_configENS1_25partition_config_selectorILNS1_17partition_subalgoE5ElNS0_10empty_typeEbEEZZNS1_14partition_implILS5_5ELb0ES3_mN6hipcub16HIPCUB_304000_NS21CountingInputIteratorIllEEPS6_NSA_22TransformInputIteratorIb7NonZeroIaEPalEENS0_5tupleIJPlS6_EEENSJ_IJSD_SD_EEES6_SK_JS6_EEE10hipError_tPvRmT3_T4_T5_T6_T7_T9_mT8_P12ihipStream_tbDpT10_ENKUlT_T0_E_clISt17integral_constantIbLb0EES15_IbLb1EEEEDaS11_S12_EUlS11_E_NS1_11comp_targetILNS1_3genE9ELNS1_11target_archE1100ELNS1_3gpuE3ELNS1_3repE0EEENS1_30default_config_static_selectorELNS0_4arch9wavefront6targetE1EEEvT1_ ; -- Begin function _ZN7rocprim17ROCPRIM_400000_NS6detail17trampoline_kernelINS0_14default_configENS1_25partition_config_selectorILNS1_17partition_subalgoE5ElNS0_10empty_typeEbEEZZNS1_14partition_implILS5_5ELb0ES3_mN6hipcub16HIPCUB_304000_NS21CountingInputIteratorIllEEPS6_NSA_22TransformInputIteratorIb7NonZeroIaEPalEENS0_5tupleIJPlS6_EEENSJ_IJSD_SD_EEES6_SK_JS6_EEE10hipError_tPvRmT3_T4_T5_T6_T7_T9_mT8_P12ihipStream_tbDpT10_ENKUlT_T0_E_clISt17integral_constantIbLb0EES15_IbLb1EEEEDaS11_S12_EUlS11_E_NS1_11comp_targetILNS1_3genE9ELNS1_11target_archE1100ELNS1_3gpuE3ELNS1_3repE0EEENS1_30default_config_static_selectorELNS0_4arch9wavefront6targetE1EEEvT1_
	.globl	_ZN7rocprim17ROCPRIM_400000_NS6detail17trampoline_kernelINS0_14default_configENS1_25partition_config_selectorILNS1_17partition_subalgoE5ElNS0_10empty_typeEbEEZZNS1_14partition_implILS5_5ELb0ES3_mN6hipcub16HIPCUB_304000_NS21CountingInputIteratorIllEEPS6_NSA_22TransformInputIteratorIb7NonZeroIaEPalEENS0_5tupleIJPlS6_EEENSJ_IJSD_SD_EEES6_SK_JS6_EEE10hipError_tPvRmT3_T4_T5_T6_T7_T9_mT8_P12ihipStream_tbDpT10_ENKUlT_T0_E_clISt17integral_constantIbLb0EES15_IbLb1EEEEDaS11_S12_EUlS11_E_NS1_11comp_targetILNS1_3genE9ELNS1_11target_archE1100ELNS1_3gpuE3ELNS1_3repE0EEENS1_30default_config_static_selectorELNS0_4arch9wavefront6targetE1EEEvT1_
	.p2align	8
	.type	_ZN7rocprim17ROCPRIM_400000_NS6detail17trampoline_kernelINS0_14default_configENS1_25partition_config_selectorILNS1_17partition_subalgoE5ElNS0_10empty_typeEbEEZZNS1_14partition_implILS5_5ELb0ES3_mN6hipcub16HIPCUB_304000_NS21CountingInputIteratorIllEEPS6_NSA_22TransformInputIteratorIb7NonZeroIaEPalEENS0_5tupleIJPlS6_EEENSJ_IJSD_SD_EEES6_SK_JS6_EEE10hipError_tPvRmT3_T4_T5_T6_T7_T9_mT8_P12ihipStream_tbDpT10_ENKUlT_T0_E_clISt17integral_constantIbLb0EES15_IbLb1EEEEDaS11_S12_EUlS11_E_NS1_11comp_targetILNS1_3genE9ELNS1_11target_archE1100ELNS1_3gpuE3ELNS1_3repE0EEENS1_30default_config_static_selectorELNS0_4arch9wavefront6targetE1EEEvT1_,@function
_ZN7rocprim17ROCPRIM_400000_NS6detail17trampoline_kernelINS0_14default_configENS1_25partition_config_selectorILNS1_17partition_subalgoE5ElNS0_10empty_typeEbEEZZNS1_14partition_implILS5_5ELb0ES3_mN6hipcub16HIPCUB_304000_NS21CountingInputIteratorIllEEPS6_NSA_22TransformInputIteratorIb7NonZeroIaEPalEENS0_5tupleIJPlS6_EEENSJ_IJSD_SD_EEES6_SK_JS6_EEE10hipError_tPvRmT3_T4_T5_T6_T7_T9_mT8_P12ihipStream_tbDpT10_ENKUlT_T0_E_clISt17integral_constantIbLb0EES15_IbLb1EEEEDaS11_S12_EUlS11_E_NS1_11comp_targetILNS1_3genE9ELNS1_11target_archE1100ELNS1_3gpuE3ELNS1_3repE0EEENS1_30default_config_static_selectorELNS0_4arch9wavefront6targetE1EEEvT1_: ; @_ZN7rocprim17ROCPRIM_400000_NS6detail17trampoline_kernelINS0_14default_configENS1_25partition_config_selectorILNS1_17partition_subalgoE5ElNS0_10empty_typeEbEEZZNS1_14partition_implILS5_5ELb0ES3_mN6hipcub16HIPCUB_304000_NS21CountingInputIteratorIllEEPS6_NSA_22TransformInputIteratorIb7NonZeroIaEPalEENS0_5tupleIJPlS6_EEENSJ_IJSD_SD_EEES6_SK_JS6_EEE10hipError_tPvRmT3_T4_T5_T6_T7_T9_mT8_P12ihipStream_tbDpT10_ENKUlT_T0_E_clISt17integral_constantIbLb0EES15_IbLb1EEEEDaS11_S12_EUlS11_E_NS1_11comp_targetILNS1_3genE9ELNS1_11target_archE1100ELNS1_3gpuE3ELNS1_3repE0EEENS1_30default_config_static_selectorELNS0_4arch9wavefront6targetE1EEEvT1_
; %bb.0:
	.section	.rodata,"a",@progbits
	.p2align	6, 0x0
	.amdhsa_kernel _ZN7rocprim17ROCPRIM_400000_NS6detail17trampoline_kernelINS0_14default_configENS1_25partition_config_selectorILNS1_17partition_subalgoE5ElNS0_10empty_typeEbEEZZNS1_14partition_implILS5_5ELb0ES3_mN6hipcub16HIPCUB_304000_NS21CountingInputIteratorIllEEPS6_NSA_22TransformInputIteratorIb7NonZeroIaEPalEENS0_5tupleIJPlS6_EEENSJ_IJSD_SD_EEES6_SK_JS6_EEE10hipError_tPvRmT3_T4_T5_T6_T7_T9_mT8_P12ihipStream_tbDpT10_ENKUlT_T0_E_clISt17integral_constantIbLb0EES15_IbLb1EEEEDaS11_S12_EUlS11_E_NS1_11comp_targetILNS1_3genE9ELNS1_11target_archE1100ELNS1_3gpuE3ELNS1_3repE0EEENS1_30default_config_static_selectorELNS0_4arch9wavefront6targetE1EEEvT1_
		.amdhsa_group_segment_fixed_size 0
		.amdhsa_private_segment_fixed_size 0
		.amdhsa_kernarg_size 136
		.amdhsa_user_sgpr_count 2
		.amdhsa_user_sgpr_dispatch_ptr 0
		.amdhsa_user_sgpr_queue_ptr 0
		.amdhsa_user_sgpr_kernarg_segment_ptr 1
		.amdhsa_user_sgpr_dispatch_id 0
		.amdhsa_user_sgpr_kernarg_preload_length 0
		.amdhsa_user_sgpr_kernarg_preload_offset 0
		.amdhsa_user_sgpr_private_segment_size 0
		.amdhsa_uses_dynamic_stack 0
		.amdhsa_enable_private_segment 0
		.amdhsa_system_sgpr_workgroup_id_x 1
		.amdhsa_system_sgpr_workgroup_id_y 0
		.amdhsa_system_sgpr_workgroup_id_z 0
		.amdhsa_system_sgpr_workgroup_info 0
		.amdhsa_system_vgpr_workitem_id 0
		.amdhsa_next_free_vgpr 1
		.amdhsa_next_free_sgpr 0
		.amdhsa_accum_offset 4
		.amdhsa_reserve_vcc 0
		.amdhsa_float_round_mode_32 0
		.amdhsa_float_round_mode_16_64 0
		.amdhsa_float_denorm_mode_32 3
		.amdhsa_float_denorm_mode_16_64 3
		.amdhsa_dx10_clamp 1
		.amdhsa_ieee_mode 1
		.amdhsa_fp16_overflow 0
		.amdhsa_tg_split 0
		.amdhsa_exception_fp_ieee_invalid_op 0
		.amdhsa_exception_fp_denorm_src 0
		.amdhsa_exception_fp_ieee_div_zero 0
		.amdhsa_exception_fp_ieee_overflow 0
		.amdhsa_exception_fp_ieee_underflow 0
		.amdhsa_exception_fp_ieee_inexact 0
		.amdhsa_exception_int_div_zero 0
	.end_amdhsa_kernel
	.section	.text._ZN7rocprim17ROCPRIM_400000_NS6detail17trampoline_kernelINS0_14default_configENS1_25partition_config_selectorILNS1_17partition_subalgoE5ElNS0_10empty_typeEbEEZZNS1_14partition_implILS5_5ELb0ES3_mN6hipcub16HIPCUB_304000_NS21CountingInputIteratorIllEEPS6_NSA_22TransformInputIteratorIb7NonZeroIaEPalEENS0_5tupleIJPlS6_EEENSJ_IJSD_SD_EEES6_SK_JS6_EEE10hipError_tPvRmT3_T4_T5_T6_T7_T9_mT8_P12ihipStream_tbDpT10_ENKUlT_T0_E_clISt17integral_constantIbLb0EES15_IbLb1EEEEDaS11_S12_EUlS11_E_NS1_11comp_targetILNS1_3genE9ELNS1_11target_archE1100ELNS1_3gpuE3ELNS1_3repE0EEENS1_30default_config_static_selectorELNS0_4arch9wavefront6targetE1EEEvT1_,"axG",@progbits,_ZN7rocprim17ROCPRIM_400000_NS6detail17trampoline_kernelINS0_14default_configENS1_25partition_config_selectorILNS1_17partition_subalgoE5ElNS0_10empty_typeEbEEZZNS1_14partition_implILS5_5ELb0ES3_mN6hipcub16HIPCUB_304000_NS21CountingInputIteratorIllEEPS6_NSA_22TransformInputIteratorIb7NonZeroIaEPalEENS0_5tupleIJPlS6_EEENSJ_IJSD_SD_EEES6_SK_JS6_EEE10hipError_tPvRmT3_T4_T5_T6_T7_T9_mT8_P12ihipStream_tbDpT10_ENKUlT_T0_E_clISt17integral_constantIbLb0EES15_IbLb1EEEEDaS11_S12_EUlS11_E_NS1_11comp_targetILNS1_3genE9ELNS1_11target_archE1100ELNS1_3gpuE3ELNS1_3repE0EEENS1_30default_config_static_selectorELNS0_4arch9wavefront6targetE1EEEvT1_,comdat
.Lfunc_end78:
	.size	_ZN7rocprim17ROCPRIM_400000_NS6detail17trampoline_kernelINS0_14default_configENS1_25partition_config_selectorILNS1_17partition_subalgoE5ElNS0_10empty_typeEbEEZZNS1_14partition_implILS5_5ELb0ES3_mN6hipcub16HIPCUB_304000_NS21CountingInputIteratorIllEEPS6_NSA_22TransformInputIteratorIb7NonZeroIaEPalEENS0_5tupleIJPlS6_EEENSJ_IJSD_SD_EEES6_SK_JS6_EEE10hipError_tPvRmT3_T4_T5_T6_T7_T9_mT8_P12ihipStream_tbDpT10_ENKUlT_T0_E_clISt17integral_constantIbLb0EES15_IbLb1EEEEDaS11_S12_EUlS11_E_NS1_11comp_targetILNS1_3genE9ELNS1_11target_archE1100ELNS1_3gpuE3ELNS1_3repE0EEENS1_30default_config_static_selectorELNS0_4arch9wavefront6targetE1EEEvT1_, .Lfunc_end78-_ZN7rocprim17ROCPRIM_400000_NS6detail17trampoline_kernelINS0_14default_configENS1_25partition_config_selectorILNS1_17partition_subalgoE5ElNS0_10empty_typeEbEEZZNS1_14partition_implILS5_5ELb0ES3_mN6hipcub16HIPCUB_304000_NS21CountingInputIteratorIllEEPS6_NSA_22TransformInputIteratorIb7NonZeroIaEPalEENS0_5tupleIJPlS6_EEENSJ_IJSD_SD_EEES6_SK_JS6_EEE10hipError_tPvRmT3_T4_T5_T6_T7_T9_mT8_P12ihipStream_tbDpT10_ENKUlT_T0_E_clISt17integral_constantIbLb0EES15_IbLb1EEEEDaS11_S12_EUlS11_E_NS1_11comp_targetILNS1_3genE9ELNS1_11target_archE1100ELNS1_3gpuE3ELNS1_3repE0EEENS1_30default_config_static_selectorELNS0_4arch9wavefront6targetE1EEEvT1_
                                        ; -- End function
	.set _ZN7rocprim17ROCPRIM_400000_NS6detail17trampoline_kernelINS0_14default_configENS1_25partition_config_selectorILNS1_17partition_subalgoE5ElNS0_10empty_typeEbEEZZNS1_14partition_implILS5_5ELb0ES3_mN6hipcub16HIPCUB_304000_NS21CountingInputIteratorIllEEPS6_NSA_22TransformInputIteratorIb7NonZeroIaEPalEENS0_5tupleIJPlS6_EEENSJ_IJSD_SD_EEES6_SK_JS6_EEE10hipError_tPvRmT3_T4_T5_T6_T7_T9_mT8_P12ihipStream_tbDpT10_ENKUlT_T0_E_clISt17integral_constantIbLb0EES15_IbLb1EEEEDaS11_S12_EUlS11_E_NS1_11comp_targetILNS1_3genE9ELNS1_11target_archE1100ELNS1_3gpuE3ELNS1_3repE0EEENS1_30default_config_static_selectorELNS0_4arch9wavefront6targetE1EEEvT1_.num_vgpr, 0
	.set _ZN7rocprim17ROCPRIM_400000_NS6detail17trampoline_kernelINS0_14default_configENS1_25partition_config_selectorILNS1_17partition_subalgoE5ElNS0_10empty_typeEbEEZZNS1_14partition_implILS5_5ELb0ES3_mN6hipcub16HIPCUB_304000_NS21CountingInputIteratorIllEEPS6_NSA_22TransformInputIteratorIb7NonZeroIaEPalEENS0_5tupleIJPlS6_EEENSJ_IJSD_SD_EEES6_SK_JS6_EEE10hipError_tPvRmT3_T4_T5_T6_T7_T9_mT8_P12ihipStream_tbDpT10_ENKUlT_T0_E_clISt17integral_constantIbLb0EES15_IbLb1EEEEDaS11_S12_EUlS11_E_NS1_11comp_targetILNS1_3genE9ELNS1_11target_archE1100ELNS1_3gpuE3ELNS1_3repE0EEENS1_30default_config_static_selectorELNS0_4arch9wavefront6targetE1EEEvT1_.num_agpr, 0
	.set _ZN7rocprim17ROCPRIM_400000_NS6detail17trampoline_kernelINS0_14default_configENS1_25partition_config_selectorILNS1_17partition_subalgoE5ElNS0_10empty_typeEbEEZZNS1_14partition_implILS5_5ELb0ES3_mN6hipcub16HIPCUB_304000_NS21CountingInputIteratorIllEEPS6_NSA_22TransformInputIteratorIb7NonZeroIaEPalEENS0_5tupleIJPlS6_EEENSJ_IJSD_SD_EEES6_SK_JS6_EEE10hipError_tPvRmT3_T4_T5_T6_T7_T9_mT8_P12ihipStream_tbDpT10_ENKUlT_T0_E_clISt17integral_constantIbLb0EES15_IbLb1EEEEDaS11_S12_EUlS11_E_NS1_11comp_targetILNS1_3genE9ELNS1_11target_archE1100ELNS1_3gpuE3ELNS1_3repE0EEENS1_30default_config_static_selectorELNS0_4arch9wavefront6targetE1EEEvT1_.numbered_sgpr, 0
	.set _ZN7rocprim17ROCPRIM_400000_NS6detail17trampoline_kernelINS0_14default_configENS1_25partition_config_selectorILNS1_17partition_subalgoE5ElNS0_10empty_typeEbEEZZNS1_14partition_implILS5_5ELb0ES3_mN6hipcub16HIPCUB_304000_NS21CountingInputIteratorIllEEPS6_NSA_22TransformInputIteratorIb7NonZeroIaEPalEENS0_5tupleIJPlS6_EEENSJ_IJSD_SD_EEES6_SK_JS6_EEE10hipError_tPvRmT3_T4_T5_T6_T7_T9_mT8_P12ihipStream_tbDpT10_ENKUlT_T0_E_clISt17integral_constantIbLb0EES15_IbLb1EEEEDaS11_S12_EUlS11_E_NS1_11comp_targetILNS1_3genE9ELNS1_11target_archE1100ELNS1_3gpuE3ELNS1_3repE0EEENS1_30default_config_static_selectorELNS0_4arch9wavefront6targetE1EEEvT1_.num_named_barrier, 0
	.set _ZN7rocprim17ROCPRIM_400000_NS6detail17trampoline_kernelINS0_14default_configENS1_25partition_config_selectorILNS1_17partition_subalgoE5ElNS0_10empty_typeEbEEZZNS1_14partition_implILS5_5ELb0ES3_mN6hipcub16HIPCUB_304000_NS21CountingInputIteratorIllEEPS6_NSA_22TransformInputIteratorIb7NonZeroIaEPalEENS0_5tupleIJPlS6_EEENSJ_IJSD_SD_EEES6_SK_JS6_EEE10hipError_tPvRmT3_T4_T5_T6_T7_T9_mT8_P12ihipStream_tbDpT10_ENKUlT_T0_E_clISt17integral_constantIbLb0EES15_IbLb1EEEEDaS11_S12_EUlS11_E_NS1_11comp_targetILNS1_3genE9ELNS1_11target_archE1100ELNS1_3gpuE3ELNS1_3repE0EEENS1_30default_config_static_selectorELNS0_4arch9wavefront6targetE1EEEvT1_.private_seg_size, 0
	.set _ZN7rocprim17ROCPRIM_400000_NS6detail17trampoline_kernelINS0_14default_configENS1_25partition_config_selectorILNS1_17partition_subalgoE5ElNS0_10empty_typeEbEEZZNS1_14partition_implILS5_5ELb0ES3_mN6hipcub16HIPCUB_304000_NS21CountingInputIteratorIllEEPS6_NSA_22TransformInputIteratorIb7NonZeroIaEPalEENS0_5tupleIJPlS6_EEENSJ_IJSD_SD_EEES6_SK_JS6_EEE10hipError_tPvRmT3_T4_T5_T6_T7_T9_mT8_P12ihipStream_tbDpT10_ENKUlT_T0_E_clISt17integral_constantIbLb0EES15_IbLb1EEEEDaS11_S12_EUlS11_E_NS1_11comp_targetILNS1_3genE9ELNS1_11target_archE1100ELNS1_3gpuE3ELNS1_3repE0EEENS1_30default_config_static_selectorELNS0_4arch9wavefront6targetE1EEEvT1_.uses_vcc, 0
	.set _ZN7rocprim17ROCPRIM_400000_NS6detail17trampoline_kernelINS0_14default_configENS1_25partition_config_selectorILNS1_17partition_subalgoE5ElNS0_10empty_typeEbEEZZNS1_14partition_implILS5_5ELb0ES3_mN6hipcub16HIPCUB_304000_NS21CountingInputIteratorIllEEPS6_NSA_22TransformInputIteratorIb7NonZeroIaEPalEENS0_5tupleIJPlS6_EEENSJ_IJSD_SD_EEES6_SK_JS6_EEE10hipError_tPvRmT3_T4_T5_T6_T7_T9_mT8_P12ihipStream_tbDpT10_ENKUlT_T0_E_clISt17integral_constantIbLb0EES15_IbLb1EEEEDaS11_S12_EUlS11_E_NS1_11comp_targetILNS1_3genE9ELNS1_11target_archE1100ELNS1_3gpuE3ELNS1_3repE0EEENS1_30default_config_static_selectorELNS0_4arch9wavefront6targetE1EEEvT1_.uses_flat_scratch, 0
	.set _ZN7rocprim17ROCPRIM_400000_NS6detail17trampoline_kernelINS0_14default_configENS1_25partition_config_selectorILNS1_17partition_subalgoE5ElNS0_10empty_typeEbEEZZNS1_14partition_implILS5_5ELb0ES3_mN6hipcub16HIPCUB_304000_NS21CountingInputIteratorIllEEPS6_NSA_22TransformInputIteratorIb7NonZeroIaEPalEENS0_5tupleIJPlS6_EEENSJ_IJSD_SD_EEES6_SK_JS6_EEE10hipError_tPvRmT3_T4_T5_T6_T7_T9_mT8_P12ihipStream_tbDpT10_ENKUlT_T0_E_clISt17integral_constantIbLb0EES15_IbLb1EEEEDaS11_S12_EUlS11_E_NS1_11comp_targetILNS1_3genE9ELNS1_11target_archE1100ELNS1_3gpuE3ELNS1_3repE0EEENS1_30default_config_static_selectorELNS0_4arch9wavefront6targetE1EEEvT1_.has_dyn_sized_stack, 0
	.set _ZN7rocprim17ROCPRIM_400000_NS6detail17trampoline_kernelINS0_14default_configENS1_25partition_config_selectorILNS1_17partition_subalgoE5ElNS0_10empty_typeEbEEZZNS1_14partition_implILS5_5ELb0ES3_mN6hipcub16HIPCUB_304000_NS21CountingInputIteratorIllEEPS6_NSA_22TransformInputIteratorIb7NonZeroIaEPalEENS0_5tupleIJPlS6_EEENSJ_IJSD_SD_EEES6_SK_JS6_EEE10hipError_tPvRmT3_T4_T5_T6_T7_T9_mT8_P12ihipStream_tbDpT10_ENKUlT_T0_E_clISt17integral_constantIbLb0EES15_IbLb1EEEEDaS11_S12_EUlS11_E_NS1_11comp_targetILNS1_3genE9ELNS1_11target_archE1100ELNS1_3gpuE3ELNS1_3repE0EEENS1_30default_config_static_selectorELNS0_4arch9wavefront6targetE1EEEvT1_.has_recursion, 0
	.set _ZN7rocprim17ROCPRIM_400000_NS6detail17trampoline_kernelINS0_14default_configENS1_25partition_config_selectorILNS1_17partition_subalgoE5ElNS0_10empty_typeEbEEZZNS1_14partition_implILS5_5ELb0ES3_mN6hipcub16HIPCUB_304000_NS21CountingInputIteratorIllEEPS6_NSA_22TransformInputIteratorIb7NonZeroIaEPalEENS0_5tupleIJPlS6_EEENSJ_IJSD_SD_EEES6_SK_JS6_EEE10hipError_tPvRmT3_T4_T5_T6_T7_T9_mT8_P12ihipStream_tbDpT10_ENKUlT_T0_E_clISt17integral_constantIbLb0EES15_IbLb1EEEEDaS11_S12_EUlS11_E_NS1_11comp_targetILNS1_3genE9ELNS1_11target_archE1100ELNS1_3gpuE3ELNS1_3repE0EEENS1_30default_config_static_selectorELNS0_4arch9wavefront6targetE1EEEvT1_.has_indirect_call, 0
	.section	.AMDGPU.csdata,"",@progbits
; Kernel info:
; codeLenInByte = 0
; TotalNumSgprs: 6
; NumVgprs: 0
; NumAgprs: 0
; TotalNumVgprs: 0
; ScratchSize: 0
; MemoryBound: 0
; FloatMode: 240
; IeeeMode: 1
; LDSByteSize: 0 bytes/workgroup (compile time only)
; SGPRBlocks: 0
; VGPRBlocks: 0
; NumSGPRsForWavesPerEU: 6
; NumVGPRsForWavesPerEU: 1
; AccumOffset: 4
; Occupancy: 8
; WaveLimiterHint : 0
; COMPUTE_PGM_RSRC2:SCRATCH_EN: 0
; COMPUTE_PGM_RSRC2:USER_SGPR: 2
; COMPUTE_PGM_RSRC2:TRAP_HANDLER: 0
; COMPUTE_PGM_RSRC2:TGID_X_EN: 1
; COMPUTE_PGM_RSRC2:TGID_Y_EN: 0
; COMPUTE_PGM_RSRC2:TGID_Z_EN: 0
; COMPUTE_PGM_RSRC2:TIDIG_COMP_CNT: 0
; COMPUTE_PGM_RSRC3_GFX90A:ACCUM_OFFSET: 0
; COMPUTE_PGM_RSRC3_GFX90A:TG_SPLIT: 0
	.section	.text._ZN7rocprim17ROCPRIM_400000_NS6detail17trampoline_kernelINS0_14default_configENS1_25partition_config_selectorILNS1_17partition_subalgoE5ElNS0_10empty_typeEbEEZZNS1_14partition_implILS5_5ELb0ES3_mN6hipcub16HIPCUB_304000_NS21CountingInputIteratorIllEEPS6_NSA_22TransformInputIteratorIb7NonZeroIaEPalEENS0_5tupleIJPlS6_EEENSJ_IJSD_SD_EEES6_SK_JS6_EEE10hipError_tPvRmT3_T4_T5_T6_T7_T9_mT8_P12ihipStream_tbDpT10_ENKUlT_T0_E_clISt17integral_constantIbLb0EES15_IbLb1EEEEDaS11_S12_EUlS11_E_NS1_11comp_targetILNS1_3genE8ELNS1_11target_archE1030ELNS1_3gpuE2ELNS1_3repE0EEENS1_30default_config_static_selectorELNS0_4arch9wavefront6targetE1EEEvT1_,"axG",@progbits,_ZN7rocprim17ROCPRIM_400000_NS6detail17trampoline_kernelINS0_14default_configENS1_25partition_config_selectorILNS1_17partition_subalgoE5ElNS0_10empty_typeEbEEZZNS1_14partition_implILS5_5ELb0ES3_mN6hipcub16HIPCUB_304000_NS21CountingInputIteratorIllEEPS6_NSA_22TransformInputIteratorIb7NonZeroIaEPalEENS0_5tupleIJPlS6_EEENSJ_IJSD_SD_EEES6_SK_JS6_EEE10hipError_tPvRmT3_T4_T5_T6_T7_T9_mT8_P12ihipStream_tbDpT10_ENKUlT_T0_E_clISt17integral_constantIbLb0EES15_IbLb1EEEEDaS11_S12_EUlS11_E_NS1_11comp_targetILNS1_3genE8ELNS1_11target_archE1030ELNS1_3gpuE2ELNS1_3repE0EEENS1_30default_config_static_selectorELNS0_4arch9wavefront6targetE1EEEvT1_,comdat
	.protected	_ZN7rocprim17ROCPRIM_400000_NS6detail17trampoline_kernelINS0_14default_configENS1_25partition_config_selectorILNS1_17partition_subalgoE5ElNS0_10empty_typeEbEEZZNS1_14partition_implILS5_5ELb0ES3_mN6hipcub16HIPCUB_304000_NS21CountingInputIteratorIllEEPS6_NSA_22TransformInputIteratorIb7NonZeroIaEPalEENS0_5tupleIJPlS6_EEENSJ_IJSD_SD_EEES6_SK_JS6_EEE10hipError_tPvRmT3_T4_T5_T6_T7_T9_mT8_P12ihipStream_tbDpT10_ENKUlT_T0_E_clISt17integral_constantIbLb0EES15_IbLb1EEEEDaS11_S12_EUlS11_E_NS1_11comp_targetILNS1_3genE8ELNS1_11target_archE1030ELNS1_3gpuE2ELNS1_3repE0EEENS1_30default_config_static_selectorELNS0_4arch9wavefront6targetE1EEEvT1_ ; -- Begin function _ZN7rocprim17ROCPRIM_400000_NS6detail17trampoline_kernelINS0_14default_configENS1_25partition_config_selectorILNS1_17partition_subalgoE5ElNS0_10empty_typeEbEEZZNS1_14partition_implILS5_5ELb0ES3_mN6hipcub16HIPCUB_304000_NS21CountingInputIteratorIllEEPS6_NSA_22TransformInputIteratorIb7NonZeroIaEPalEENS0_5tupleIJPlS6_EEENSJ_IJSD_SD_EEES6_SK_JS6_EEE10hipError_tPvRmT3_T4_T5_T6_T7_T9_mT8_P12ihipStream_tbDpT10_ENKUlT_T0_E_clISt17integral_constantIbLb0EES15_IbLb1EEEEDaS11_S12_EUlS11_E_NS1_11comp_targetILNS1_3genE8ELNS1_11target_archE1030ELNS1_3gpuE2ELNS1_3repE0EEENS1_30default_config_static_selectorELNS0_4arch9wavefront6targetE1EEEvT1_
	.globl	_ZN7rocprim17ROCPRIM_400000_NS6detail17trampoline_kernelINS0_14default_configENS1_25partition_config_selectorILNS1_17partition_subalgoE5ElNS0_10empty_typeEbEEZZNS1_14partition_implILS5_5ELb0ES3_mN6hipcub16HIPCUB_304000_NS21CountingInputIteratorIllEEPS6_NSA_22TransformInputIteratorIb7NonZeroIaEPalEENS0_5tupleIJPlS6_EEENSJ_IJSD_SD_EEES6_SK_JS6_EEE10hipError_tPvRmT3_T4_T5_T6_T7_T9_mT8_P12ihipStream_tbDpT10_ENKUlT_T0_E_clISt17integral_constantIbLb0EES15_IbLb1EEEEDaS11_S12_EUlS11_E_NS1_11comp_targetILNS1_3genE8ELNS1_11target_archE1030ELNS1_3gpuE2ELNS1_3repE0EEENS1_30default_config_static_selectorELNS0_4arch9wavefront6targetE1EEEvT1_
	.p2align	8
	.type	_ZN7rocprim17ROCPRIM_400000_NS6detail17trampoline_kernelINS0_14default_configENS1_25partition_config_selectorILNS1_17partition_subalgoE5ElNS0_10empty_typeEbEEZZNS1_14partition_implILS5_5ELb0ES3_mN6hipcub16HIPCUB_304000_NS21CountingInputIteratorIllEEPS6_NSA_22TransformInputIteratorIb7NonZeroIaEPalEENS0_5tupleIJPlS6_EEENSJ_IJSD_SD_EEES6_SK_JS6_EEE10hipError_tPvRmT3_T4_T5_T6_T7_T9_mT8_P12ihipStream_tbDpT10_ENKUlT_T0_E_clISt17integral_constantIbLb0EES15_IbLb1EEEEDaS11_S12_EUlS11_E_NS1_11comp_targetILNS1_3genE8ELNS1_11target_archE1030ELNS1_3gpuE2ELNS1_3repE0EEENS1_30default_config_static_selectorELNS0_4arch9wavefront6targetE1EEEvT1_,@function
_ZN7rocprim17ROCPRIM_400000_NS6detail17trampoline_kernelINS0_14default_configENS1_25partition_config_selectorILNS1_17partition_subalgoE5ElNS0_10empty_typeEbEEZZNS1_14partition_implILS5_5ELb0ES3_mN6hipcub16HIPCUB_304000_NS21CountingInputIteratorIllEEPS6_NSA_22TransformInputIteratorIb7NonZeroIaEPalEENS0_5tupleIJPlS6_EEENSJ_IJSD_SD_EEES6_SK_JS6_EEE10hipError_tPvRmT3_T4_T5_T6_T7_T9_mT8_P12ihipStream_tbDpT10_ENKUlT_T0_E_clISt17integral_constantIbLb0EES15_IbLb1EEEEDaS11_S12_EUlS11_E_NS1_11comp_targetILNS1_3genE8ELNS1_11target_archE1030ELNS1_3gpuE2ELNS1_3repE0EEENS1_30default_config_static_selectorELNS0_4arch9wavefront6targetE1EEEvT1_: ; @_ZN7rocprim17ROCPRIM_400000_NS6detail17trampoline_kernelINS0_14default_configENS1_25partition_config_selectorILNS1_17partition_subalgoE5ElNS0_10empty_typeEbEEZZNS1_14partition_implILS5_5ELb0ES3_mN6hipcub16HIPCUB_304000_NS21CountingInputIteratorIllEEPS6_NSA_22TransformInputIteratorIb7NonZeroIaEPalEENS0_5tupleIJPlS6_EEENSJ_IJSD_SD_EEES6_SK_JS6_EEE10hipError_tPvRmT3_T4_T5_T6_T7_T9_mT8_P12ihipStream_tbDpT10_ENKUlT_T0_E_clISt17integral_constantIbLb0EES15_IbLb1EEEEDaS11_S12_EUlS11_E_NS1_11comp_targetILNS1_3genE8ELNS1_11target_archE1030ELNS1_3gpuE2ELNS1_3repE0EEENS1_30default_config_static_selectorELNS0_4arch9wavefront6targetE1EEEvT1_
; %bb.0:
	.section	.rodata,"a",@progbits
	.p2align	6, 0x0
	.amdhsa_kernel _ZN7rocprim17ROCPRIM_400000_NS6detail17trampoline_kernelINS0_14default_configENS1_25partition_config_selectorILNS1_17partition_subalgoE5ElNS0_10empty_typeEbEEZZNS1_14partition_implILS5_5ELb0ES3_mN6hipcub16HIPCUB_304000_NS21CountingInputIteratorIllEEPS6_NSA_22TransformInputIteratorIb7NonZeroIaEPalEENS0_5tupleIJPlS6_EEENSJ_IJSD_SD_EEES6_SK_JS6_EEE10hipError_tPvRmT3_T4_T5_T6_T7_T9_mT8_P12ihipStream_tbDpT10_ENKUlT_T0_E_clISt17integral_constantIbLb0EES15_IbLb1EEEEDaS11_S12_EUlS11_E_NS1_11comp_targetILNS1_3genE8ELNS1_11target_archE1030ELNS1_3gpuE2ELNS1_3repE0EEENS1_30default_config_static_selectorELNS0_4arch9wavefront6targetE1EEEvT1_
		.amdhsa_group_segment_fixed_size 0
		.amdhsa_private_segment_fixed_size 0
		.amdhsa_kernarg_size 136
		.amdhsa_user_sgpr_count 2
		.amdhsa_user_sgpr_dispatch_ptr 0
		.amdhsa_user_sgpr_queue_ptr 0
		.amdhsa_user_sgpr_kernarg_segment_ptr 1
		.amdhsa_user_sgpr_dispatch_id 0
		.amdhsa_user_sgpr_kernarg_preload_length 0
		.amdhsa_user_sgpr_kernarg_preload_offset 0
		.amdhsa_user_sgpr_private_segment_size 0
		.amdhsa_uses_dynamic_stack 0
		.amdhsa_enable_private_segment 0
		.amdhsa_system_sgpr_workgroup_id_x 1
		.amdhsa_system_sgpr_workgroup_id_y 0
		.amdhsa_system_sgpr_workgroup_id_z 0
		.amdhsa_system_sgpr_workgroup_info 0
		.amdhsa_system_vgpr_workitem_id 0
		.amdhsa_next_free_vgpr 1
		.amdhsa_next_free_sgpr 0
		.amdhsa_accum_offset 4
		.amdhsa_reserve_vcc 0
		.amdhsa_float_round_mode_32 0
		.amdhsa_float_round_mode_16_64 0
		.amdhsa_float_denorm_mode_32 3
		.amdhsa_float_denorm_mode_16_64 3
		.amdhsa_dx10_clamp 1
		.amdhsa_ieee_mode 1
		.amdhsa_fp16_overflow 0
		.amdhsa_tg_split 0
		.amdhsa_exception_fp_ieee_invalid_op 0
		.amdhsa_exception_fp_denorm_src 0
		.amdhsa_exception_fp_ieee_div_zero 0
		.amdhsa_exception_fp_ieee_overflow 0
		.amdhsa_exception_fp_ieee_underflow 0
		.amdhsa_exception_fp_ieee_inexact 0
		.amdhsa_exception_int_div_zero 0
	.end_amdhsa_kernel
	.section	.text._ZN7rocprim17ROCPRIM_400000_NS6detail17trampoline_kernelINS0_14default_configENS1_25partition_config_selectorILNS1_17partition_subalgoE5ElNS0_10empty_typeEbEEZZNS1_14partition_implILS5_5ELb0ES3_mN6hipcub16HIPCUB_304000_NS21CountingInputIteratorIllEEPS6_NSA_22TransformInputIteratorIb7NonZeroIaEPalEENS0_5tupleIJPlS6_EEENSJ_IJSD_SD_EEES6_SK_JS6_EEE10hipError_tPvRmT3_T4_T5_T6_T7_T9_mT8_P12ihipStream_tbDpT10_ENKUlT_T0_E_clISt17integral_constantIbLb0EES15_IbLb1EEEEDaS11_S12_EUlS11_E_NS1_11comp_targetILNS1_3genE8ELNS1_11target_archE1030ELNS1_3gpuE2ELNS1_3repE0EEENS1_30default_config_static_selectorELNS0_4arch9wavefront6targetE1EEEvT1_,"axG",@progbits,_ZN7rocprim17ROCPRIM_400000_NS6detail17trampoline_kernelINS0_14default_configENS1_25partition_config_selectorILNS1_17partition_subalgoE5ElNS0_10empty_typeEbEEZZNS1_14partition_implILS5_5ELb0ES3_mN6hipcub16HIPCUB_304000_NS21CountingInputIteratorIllEEPS6_NSA_22TransformInputIteratorIb7NonZeroIaEPalEENS0_5tupleIJPlS6_EEENSJ_IJSD_SD_EEES6_SK_JS6_EEE10hipError_tPvRmT3_T4_T5_T6_T7_T9_mT8_P12ihipStream_tbDpT10_ENKUlT_T0_E_clISt17integral_constantIbLb0EES15_IbLb1EEEEDaS11_S12_EUlS11_E_NS1_11comp_targetILNS1_3genE8ELNS1_11target_archE1030ELNS1_3gpuE2ELNS1_3repE0EEENS1_30default_config_static_selectorELNS0_4arch9wavefront6targetE1EEEvT1_,comdat
.Lfunc_end79:
	.size	_ZN7rocprim17ROCPRIM_400000_NS6detail17trampoline_kernelINS0_14default_configENS1_25partition_config_selectorILNS1_17partition_subalgoE5ElNS0_10empty_typeEbEEZZNS1_14partition_implILS5_5ELb0ES3_mN6hipcub16HIPCUB_304000_NS21CountingInputIteratorIllEEPS6_NSA_22TransformInputIteratorIb7NonZeroIaEPalEENS0_5tupleIJPlS6_EEENSJ_IJSD_SD_EEES6_SK_JS6_EEE10hipError_tPvRmT3_T4_T5_T6_T7_T9_mT8_P12ihipStream_tbDpT10_ENKUlT_T0_E_clISt17integral_constantIbLb0EES15_IbLb1EEEEDaS11_S12_EUlS11_E_NS1_11comp_targetILNS1_3genE8ELNS1_11target_archE1030ELNS1_3gpuE2ELNS1_3repE0EEENS1_30default_config_static_selectorELNS0_4arch9wavefront6targetE1EEEvT1_, .Lfunc_end79-_ZN7rocprim17ROCPRIM_400000_NS6detail17trampoline_kernelINS0_14default_configENS1_25partition_config_selectorILNS1_17partition_subalgoE5ElNS0_10empty_typeEbEEZZNS1_14partition_implILS5_5ELb0ES3_mN6hipcub16HIPCUB_304000_NS21CountingInputIteratorIllEEPS6_NSA_22TransformInputIteratorIb7NonZeroIaEPalEENS0_5tupleIJPlS6_EEENSJ_IJSD_SD_EEES6_SK_JS6_EEE10hipError_tPvRmT3_T4_T5_T6_T7_T9_mT8_P12ihipStream_tbDpT10_ENKUlT_T0_E_clISt17integral_constantIbLb0EES15_IbLb1EEEEDaS11_S12_EUlS11_E_NS1_11comp_targetILNS1_3genE8ELNS1_11target_archE1030ELNS1_3gpuE2ELNS1_3repE0EEENS1_30default_config_static_selectorELNS0_4arch9wavefront6targetE1EEEvT1_
                                        ; -- End function
	.set _ZN7rocprim17ROCPRIM_400000_NS6detail17trampoline_kernelINS0_14default_configENS1_25partition_config_selectorILNS1_17partition_subalgoE5ElNS0_10empty_typeEbEEZZNS1_14partition_implILS5_5ELb0ES3_mN6hipcub16HIPCUB_304000_NS21CountingInputIteratorIllEEPS6_NSA_22TransformInputIteratorIb7NonZeroIaEPalEENS0_5tupleIJPlS6_EEENSJ_IJSD_SD_EEES6_SK_JS6_EEE10hipError_tPvRmT3_T4_T5_T6_T7_T9_mT8_P12ihipStream_tbDpT10_ENKUlT_T0_E_clISt17integral_constantIbLb0EES15_IbLb1EEEEDaS11_S12_EUlS11_E_NS1_11comp_targetILNS1_3genE8ELNS1_11target_archE1030ELNS1_3gpuE2ELNS1_3repE0EEENS1_30default_config_static_selectorELNS0_4arch9wavefront6targetE1EEEvT1_.num_vgpr, 0
	.set _ZN7rocprim17ROCPRIM_400000_NS6detail17trampoline_kernelINS0_14default_configENS1_25partition_config_selectorILNS1_17partition_subalgoE5ElNS0_10empty_typeEbEEZZNS1_14partition_implILS5_5ELb0ES3_mN6hipcub16HIPCUB_304000_NS21CountingInputIteratorIllEEPS6_NSA_22TransformInputIteratorIb7NonZeroIaEPalEENS0_5tupleIJPlS6_EEENSJ_IJSD_SD_EEES6_SK_JS6_EEE10hipError_tPvRmT3_T4_T5_T6_T7_T9_mT8_P12ihipStream_tbDpT10_ENKUlT_T0_E_clISt17integral_constantIbLb0EES15_IbLb1EEEEDaS11_S12_EUlS11_E_NS1_11comp_targetILNS1_3genE8ELNS1_11target_archE1030ELNS1_3gpuE2ELNS1_3repE0EEENS1_30default_config_static_selectorELNS0_4arch9wavefront6targetE1EEEvT1_.num_agpr, 0
	.set _ZN7rocprim17ROCPRIM_400000_NS6detail17trampoline_kernelINS0_14default_configENS1_25partition_config_selectorILNS1_17partition_subalgoE5ElNS0_10empty_typeEbEEZZNS1_14partition_implILS5_5ELb0ES3_mN6hipcub16HIPCUB_304000_NS21CountingInputIteratorIllEEPS6_NSA_22TransformInputIteratorIb7NonZeroIaEPalEENS0_5tupleIJPlS6_EEENSJ_IJSD_SD_EEES6_SK_JS6_EEE10hipError_tPvRmT3_T4_T5_T6_T7_T9_mT8_P12ihipStream_tbDpT10_ENKUlT_T0_E_clISt17integral_constantIbLb0EES15_IbLb1EEEEDaS11_S12_EUlS11_E_NS1_11comp_targetILNS1_3genE8ELNS1_11target_archE1030ELNS1_3gpuE2ELNS1_3repE0EEENS1_30default_config_static_selectorELNS0_4arch9wavefront6targetE1EEEvT1_.numbered_sgpr, 0
	.set _ZN7rocprim17ROCPRIM_400000_NS6detail17trampoline_kernelINS0_14default_configENS1_25partition_config_selectorILNS1_17partition_subalgoE5ElNS0_10empty_typeEbEEZZNS1_14partition_implILS5_5ELb0ES3_mN6hipcub16HIPCUB_304000_NS21CountingInputIteratorIllEEPS6_NSA_22TransformInputIteratorIb7NonZeroIaEPalEENS0_5tupleIJPlS6_EEENSJ_IJSD_SD_EEES6_SK_JS6_EEE10hipError_tPvRmT3_T4_T5_T6_T7_T9_mT8_P12ihipStream_tbDpT10_ENKUlT_T0_E_clISt17integral_constantIbLb0EES15_IbLb1EEEEDaS11_S12_EUlS11_E_NS1_11comp_targetILNS1_3genE8ELNS1_11target_archE1030ELNS1_3gpuE2ELNS1_3repE0EEENS1_30default_config_static_selectorELNS0_4arch9wavefront6targetE1EEEvT1_.num_named_barrier, 0
	.set _ZN7rocprim17ROCPRIM_400000_NS6detail17trampoline_kernelINS0_14default_configENS1_25partition_config_selectorILNS1_17partition_subalgoE5ElNS0_10empty_typeEbEEZZNS1_14partition_implILS5_5ELb0ES3_mN6hipcub16HIPCUB_304000_NS21CountingInputIteratorIllEEPS6_NSA_22TransformInputIteratorIb7NonZeroIaEPalEENS0_5tupleIJPlS6_EEENSJ_IJSD_SD_EEES6_SK_JS6_EEE10hipError_tPvRmT3_T4_T5_T6_T7_T9_mT8_P12ihipStream_tbDpT10_ENKUlT_T0_E_clISt17integral_constantIbLb0EES15_IbLb1EEEEDaS11_S12_EUlS11_E_NS1_11comp_targetILNS1_3genE8ELNS1_11target_archE1030ELNS1_3gpuE2ELNS1_3repE0EEENS1_30default_config_static_selectorELNS0_4arch9wavefront6targetE1EEEvT1_.private_seg_size, 0
	.set _ZN7rocprim17ROCPRIM_400000_NS6detail17trampoline_kernelINS0_14default_configENS1_25partition_config_selectorILNS1_17partition_subalgoE5ElNS0_10empty_typeEbEEZZNS1_14partition_implILS5_5ELb0ES3_mN6hipcub16HIPCUB_304000_NS21CountingInputIteratorIllEEPS6_NSA_22TransformInputIteratorIb7NonZeroIaEPalEENS0_5tupleIJPlS6_EEENSJ_IJSD_SD_EEES6_SK_JS6_EEE10hipError_tPvRmT3_T4_T5_T6_T7_T9_mT8_P12ihipStream_tbDpT10_ENKUlT_T0_E_clISt17integral_constantIbLb0EES15_IbLb1EEEEDaS11_S12_EUlS11_E_NS1_11comp_targetILNS1_3genE8ELNS1_11target_archE1030ELNS1_3gpuE2ELNS1_3repE0EEENS1_30default_config_static_selectorELNS0_4arch9wavefront6targetE1EEEvT1_.uses_vcc, 0
	.set _ZN7rocprim17ROCPRIM_400000_NS6detail17trampoline_kernelINS0_14default_configENS1_25partition_config_selectorILNS1_17partition_subalgoE5ElNS0_10empty_typeEbEEZZNS1_14partition_implILS5_5ELb0ES3_mN6hipcub16HIPCUB_304000_NS21CountingInputIteratorIllEEPS6_NSA_22TransformInputIteratorIb7NonZeroIaEPalEENS0_5tupleIJPlS6_EEENSJ_IJSD_SD_EEES6_SK_JS6_EEE10hipError_tPvRmT3_T4_T5_T6_T7_T9_mT8_P12ihipStream_tbDpT10_ENKUlT_T0_E_clISt17integral_constantIbLb0EES15_IbLb1EEEEDaS11_S12_EUlS11_E_NS1_11comp_targetILNS1_3genE8ELNS1_11target_archE1030ELNS1_3gpuE2ELNS1_3repE0EEENS1_30default_config_static_selectorELNS0_4arch9wavefront6targetE1EEEvT1_.uses_flat_scratch, 0
	.set _ZN7rocprim17ROCPRIM_400000_NS6detail17trampoline_kernelINS0_14default_configENS1_25partition_config_selectorILNS1_17partition_subalgoE5ElNS0_10empty_typeEbEEZZNS1_14partition_implILS5_5ELb0ES3_mN6hipcub16HIPCUB_304000_NS21CountingInputIteratorIllEEPS6_NSA_22TransformInputIteratorIb7NonZeroIaEPalEENS0_5tupleIJPlS6_EEENSJ_IJSD_SD_EEES6_SK_JS6_EEE10hipError_tPvRmT3_T4_T5_T6_T7_T9_mT8_P12ihipStream_tbDpT10_ENKUlT_T0_E_clISt17integral_constantIbLb0EES15_IbLb1EEEEDaS11_S12_EUlS11_E_NS1_11comp_targetILNS1_3genE8ELNS1_11target_archE1030ELNS1_3gpuE2ELNS1_3repE0EEENS1_30default_config_static_selectorELNS0_4arch9wavefront6targetE1EEEvT1_.has_dyn_sized_stack, 0
	.set _ZN7rocprim17ROCPRIM_400000_NS6detail17trampoline_kernelINS0_14default_configENS1_25partition_config_selectorILNS1_17partition_subalgoE5ElNS0_10empty_typeEbEEZZNS1_14partition_implILS5_5ELb0ES3_mN6hipcub16HIPCUB_304000_NS21CountingInputIteratorIllEEPS6_NSA_22TransformInputIteratorIb7NonZeroIaEPalEENS0_5tupleIJPlS6_EEENSJ_IJSD_SD_EEES6_SK_JS6_EEE10hipError_tPvRmT3_T4_T5_T6_T7_T9_mT8_P12ihipStream_tbDpT10_ENKUlT_T0_E_clISt17integral_constantIbLb0EES15_IbLb1EEEEDaS11_S12_EUlS11_E_NS1_11comp_targetILNS1_3genE8ELNS1_11target_archE1030ELNS1_3gpuE2ELNS1_3repE0EEENS1_30default_config_static_selectorELNS0_4arch9wavefront6targetE1EEEvT1_.has_recursion, 0
	.set _ZN7rocprim17ROCPRIM_400000_NS6detail17trampoline_kernelINS0_14default_configENS1_25partition_config_selectorILNS1_17partition_subalgoE5ElNS0_10empty_typeEbEEZZNS1_14partition_implILS5_5ELb0ES3_mN6hipcub16HIPCUB_304000_NS21CountingInputIteratorIllEEPS6_NSA_22TransformInputIteratorIb7NonZeroIaEPalEENS0_5tupleIJPlS6_EEENSJ_IJSD_SD_EEES6_SK_JS6_EEE10hipError_tPvRmT3_T4_T5_T6_T7_T9_mT8_P12ihipStream_tbDpT10_ENKUlT_T0_E_clISt17integral_constantIbLb0EES15_IbLb1EEEEDaS11_S12_EUlS11_E_NS1_11comp_targetILNS1_3genE8ELNS1_11target_archE1030ELNS1_3gpuE2ELNS1_3repE0EEENS1_30default_config_static_selectorELNS0_4arch9wavefront6targetE1EEEvT1_.has_indirect_call, 0
	.section	.AMDGPU.csdata,"",@progbits
; Kernel info:
; codeLenInByte = 0
; TotalNumSgprs: 6
; NumVgprs: 0
; NumAgprs: 0
; TotalNumVgprs: 0
; ScratchSize: 0
; MemoryBound: 0
; FloatMode: 240
; IeeeMode: 1
; LDSByteSize: 0 bytes/workgroup (compile time only)
; SGPRBlocks: 0
; VGPRBlocks: 0
; NumSGPRsForWavesPerEU: 6
; NumVGPRsForWavesPerEU: 1
; AccumOffset: 4
; Occupancy: 8
; WaveLimiterHint : 0
; COMPUTE_PGM_RSRC2:SCRATCH_EN: 0
; COMPUTE_PGM_RSRC2:USER_SGPR: 2
; COMPUTE_PGM_RSRC2:TRAP_HANDLER: 0
; COMPUTE_PGM_RSRC2:TGID_X_EN: 1
; COMPUTE_PGM_RSRC2:TGID_Y_EN: 0
; COMPUTE_PGM_RSRC2:TGID_Z_EN: 0
; COMPUTE_PGM_RSRC2:TIDIG_COMP_CNT: 0
; COMPUTE_PGM_RSRC3_GFX90A:ACCUM_OFFSET: 0
; COMPUTE_PGM_RSRC3_GFX90A:TG_SPLIT: 0
	.section	.text._Z13write_indicesIlEvPl10TensorDimsIT_EiS2_,"axG",@progbits,_Z13write_indicesIlEvPl10TensorDimsIT_EiS2_,comdat
	.protected	_Z13write_indicesIlEvPl10TensorDimsIT_EiS2_ ; -- Begin function _Z13write_indicesIlEvPl10TensorDimsIT_EiS2_
	.globl	_Z13write_indicesIlEvPl10TensorDimsIT_EiS2_
	.p2align	8
	.type	_Z13write_indicesIlEvPl10TensorDimsIT_EiS2_,@function
_Z13write_indicesIlEvPl10TensorDimsIT_EiS2_: ; @_Z13write_indicesIlEvPl10TensorDimsIT_EiS2_
; %bb.0:
	s_load_dword s3, s[0:1], 0x34
	s_load_dwordx2 s[8:9], s[0:1], 0x20
	v_mov_b32_e32 v1, 0
	s_waitcnt lgkmcnt(0)
	s_and_b32 s3, s3, 0xffff
	s_mul_i32 s2, s2, s3
	v_add_u32_e32 v0, s2, v0
	v_cmp_gt_i64_e32 vcc, s[8:9], v[0:1]
	s_and_saveexec_b64 s[2:3], vcc
	s_cbranch_execz .LBB80_4
; %bb.1:
	s_load_dwordx2 s[2:3], s[0:1], 0x0
	s_load_dword s16, s[0:1], 0x18
	s_mov_b64 s[6:7], 1
	s_waitcnt lgkmcnt(0)
	v_lshl_add_u64 v[0:1], v[0:1], 3, s[2:3]
	global_load_dwordx2 v[2:3], v[0:1], off
	s_cmp_lt_i32 s16, 3
	s_cbranch_scc0 .LBB80_5
; %bb.2:
	s_cmp_lt_i32 s16, 2
	s_cbranch_scc0 .LBB80_10
.LBB80_3:
	s_cmp_lt_i32 s16, 1
	s_cbranch_scc0 .LBB80_19
.LBB80_4:
	s_endpgm
.LBB80_5:
	s_load_dwordx2 s[6:7], s[0:1], 0x18
	v_mov_b32_e32 v4, 0
                                        ; implicit-def: $vgpr6_vgpr7
	s_waitcnt vmcnt(0) lgkmcnt(0)
	v_or_b32_e32 v5, s7, v3
	v_cmp_ne_u64_e32 vcc, 0, v[4:5]
	s_and_saveexec_b64 s[2:3], vcc
	s_xor_b64 s[10:11], exec, s[2:3]
	s_cbranch_execz .LBB80_7
; %bb.6:
	s_ashr_i32 s2, s7, 31
	s_add_u32 s4, s6, s2
	s_mov_b32 s3, s2
	s_addc_u32 s5, s7, s2
	s_xor_b64 s[12:13], s[4:5], s[2:3]
	v_cvt_f32_u32_e32 v5, s12
	v_cvt_f32_u32_e32 v6, s13
	s_sub_u32 s4, 0, s12
	s_subb_u32 s5, 0, s13
	v_ashrrev_i32_e32 v8, 31, v3
	v_fmamk_f32 v5, v6, 0x4f800000, v5
	v_rcp_f32_e32 v5, v5
	v_mov_b32_e32 v9, v8
	v_mov_b32_e32 v11, v4
	v_mul_f32_e32 v5, 0x5f7ffffc, v5
	v_mul_f32_e32 v6, 0x2f800000, v5
	v_trunc_f32_e32 v6, v6
	v_fmamk_f32 v5, v6, 0xcf800000, v5
	v_cvt_u32_f32_e32 v6, v6
	v_cvt_u32_f32_e32 v5, v5
	v_readfirstlane_b32 s14, v6
	v_readfirstlane_b32 s2, v5
	s_mul_i32 s3, s4, s14
	s_mul_hi_u32 s17, s4, s2
	s_mul_i32 s15, s5, s2
	s_add_i32 s3, s17, s3
	s_add_i32 s3, s3, s15
	s_mul_i32 s18, s4, s2
	s_mul_i32 s17, s2, s3
	s_mul_hi_u32 s19, s2, s18
	s_mul_hi_u32 s15, s2, s3
	s_add_u32 s17, s19, s17
	s_addc_u32 s15, 0, s15
	s_mul_hi_u32 s20, s14, s18
	s_mul_i32 s18, s14, s18
	s_add_u32 s17, s17, s18
	s_mul_hi_u32 s19, s14, s3
	s_addc_u32 s15, s15, s20
	s_addc_u32 s17, s19, 0
	s_mul_i32 s3, s14, s3
	s_add_u32 s3, s15, s3
	s_addc_u32 s15, 0, s17
	s_add_u32 s17, s2, s3
	s_cselect_b64 s[2:3], -1, 0
	s_cmp_lg_u64 s[2:3], 0
	s_addc_u32 s14, s14, s15
	s_mul_i32 s2, s4, s14
	s_mul_hi_u32 s3, s4, s17
	s_add_i32 s2, s3, s2
	s_mul_i32 s5, s5, s17
	s_add_i32 s2, s2, s5
	s_mul_i32 s4, s4, s17
	s_mul_hi_u32 s5, s14, s4
	s_mul_i32 s15, s14, s4
	s_mul_i32 s19, s17, s2
	s_mul_hi_u32 s4, s17, s4
	s_mul_hi_u32 s18, s17, s2
	s_add_u32 s4, s4, s19
	s_addc_u32 s18, 0, s18
	s_add_u32 s4, s4, s15
	s_mul_hi_u32 s3, s14, s2
	s_addc_u32 s4, s18, s5
	s_addc_u32 s3, s3, 0
	s_mul_i32 s2, s14, s2
	s_add_u32 s2, s4, s2
	s_addc_u32 s4, 0, s3
	s_add_u32 s5, s17, s2
	s_cselect_b64 s[2:3], -1, 0
	s_cmp_lg_u64 s[2:3], 0
	v_lshl_add_u64 v[6:7], v[2:3], 0, v[8:9]
	s_addc_u32 s4, s14, s4
	v_xor_b32_e32 v14, v6, v8
	v_xor_b32_e32 v9, v7, v8
	v_mad_u64_u32 v[6:7], s[2:3], v14, s4, 0
	v_mul_hi_u32 v10, v14, s5
	v_lshl_add_u64 v[6:7], v[10:11], 0, v[6:7]
	v_mad_u64_u32 v[12:13], s[2:3], v9, s5, 0
	v_add_co_u32_e32 v5, vcc, v6, v12
	v_mad_u64_u32 v[10:11], s[2:3], v9, s4, 0
	s_nop 0
	v_addc_co_u32_e32 v6, vcc, v7, v13, vcc
	v_mov_b32_e32 v7, v4
	s_nop 0
	v_addc_co_u32_e32 v11, vcc, 0, v11, vcc
	v_lshl_add_u64 v[4:5], v[6:7], 0, v[10:11]
	v_mul_lo_u32 v6, s13, v4
	v_mul_lo_u32 v7, s12, v5
	v_mad_u64_u32 v[4:5], s[2:3], s12, v4, 0
	v_add3_u32 v5, v5, v7, v6
	v_sub_u32_e32 v6, v9, v5
	v_mov_b32_e32 v7, s13
	v_sub_co_u32_e32 v4, vcc, v14, v4
	s_nop 1
	v_subb_co_u32_e64 v6, s[2:3], v6, v7, vcc
	v_subrev_co_u32_e64 v10, s[2:3], s12, v4
	v_subb_co_u32_e32 v5, vcc, v9, v5, vcc
	s_nop 0
	v_subbrev_co_u32_e64 v11, s[4:5], 0, v6, s[2:3]
	v_cmp_le_u32_e64 s[4:5], s13, v11
	v_subb_co_u32_e64 v6, s[2:3], v6, v7, s[2:3]
	s_nop 0
	v_cndmask_b32_e64 v12, 0, -1, s[4:5]
	v_cmp_le_u32_e64 s[4:5], s12, v10
	v_subrev_co_u32_e64 v7, s[2:3], s12, v10
	s_nop 0
	v_cndmask_b32_e64 v13, 0, -1, s[4:5]
	v_cmp_eq_u32_e64 s[4:5], s13, v11
	v_subbrev_co_u32_e64 v6, s[2:3], 0, v6, s[2:3]
	s_nop 0
	v_cndmask_b32_e64 v12, v12, v13, s[4:5]
	v_cmp_le_u32_e32 vcc, s13, v5
	v_cmp_ne_u32_e64 s[2:3], 0, v12
	s_nop 0
	v_cndmask_b32_e64 v9, 0, -1, vcc
	v_cmp_le_u32_e32 vcc, s12, v4
	v_cndmask_b32_e64 v6, v11, v6, s[2:3]
	s_nop 0
	v_cndmask_b32_e64 v11, 0, -1, vcc
	v_cmp_eq_u32_e32 vcc, s13, v5
	s_nop 1
	v_cndmask_b32_e32 v9, v9, v11, vcc
	v_cmp_ne_u32_e32 vcc, 0, v9
	s_nop 1
	v_cndmask_b32_e32 v5, v5, v6, vcc
	v_cndmask_b32_e64 v6, v10, v7, s[2:3]
	v_cndmask_b32_e32 v4, v4, v6, vcc
	v_xor_b32_e32 v4, v4, v8
	v_xor_b32_e32 v5, v5, v8
	v_sub_co_u32_e32 v6, vcc, v4, v8
	s_nop 1
	v_subb_co_u32_e32 v7, vcc, v5, v8, vcc
.LBB80_7:
	s_andn2_saveexec_b64 s[2:3], s[10:11]
	s_cbranch_execz .LBB80_9
; %bb.8:
	v_cvt_f32_u32_e32 v4, s6
	s_sub_i32 s4, 0, s6
	v_mov_b32_e32 v7, 0
	v_rcp_iflag_f32_e32 v4, v4
	s_nop 0
	v_mul_f32_e32 v4, 0x4f7ffffe, v4
	v_cvt_u32_f32_e32 v4, v4
	v_mul_lo_u32 v5, s4, v4
	v_mul_hi_u32 v5, v4, v5
	v_add_u32_e32 v4, v4, v5
	v_mul_hi_u32 v4, v2, v4
	v_mul_lo_u32 v4, v4, s6
	v_sub_u32_e32 v4, v2, v4
	v_subrev_u32_e32 v5, s6, v4
	v_cmp_le_u32_e32 vcc, s6, v4
	s_nop 1
	v_cndmask_b32_e32 v4, v4, v5, vcc
	v_subrev_u32_e32 v5, s6, v4
	v_cmp_le_u32_e32 vcc, s6, v4
	s_nop 1
	v_cndmask_b32_e32 v6, v4, v5, vcc
.LBB80_9:
	s_or_b64 exec, exec, s[2:3]
	v_lshl_add_u64 v[4:5], s[8:9], 4, v[0:1]
	global_store_dwordx2 v[4:5], v[6:7], off
	s_cmp_lt_i32 s16, 2
	s_cbranch_scc1 .LBB80_3
.LBB80_10:
	s_load_dwordx2 s[10:11], s[0:1], 0x10
	s_waitcnt vmcnt(0)
	v_or_b32_e32 v7, s7, v3
	v_mov_b32_e32 v6, 0
	v_cmp_ne_u64_e32 vcc, 0, v[6:7]
                                        ; implicit-def: $vgpr4_vgpr5
	s_and_saveexec_b64 s[2:3], vcc
	s_xor_b64 s[4:5], exec, s[2:3]
	s_cbranch_execz .LBB80_12
; %bb.11:
	s_ashr_i32 s12, s7, 31
	s_add_u32 s2, s6, s12
	s_mov_b32 s13, s12
	s_addc_u32 s3, s7, s12
	s_xor_b64 s[14:15], s[2:3], s[12:13]
	v_cvt_f32_u32_e32 v4, s14
	v_cvt_f32_u32_e32 v5, s15
	s_sub_u32 s13, 0, s14
	s_subb_u32 s17, 0, s15
	v_mov_b32_e32 v11, v6
	v_fmamk_f32 v4, v5, 0x4f800000, v4
	v_rcp_f32_e32 v4, v4
	s_nop 0
	v_mul_f32_e32 v4, 0x5f7ffffc, v4
	v_mul_f32_e32 v5, 0x2f800000, v4
	v_trunc_f32_e32 v5, v5
	v_fmamk_f32 v4, v5, 0xcf800000, v4
	v_cvt_u32_f32_e32 v5, v5
	v_cvt_u32_f32_e32 v4, v4
	v_readfirstlane_b32 s18, v5
	v_readfirstlane_b32 s2, v4
	s_mul_i32 s3, s13, s18
	s_mul_hi_u32 s20, s13, s2
	s_mul_i32 s19, s17, s2
	s_add_i32 s3, s20, s3
	s_add_i32 s3, s3, s19
	s_mul_i32 s21, s13, s2
	s_mul_i32 s20, s2, s3
	s_mul_hi_u32 s22, s2, s21
	s_mul_hi_u32 s19, s2, s3
	s_add_u32 s20, s22, s20
	s_addc_u32 s19, 0, s19
	s_mul_hi_u32 s23, s18, s21
	s_mul_i32 s21, s18, s21
	s_add_u32 s20, s20, s21
	s_mul_hi_u32 s22, s18, s3
	s_addc_u32 s19, s19, s23
	s_addc_u32 s20, s22, 0
	s_mul_i32 s3, s18, s3
	s_add_u32 s3, s19, s3
	s_addc_u32 s19, 0, s20
	s_add_u32 s20, s2, s3
	s_cselect_b64 s[2:3], -1, 0
	s_cmp_lg_u64 s[2:3], 0
	s_addc_u32 s18, s18, s19
	s_mul_i32 s2, s13, s18
	s_mul_hi_u32 s3, s13, s20
	s_add_i32 s2, s3, s2
	s_mul_i32 s17, s17, s20
	s_add_i32 s2, s2, s17
	s_mul_i32 s13, s13, s20
	s_mul_hi_u32 s17, s18, s13
	s_mul_i32 s19, s18, s13
	s_mul_i32 s22, s20, s2
	s_mul_hi_u32 s13, s20, s13
	s_mul_hi_u32 s21, s20, s2
	s_add_u32 s13, s13, s22
	s_addc_u32 s21, 0, s21
	s_add_u32 s13, s13, s19
	s_mul_hi_u32 s3, s18, s2
	s_addc_u32 s13, s21, s17
	s_addc_u32 s3, s3, 0
	s_mul_i32 s2, s18, s2
	s_add_u32 s2, s13, s2
	s_addc_u32 s13, 0, s3
	s_add_u32 s17, s20, s2
	v_ashrrev_i32_e32 v4, 31, v3
	s_cselect_b64 s[2:3], -1, 0
	v_mov_b32_e32 v5, v4
	s_cmp_lg_u64 s[2:3], 0
	v_lshl_add_u64 v[8:9], v[2:3], 0, v[4:5]
	s_addc_u32 s13, s18, s13
	v_xor_b32_e32 v14, v8, v4
	v_xor_b32_e32 v5, v9, v4
	v_mad_u64_u32 v[8:9], s[2:3], v14, s13, 0
	v_mul_hi_u32 v10, v14, s17
	v_lshl_add_u64 v[8:9], v[10:11], 0, v[8:9]
	v_mad_u64_u32 v[12:13], s[2:3], v5, s17, 0
	v_add_co_u32_e32 v7, vcc, v8, v12
	v_mad_u64_u32 v[10:11], s[2:3], v5, s13, 0
	s_nop 0
	v_addc_co_u32_e32 v8, vcc, v9, v13, vcc
	v_mov_b32_e32 v9, v6
	s_nop 0
	v_addc_co_u32_e32 v11, vcc, 0, v11, vcc
	v_lshl_add_u64 v[6:7], v[8:9], 0, v[10:11]
	v_mul_lo_u32 v10, s15, v6
	v_mul_lo_u32 v11, s14, v7
	v_mad_u64_u32 v[8:9], s[2:3], s14, v6, 0
	v_add3_u32 v12, v9, v11, v10
	v_sub_u32_e32 v9, v5, v12
	v_mov_b32_e32 v10, s15
	v_sub_co_u32_e32 v13, vcc, v14, v8
	s_nop 1
	v_subb_co_u32_e64 v8, s[2:3], v9, v10, vcc
	v_subrev_co_u32_e64 v9, s[2:3], s14, v13
	v_subb_co_u32_e32 v5, vcc, v5, v12, vcc
	s_nop 0
	v_subbrev_co_u32_e64 v8, s[2:3], 0, v8, s[2:3]
	v_cmp_le_u32_e64 s[2:3], s15, v8
	v_cmp_le_u32_e32 vcc, s15, v5
	s_nop 0
	v_cndmask_b32_e64 v10, 0, -1, s[2:3]
	v_cmp_le_u32_e64 s[2:3], s14, v9
	s_nop 1
	v_cndmask_b32_e64 v9, 0, -1, s[2:3]
	v_cmp_eq_u32_e64 s[2:3], s15, v8
	s_nop 1
	v_cndmask_b32_e64 v14, v10, v9, s[2:3]
	v_lshl_add_u64 v[8:9], v[6:7], 0, 2
	v_lshl_add_u64 v[10:11], v[6:7], 0, 1
	v_cmp_ne_u32_e64 s[2:3], 0, v14
	s_nop 1
	v_cndmask_b32_e64 v9, v11, v9, s[2:3]
	v_cndmask_b32_e64 v11, 0, -1, vcc
	v_cmp_le_u32_e32 vcc, s14, v13
	s_nop 1
	v_cndmask_b32_e64 v12, 0, -1, vcc
	v_cmp_eq_u32_e32 vcc, s15, v5
	s_nop 1
	v_cndmask_b32_e32 v5, v11, v12, vcc
	v_cmp_ne_u32_e32 vcc, 0, v5
	s_nop 1
	v_cndmask_b32_e32 v5, v7, v9, vcc
	v_cndmask_b32_e64 v7, v10, v8, s[2:3]
	v_cndmask_b32_e32 v6, v6, v7, vcc
	v_xor_b32_e32 v7, s12, v4
	v_xor_b32_e32 v4, v6, v7
	;; [unrolled: 1-line block ×3, first 2 shown]
	v_sub_co_u32_e32 v4, vcc, v4, v7
	s_nop 1
	v_subb_co_u32_e32 v5, vcc, v5, v7, vcc
.LBB80_12:
	s_andn2_saveexec_b64 s[2:3], s[4:5]
	s_cbranch_execz .LBB80_14
; %bb.13:
	v_cvt_f32_u32_e32 v4, s6
	s_sub_i32 s4, 0, s6
	v_rcp_iflag_f32_e32 v4, v4
	s_nop 0
	v_mul_f32_e32 v4, 0x4f7ffffe, v4
	v_cvt_u32_f32_e32 v4, v4
	v_mul_lo_u32 v5, s4, v4
	v_mul_hi_u32 v5, v4, v5
	v_add_u32_e32 v4, v4, v5
	v_mul_hi_u32 v4, v2, v4
	v_mul_lo_u32 v5, v4, s6
	v_sub_u32_e32 v5, v2, v5
	v_add_u32_e32 v6, 1, v4
	v_subrev_u32_e32 v7, s6, v5
	v_cmp_le_u32_e32 vcc, s6, v5
	s_nop 1
	v_cndmask_b32_e32 v5, v5, v7, vcc
	v_cndmask_b32_e32 v4, v4, v6, vcc
	v_add_u32_e32 v6, 1, v4
	v_cmp_le_u32_e32 vcc, s6, v5
	v_mov_b32_e32 v5, 0
	s_nop 0
	v_cndmask_b32_e32 v4, v4, v6, vcc
.LBB80_14:
	s_or_b64 exec, exec, s[2:3]
	s_waitcnt lgkmcnt(0)
	v_or_b32_e32 v7, s11, v5
	v_mov_b32_e32 v6, 0
	v_cmp_ne_u64_e32 vcc, 0, v[6:7]
                                        ; implicit-def: $vgpr8_vgpr9
	s_and_saveexec_b64 s[2:3], vcc
	s_xor_b64 s[12:13], exec, s[2:3]
	s_cbranch_execz .LBB80_16
; %bb.15:
	s_ashr_i32 s2, s11, 31
	s_add_u32 s4, s10, s2
	s_mov_b32 s3, s2
	s_addc_u32 s5, s11, s2
	s_xor_b64 s[14:15], s[4:5], s[2:3]
	v_cvt_f32_u32_e32 v7, s14
	v_cvt_f32_u32_e32 v8, s15
	s_sub_u32 s4, 0, s14
	s_subb_u32 s5, 0, s15
	v_ashrrev_i32_e32 v10, 31, v5
	v_fmamk_f32 v7, v8, 0x4f800000, v7
	v_rcp_f32_e32 v7, v7
	v_mov_b32_e32 v11, v10
	v_lshl_add_u64 v[4:5], v[4:5], 0, v[10:11]
	v_xor_b32_e32 v11, v4, v10
	v_mul_f32_e32 v7, 0x5f7ffffc, v7
	v_mul_f32_e32 v8, 0x2f800000, v7
	v_trunc_f32_e32 v8, v8
	v_fmamk_f32 v7, v8, 0xcf800000, v7
	v_cvt_u32_f32_e32 v8, v8
	v_cvt_u32_f32_e32 v7, v7
	v_mov_b32_e32 v9, v6
	v_readfirstlane_b32 s17, v8
	v_readfirstlane_b32 s2, v7
	s_mul_i32 s3, s4, s17
	s_mul_hi_u32 s19, s4, s2
	s_mul_i32 s18, s5, s2
	s_add_i32 s3, s19, s3
	s_add_i32 s3, s3, s18
	s_mul_i32 s20, s4, s2
	s_mul_i32 s19, s2, s3
	s_mul_hi_u32 s21, s2, s20
	s_mul_hi_u32 s18, s2, s3
	s_add_u32 s19, s21, s19
	s_addc_u32 s18, 0, s18
	s_mul_hi_u32 s22, s17, s20
	s_mul_i32 s20, s17, s20
	s_add_u32 s19, s19, s20
	s_mul_hi_u32 s21, s17, s3
	s_addc_u32 s18, s18, s22
	s_addc_u32 s19, s21, 0
	s_mul_i32 s3, s17, s3
	s_add_u32 s3, s18, s3
	s_addc_u32 s18, 0, s19
	s_add_u32 s19, s2, s3
	s_cselect_b64 s[2:3], -1, 0
	s_cmp_lg_u64 s[2:3], 0
	s_addc_u32 s17, s17, s18
	s_mul_i32 s2, s4, s17
	s_mul_hi_u32 s3, s4, s19
	s_add_i32 s2, s3, s2
	s_mul_i32 s5, s5, s19
	s_add_i32 s2, s2, s5
	s_mul_i32 s4, s4, s19
	s_mul_hi_u32 s5, s17, s4
	s_mul_i32 s18, s17, s4
	s_mul_i32 s21, s19, s2
	s_mul_hi_u32 s4, s19, s4
	s_mul_hi_u32 s20, s19, s2
	s_add_u32 s4, s4, s21
	s_addc_u32 s20, 0, s20
	s_add_u32 s4, s4, s18
	s_mul_hi_u32 s3, s17, s2
	s_addc_u32 s4, s20, s5
	s_addc_u32 s3, s3, 0
	s_mul_i32 s2, s17, s2
	s_add_u32 s2, s4, s2
	s_addc_u32 s4, 0, s3
	s_add_u32 s5, s19, s2
	s_cselect_b64 s[2:3], -1, 0
	s_cmp_lg_u64 s[2:3], 0
	s_addc_u32 s4, s17, s4
	v_xor_b32_e32 v7, v5, v10
	v_mad_u64_u32 v[4:5], s[2:3], v11, s4, 0
	v_mul_hi_u32 v8, v11, s5
	v_lshl_add_u64 v[4:5], v[8:9], 0, v[4:5]
	v_mad_u64_u32 v[12:13], s[2:3], v7, s5, 0
	v_add_co_u32_e32 v4, vcc, v4, v12
	v_mad_u64_u32 v[8:9], s[2:3], v7, s4, 0
	s_nop 0
	v_addc_co_u32_e32 v4, vcc, v5, v13, vcc
	v_mov_b32_e32 v5, v6
	s_nop 0
	v_addc_co_u32_e32 v9, vcc, 0, v9, vcc
	v_lshl_add_u64 v[4:5], v[4:5], 0, v[8:9]
	v_mul_lo_u32 v6, s15, v4
	v_mul_lo_u32 v8, s14, v5
	v_mad_u64_u32 v[4:5], s[2:3], s14, v4, 0
	v_add3_u32 v5, v5, v8, v6
	v_sub_u32_e32 v6, v7, v5
	v_mov_b32_e32 v8, s15
	v_sub_co_u32_e32 v4, vcc, v11, v4
	s_nop 1
	v_subb_co_u32_e64 v6, s[2:3], v6, v8, vcc
	v_subrev_co_u32_e64 v9, s[2:3], s14, v4
	v_subb_co_u32_e32 v5, vcc, v7, v5, vcc
	s_nop 0
	v_subbrev_co_u32_e64 v11, s[4:5], 0, v6, s[2:3]
	v_cmp_le_u32_e64 s[4:5], s15, v11
	v_subb_co_u32_e64 v6, s[2:3], v6, v8, s[2:3]
	s_nop 0
	v_cndmask_b32_e64 v12, 0, -1, s[4:5]
	v_cmp_le_u32_e64 s[4:5], s14, v9
	v_subrev_co_u32_e64 v8, s[2:3], s14, v9
	s_nop 0
	v_cndmask_b32_e64 v13, 0, -1, s[4:5]
	v_cmp_eq_u32_e64 s[4:5], s15, v11
	v_subbrev_co_u32_e64 v6, s[2:3], 0, v6, s[2:3]
	s_nop 0
	v_cndmask_b32_e64 v12, v12, v13, s[4:5]
	v_cmp_le_u32_e32 vcc, s15, v5
	v_cmp_ne_u32_e64 s[2:3], 0, v12
	s_nop 0
	v_cndmask_b32_e64 v7, 0, -1, vcc
	v_cmp_le_u32_e32 vcc, s14, v4
	v_cndmask_b32_e64 v6, v11, v6, s[2:3]
	s_nop 0
	v_cndmask_b32_e64 v11, 0, -1, vcc
	v_cmp_eq_u32_e32 vcc, s15, v5
	s_nop 1
	v_cndmask_b32_e32 v7, v7, v11, vcc
	v_cmp_ne_u32_e32 vcc, 0, v7
	s_nop 1
	v_cndmask_b32_e32 v5, v5, v6, vcc
	v_cndmask_b32_e64 v6, v9, v8, s[2:3]
	v_cndmask_b32_e32 v4, v4, v6, vcc
	v_xor_b32_e32 v4, v4, v10
	v_xor_b32_e32 v5, v5, v10
	v_sub_co_u32_e32 v8, vcc, v4, v10
	s_nop 1
	v_subb_co_u32_e32 v9, vcc, v5, v10, vcc
                                        ; implicit-def: $vgpr4_vgpr5
.LBB80_16:
	s_andn2_saveexec_b64 s[2:3], s[12:13]
	s_cbranch_execz .LBB80_18
; %bb.17:
	v_cvt_f32_u32_e32 v5, s10
	s_sub_i32 s4, 0, s10
	v_mov_b32_e32 v9, 0
	v_rcp_iflag_f32_e32 v5, v5
	s_nop 0
	v_mul_f32_e32 v5, 0x4f7ffffe, v5
	v_cvt_u32_f32_e32 v5, v5
	v_mul_lo_u32 v6, s4, v5
	v_mul_hi_u32 v6, v5, v6
	v_add_u32_e32 v5, v5, v6
	v_mul_hi_u32 v5, v4, v5
	v_mul_lo_u32 v5, v5, s10
	v_sub_u32_e32 v4, v4, v5
	v_subrev_u32_e32 v5, s10, v4
	v_cmp_le_u32_e32 vcc, s10, v4
	s_nop 1
	v_cndmask_b32_e32 v4, v4, v5, vcc
	v_subrev_u32_e32 v5, s10, v4
	v_cmp_le_u32_e32 vcc, s10, v4
	s_nop 1
	v_cndmask_b32_e32 v8, v4, v5, vcc
.LBB80_18:
	s_or_b64 exec, exec, s[2:3]
	s_mul_i32 s2, s10, s7
	s_mul_hi_u32 s3, s10, s6
	s_add_i32 s2, s3, s2
	s_mul_i32 s3, s11, s6
	v_lshl_add_u64 v[4:5], s[8:9], 3, v[0:1]
	s_add_i32 s7, s2, s3
	s_mul_i32 s6, s10, s6
	global_store_dwordx2 v[4:5], v[8:9], off
	s_cmp_lt_i32 s16, 1
	s_cbranch_scc1 .LBB80_4
.LBB80_19:
	s_load_dwordx2 s[4:5], s[0:1], 0x8
	s_waitcnt vmcnt(0)
	v_or_b32_e32 v7, s7, v3
	v_mov_b32_e32 v6, 0
	v_cmp_ne_u64_e32 vcc, 0, v[6:7]
                                        ; implicit-def: $vgpr4_vgpr5
	s_and_saveexec_b64 s[0:1], vcc
	s_xor_b64 s[2:3], exec, s[0:1]
	s_cbranch_execz .LBB80_21
; %bb.20:
	s_ashr_i32 s8, s7, 31
	s_add_u32 s0, s6, s8
	s_mov_b32 s9, s8
	s_addc_u32 s1, s7, s8
	s_xor_b64 s[10:11], s[0:1], s[8:9]
	v_cvt_f32_u32_e32 v4, s10
	v_cvt_f32_u32_e32 v5, s11
	s_sub_u32 s7, 0, s10
	s_subb_u32 s9, 0, s11
	v_mov_b32_e32 v9, v6
	v_fmamk_f32 v4, v5, 0x4f800000, v4
	v_rcp_f32_e32 v4, v4
	s_nop 0
	v_mul_f32_e32 v4, 0x5f7ffffc, v4
	v_mul_f32_e32 v5, 0x2f800000, v4
	v_trunc_f32_e32 v5, v5
	v_fmamk_f32 v4, v5, 0xcf800000, v4
	v_cvt_u32_f32_e32 v5, v5
	v_cvt_u32_f32_e32 v4, v4
	v_readfirstlane_b32 s12, v5
	v_readfirstlane_b32 s0, v4
	s_mul_i32 s1, s7, s12
	s_mul_hi_u32 s14, s7, s0
	s_mul_i32 s13, s9, s0
	s_add_i32 s1, s14, s1
	s_add_i32 s1, s1, s13
	s_mul_i32 s15, s7, s0
	s_mul_i32 s14, s0, s1
	s_mul_hi_u32 s16, s0, s15
	s_mul_hi_u32 s13, s0, s1
	s_add_u32 s14, s16, s14
	s_addc_u32 s13, 0, s13
	s_mul_hi_u32 s17, s12, s15
	s_mul_i32 s15, s12, s15
	s_add_u32 s14, s14, s15
	s_mul_hi_u32 s16, s12, s1
	s_addc_u32 s13, s13, s17
	s_addc_u32 s14, s16, 0
	s_mul_i32 s1, s12, s1
	s_add_u32 s1, s13, s1
	s_addc_u32 s13, 0, s14
	s_add_u32 s14, s0, s1
	s_cselect_b64 s[0:1], -1, 0
	s_cmp_lg_u64 s[0:1], 0
	s_addc_u32 s12, s12, s13
	s_mul_i32 s0, s7, s12
	s_mul_hi_u32 s1, s7, s14
	s_add_i32 s0, s1, s0
	s_mul_i32 s9, s9, s14
	s_add_i32 s0, s0, s9
	s_mul_i32 s7, s7, s14
	s_mul_hi_u32 s9, s12, s7
	s_mul_i32 s13, s12, s7
	s_mul_i32 s16, s14, s0
	s_mul_hi_u32 s7, s14, s7
	s_mul_hi_u32 s15, s14, s0
	s_add_u32 s7, s7, s16
	s_addc_u32 s15, 0, s15
	s_add_u32 s7, s7, s13
	s_mul_hi_u32 s1, s12, s0
	s_addc_u32 s7, s15, s9
	s_addc_u32 s1, s1, 0
	s_mul_i32 s0, s12, s0
	s_add_u32 s0, s7, s0
	s_addc_u32 s7, 0, s1
	s_add_u32 s9, s14, s0
	v_ashrrev_i32_e32 v4, 31, v3
	s_cselect_b64 s[0:1], -1, 0
	v_mov_b32_e32 v5, v4
	s_cmp_lg_u64 s[0:1], 0
	v_lshl_add_u64 v[2:3], v[2:3], 0, v[4:5]
	s_addc_u32 s7, s12, s7
	v_xor_b32_e32 v12, v2, v4
	v_xor_b32_e32 v5, v3, v4
	v_mad_u64_u32 v[2:3], s[0:1], v12, s7, 0
	v_mul_hi_u32 v8, v12, s9
	v_lshl_add_u64 v[2:3], v[8:9], 0, v[2:3]
	v_mad_u64_u32 v[10:11], s[0:1], v5, s9, 0
	v_add_co_u32_e32 v2, vcc, v2, v10
	v_mad_u64_u32 v[8:9], s[0:1], v5, s7, 0
	s_nop 0
	v_addc_co_u32_e32 v2, vcc, v3, v11, vcc
	v_mov_b32_e32 v3, v6
	s_nop 0
	v_addc_co_u32_e32 v9, vcc, 0, v9, vcc
	v_lshl_add_u64 v[2:3], v[2:3], 0, v[8:9]
	v_mul_lo_u32 v8, s11, v2
	v_mul_lo_u32 v9, s10, v3
	v_mad_u64_u32 v[6:7], s[0:1], s10, v2, 0
	v_add3_u32 v10, v7, v9, v8
	v_sub_u32_e32 v7, v5, v10
	v_mov_b32_e32 v8, s11
	v_sub_co_u32_e32 v11, vcc, v12, v6
	s_nop 1
	v_subb_co_u32_e64 v6, s[0:1], v7, v8, vcc
	v_subrev_co_u32_e64 v7, s[0:1], s10, v11
	v_subb_co_u32_e32 v5, vcc, v5, v10, vcc
	s_nop 0
	v_subbrev_co_u32_e64 v6, s[0:1], 0, v6, s[0:1]
	v_cmp_le_u32_e64 s[0:1], s11, v6
	v_cmp_le_u32_e32 vcc, s11, v5
	s_nop 0
	v_cndmask_b32_e64 v8, 0, -1, s[0:1]
	v_cmp_le_u32_e64 s[0:1], s10, v7
	s_nop 1
	v_cndmask_b32_e64 v7, 0, -1, s[0:1]
	v_cmp_eq_u32_e64 s[0:1], s11, v6
	s_nop 1
	v_cndmask_b32_e64 v12, v8, v7, s[0:1]
	v_lshl_add_u64 v[6:7], v[2:3], 0, 2
	v_lshl_add_u64 v[8:9], v[2:3], 0, 1
	v_cmp_ne_u32_e64 s[0:1], 0, v12
	s_nop 1
	v_cndmask_b32_e64 v7, v9, v7, s[0:1]
	v_cndmask_b32_e64 v9, 0, -1, vcc
	v_cmp_le_u32_e32 vcc, s10, v11
	s_nop 1
	v_cndmask_b32_e64 v10, 0, -1, vcc
	v_cmp_eq_u32_e32 vcc, s11, v5
	s_nop 1
	v_cndmask_b32_e32 v5, v9, v10, vcc
	v_cmp_ne_u32_e32 vcc, 0, v5
	v_cndmask_b32_e64 v5, v8, v6, s[0:1]
	s_nop 0
	v_cndmask_b32_e32 v2, v2, v5, vcc
	v_xor_b32_e32 v5, s8, v4
	v_cndmask_b32_e32 v3, v3, v7, vcc
	v_xor_b32_e32 v2, v2, v5
	v_xor_b32_e32 v3, v3, v5
	v_sub_co_u32_e32 v4, vcc, v2, v5
	s_nop 1
	v_subb_co_u32_e32 v5, vcc, v3, v5, vcc
                                        ; implicit-def: $vgpr2_vgpr3
.LBB80_21:
	s_andn2_saveexec_b64 s[0:1], s[2:3]
	s_cbranch_execz .LBB80_23
; %bb.22:
	v_cvt_f32_u32_e32 v3, s6
	s_sub_i32 s2, 0, s6
	v_rcp_iflag_f32_e32 v3, v3
	s_nop 0
	v_mul_f32_e32 v3, 0x4f7ffffe, v3
	v_cvt_u32_f32_e32 v3, v3
	v_mul_lo_u32 v4, s2, v3
	v_mul_hi_u32 v4, v3, v4
	v_add_u32_e32 v3, v3, v4
	v_mul_hi_u32 v3, v2, v3
	v_mul_lo_u32 v4, v3, s6
	v_sub_u32_e32 v2, v2, v4
	v_add_u32_e32 v5, 1, v3
	v_subrev_u32_e32 v4, s6, v2
	v_cmp_le_u32_e32 vcc, s6, v2
	s_nop 1
	v_cndmask_b32_e32 v2, v2, v4, vcc
	v_cndmask_b32_e32 v3, v3, v5, vcc
	v_add_u32_e32 v4, 1, v3
	v_cmp_le_u32_e32 vcc, s6, v2
	v_mov_b32_e32 v5, 0
	s_nop 0
	v_cndmask_b32_e32 v4, v3, v4, vcc
.LBB80_23:
	s_or_b64 exec, exec, s[0:1]
	s_waitcnt lgkmcnt(0)
	v_or_b32_e32 v3, s5, v5
	v_mov_b32_e32 v2, 0
	v_cmp_ne_u64_e32 vcc, 0, v[2:3]
                                        ; implicit-def: $vgpr6_vgpr7
	s_and_saveexec_b64 s[0:1], vcc
	s_xor_b64 s[6:7], exec, s[0:1]
	s_cbranch_execz .LBB80_25
; %bb.24:
	s_ashr_i32 s0, s5, 31
	s_add_u32 s2, s4, s0
	s_mov_b32 s1, s0
	s_addc_u32 s3, s5, s0
	s_xor_b64 s[8:9], s[2:3], s[0:1]
	v_cvt_f32_u32_e32 v3, s8
	v_cvt_f32_u32_e32 v6, s9
	s_sub_u32 s2, 0, s8
	s_subb_u32 s3, 0, s9
	v_ashrrev_i32_e32 v8, 31, v5
	v_fmamk_f32 v3, v6, 0x4f800000, v3
	v_rcp_f32_e32 v3, v3
	v_mov_b32_e32 v9, v8
	v_lshl_add_u64 v[4:5], v[4:5], 0, v[8:9]
	v_xor_b32_e32 v12, v4, v8
	v_mul_f32_e32 v3, 0x5f7ffffc, v3
	v_mul_f32_e32 v6, 0x2f800000, v3
	v_trunc_f32_e32 v6, v6
	v_fmamk_f32 v3, v6, 0xcf800000, v3
	v_cvt_u32_f32_e32 v6, v6
	v_cvt_u32_f32_e32 v3, v3
	v_xor_b32_e32 v9, v5, v8
	v_mov_b32_e32 v7, v2
	v_readfirstlane_b32 s5, v6
	v_readfirstlane_b32 s0, v3
	s_mul_i32 s1, s2, s5
	s_mul_hi_u32 s11, s2, s0
	s_mul_i32 s10, s3, s0
	s_add_i32 s1, s11, s1
	s_add_i32 s1, s1, s10
	s_mul_i32 s12, s2, s0
	s_mul_i32 s11, s0, s1
	s_mul_hi_u32 s13, s0, s12
	s_mul_hi_u32 s10, s0, s1
	s_add_u32 s11, s13, s11
	s_addc_u32 s10, 0, s10
	s_mul_hi_u32 s14, s5, s12
	s_mul_i32 s12, s5, s12
	s_add_u32 s11, s11, s12
	s_mul_hi_u32 s13, s5, s1
	s_addc_u32 s10, s10, s14
	s_addc_u32 s11, s13, 0
	s_mul_i32 s1, s5, s1
	s_add_u32 s1, s10, s1
	s_addc_u32 s10, 0, s11
	s_add_u32 s11, s0, s1
	s_cselect_b64 s[0:1], -1, 0
	s_cmp_lg_u64 s[0:1], 0
	s_addc_u32 s5, s5, s10
	s_mul_i32 s0, s2, s5
	s_mul_hi_u32 s1, s2, s11
	s_add_i32 s0, s1, s0
	s_mul_i32 s3, s3, s11
	s_add_i32 s0, s0, s3
	s_mul_i32 s2, s2, s11
	s_mul_hi_u32 s3, s5, s2
	s_mul_i32 s10, s5, s2
	s_mul_i32 s13, s11, s0
	s_mul_hi_u32 s2, s11, s2
	s_mul_hi_u32 s12, s11, s0
	s_add_u32 s2, s2, s13
	s_addc_u32 s12, 0, s12
	s_add_u32 s2, s2, s10
	s_mul_hi_u32 s1, s5, s0
	s_addc_u32 s2, s12, s3
	s_addc_u32 s1, s1, 0
	s_mul_i32 s0, s5, s0
	s_add_u32 s0, s2, s0
	s_addc_u32 s2, 0, s1
	s_add_u32 s3, s11, s0
	s_cselect_b64 s[0:1], -1, 0
	s_cmp_lg_u64 s[0:1], 0
	s_addc_u32 s2, s5, s2
	v_mad_u64_u32 v[4:5], s[0:1], v12, s2, 0
	v_mul_hi_u32 v6, v12, s3
	v_lshl_add_u64 v[4:5], v[6:7], 0, v[4:5]
	v_mad_u64_u32 v[10:11], s[0:1], v9, s3, 0
	v_add_co_u32_e32 v3, vcc, v4, v10
	v_mad_u64_u32 v[6:7], s[0:1], v9, s2, 0
	s_nop 0
	v_addc_co_u32_e32 v4, vcc, v5, v11, vcc
	v_mov_b32_e32 v5, v2
	s_nop 0
	v_addc_co_u32_e32 v7, vcc, 0, v7, vcc
	v_lshl_add_u64 v[2:3], v[4:5], 0, v[6:7]
	v_mul_lo_u32 v4, s9, v2
	v_mul_lo_u32 v5, s8, v3
	v_mad_u64_u32 v[2:3], s[0:1], s8, v2, 0
	v_add3_u32 v3, v3, v5, v4
	v_sub_u32_e32 v4, v9, v3
	v_mov_b32_e32 v5, s9
	v_sub_co_u32_e32 v2, vcc, v12, v2
	s_nop 1
	v_subb_co_u32_e64 v4, s[0:1], v4, v5, vcc
	v_subrev_co_u32_e64 v6, s[0:1], s8, v2
	v_subb_co_u32_e32 v3, vcc, v9, v3, vcc
	s_nop 0
	v_subbrev_co_u32_e64 v7, s[2:3], 0, v4, s[0:1]
	v_cmp_le_u32_e64 s[2:3], s9, v7
	v_subb_co_u32_e64 v4, s[0:1], v4, v5, s[0:1]
	s_nop 0
	v_cndmask_b32_e64 v10, 0, -1, s[2:3]
	v_cmp_le_u32_e64 s[2:3], s8, v6
	v_subrev_co_u32_e64 v5, s[0:1], s8, v6
	s_nop 0
	v_cndmask_b32_e64 v11, 0, -1, s[2:3]
	v_cmp_eq_u32_e64 s[2:3], s9, v7
	v_subbrev_co_u32_e64 v4, s[0:1], 0, v4, s[0:1]
	s_nop 0
	v_cndmask_b32_e64 v10, v10, v11, s[2:3]
	v_cmp_ne_u32_e64 s[0:1], 0, v10
	v_cmp_le_u32_e32 vcc, s9, v3
	s_nop 0
	v_cndmask_b32_e64 v4, v7, v4, s[0:1]
	v_cndmask_b32_e64 v7, 0, -1, vcc
	v_cmp_le_u32_e32 vcc, s8, v2
	s_nop 1
	v_cndmask_b32_e64 v9, 0, -1, vcc
	v_cmp_eq_u32_e32 vcc, s9, v3
	s_nop 1
	v_cndmask_b32_e32 v7, v7, v9, vcc
	v_cmp_ne_u32_e32 vcc, 0, v7
	s_nop 1
	v_cndmask_b32_e32 v3, v3, v4, vcc
	v_cndmask_b32_e64 v4, v6, v5, s[0:1]
	v_cndmask_b32_e32 v2, v2, v4, vcc
	v_xor_b32_e32 v2, v2, v8
	v_xor_b32_e32 v3, v3, v8
	v_sub_co_u32_e32 v6, vcc, v2, v8
                                        ; implicit-def: $vgpr4_vgpr5
	s_nop 1
	v_subb_co_u32_e32 v7, vcc, v3, v8, vcc
.LBB80_25:
	s_andn2_saveexec_b64 s[0:1], s[6:7]
	s_cbranch_execz .LBB80_27
; %bb.26:
	v_cvt_f32_u32_e32 v2, s4
	s_sub_i32 s2, 0, s4
	v_mov_b32_e32 v7, 0
	v_rcp_iflag_f32_e32 v2, v2
	s_nop 0
	v_mul_f32_e32 v2, 0x4f7ffffe, v2
	v_cvt_u32_f32_e32 v2, v2
	v_mul_lo_u32 v3, s2, v2
	v_mul_hi_u32 v3, v2, v3
	v_add_u32_e32 v2, v2, v3
	v_mul_hi_u32 v2, v4, v2
	v_mul_lo_u32 v2, v2, s4
	v_sub_u32_e32 v2, v4, v2
	v_subrev_u32_e32 v3, s4, v2
	v_cmp_le_u32_e32 vcc, s4, v2
	s_nop 1
	v_cndmask_b32_e32 v2, v2, v3, vcc
	v_subrev_u32_e32 v3, s4, v2
	v_cmp_le_u32_e32 vcc, s4, v2
	s_nop 1
	v_cndmask_b32_e32 v6, v2, v3, vcc
.LBB80_27:
	s_or_b64 exec, exec, s[0:1]
	global_store_dwordx2 v[0:1], v[6:7], off
	s_endpgm
	.section	.rodata,"a",@progbits
	.p2align	6, 0x0
	.amdhsa_kernel _Z13write_indicesIlEvPl10TensorDimsIT_EiS2_
		.amdhsa_group_segment_fixed_size 0
		.amdhsa_private_segment_fixed_size 0
		.amdhsa_kernarg_size 296
		.amdhsa_user_sgpr_count 2
		.amdhsa_user_sgpr_dispatch_ptr 0
		.amdhsa_user_sgpr_queue_ptr 0
		.amdhsa_user_sgpr_kernarg_segment_ptr 1
		.amdhsa_user_sgpr_dispatch_id 0
		.amdhsa_user_sgpr_kernarg_preload_length 0
		.amdhsa_user_sgpr_kernarg_preload_offset 0
		.amdhsa_user_sgpr_private_segment_size 0
		.amdhsa_uses_dynamic_stack 0
		.amdhsa_enable_private_segment 0
		.amdhsa_system_sgpr_workgroup_id_x 1
		.amdhsa_system_sgpr_workgroup_id_y 0
		.amdhsa_system_sgpr_workgroup_id_z 0
		.amdhsa_system_sgpr_workgroup_info 0
		.amdhsa_system_vgpr_workitem_id 0
		.amdhsa_next_free_vgpr 15
		.amdhsa_next_free_sgpr 24
		.amdhsa_accum_offset 16
		.amdhsa_reserve_vcc 1
		.amdhsa_float_round_mode_32 0
		.amdhsa_float_round_mode_16_64 0
		.amdhsa_float_denorm_mode_32 3
		.amdhsa_float_denorm_mode_16_64 3
		.amdhsa_dx10_clamp 1
		.amdhsa_ieee_mode 1
		.amdhsa_fp16_overflow 0
		.amdhsa_tg_split 0
		.amdhsa_exception_fp_ieee_invalid_op 0
		.amdhsa_exception_fp_denorm_src 0
		.amdhsa_exception_fp_ieee_div_zero 0
		.amdhsa_exception_fp_ieee_overflow 0
		.amdhsa_exception_fp_ieee_underflow 0
		.amdhsa_exception_fp_ieee_inexact 0
		.amdhsa_exception_int_div_zero 0
	.end_amdhsa_kernel
	.section	.text._Z13write_indicesIlEvPl10TensorDimsIT_EiS2_,"axG",@progbits,_Z13write_indicesIlEvPl10TensorDimsIT_EiS2_,comdat
.Lfunc_end80:
	.size	_Z13write_indicesIlEvPl10TensorDimsIT_EiS2_, .Lfunc_end80-_Z13write_indicesIlEvPl10TensorDimsIT_EiS2_
                                        ; -- End function
	.set _Z13write_indicesIlEvPl10TensorDimsIT_EiS2_.num_vgpr, 15
	.set _Z13write_indicesIlEvPl10TensorDimsIT_EiS2_.num_agpr, 0
	.set _Z13write_indicesIlEvPl10TensorDimsIT_EiS2_.numbered_sgpr, 24
	.set _Z13write_indicesIlEvPl10TensorDimsIT_EiS2_.num_named_barrier, 0
	.set _Z13write_indicesIlEvPl10TensorDimsIT_EiS2_.private_seg_size, 0
	.set _Z13write_indicesIlEvPl10TensorDimsIT_EiS2_.uses_vcc, 1
	.set _Z13write_indicesIlEvPl10TensorDimsIT_EiS2_.uses_flat_scratch, 0
	.set _Z13write_indicesIlEvPl10TensorDimsIT_EiS2_.has_dyn_sized_stack, 0
	.set _Z13write_indicesIlEvPl10TensorDimsIT_EiS2_.has_recursion, 0
	.set _Z13write_indicesIlEvPl10TensorDimsIT_EiS2_.has_indirect_call, 0
	.section	.AMDGPU.csdata,"",@progbits
; Kernel info:
; codeLenInByte = 4224
; TotalNumSgprs: 30
; NumVgprs: 15
; NumAgprs: 0
; TotalNumVgprs: 15
; ScratchSize: 0
; MemoryBound: 0
; FloatMode: 240
; IeeeMode: 1
; LDSByteSize: 0 bytes/workgroup (compile time only)
; SGPRBlocks: 3
; VGPRBlocks: 1
; NumSGPRsForWavesPerEU: 30
; NumVGPRsForWavesPerEU: 15
; AccumOffset: 16
; Occupancy: 8
; WaveLimiterHint : 0
; COMPUTE_PGM_RSRC2:SCRATCH_EN: 0
; COMPUTE_PGM_RSRC2:USER_SGPR: 2
; COMPUTE_PGM_RSRC2:TRAP_HANDLER: 0
; COMPUTE_PGM_RSRC2:TGID_X_EN: 1
; COMPUTE_PGM_RSRC2:TGID_Y_EN: 0
; COMPUTE_PGM_RSRC2:TGID_Z_EN: 0
; COMPUTE_PGM_RSRC2:TIDIG_COMP_CNT: 0
; COMPUTE_PGM_RSRC3_GFX90A:ACCUM_OFFSET: 3
; COMPUTE_PGM_RSRC3_GFX90A:TG_SPLIT: 0
	.section	.text._ZN7rocprim17ROCPRIM_400000_NS6detail17trampoline_kernelINS0_14default_configENS1_22reduce_config_selectorIlEEZNS1_11reduce_implILb1ES3_PlS7_lN6hipcub16HIPCUB_304000_NS6detail34convert_binary_result_type_wrapperINS9_3SumENS9_22TransformInputIteratorIb7NonZeroIsEPslEElEEEE10hipError_tPvRmT1_T2_T3_mT4_P12ihipStream_tbEUlT_E0_NS1_11comp_targetILNS1_3genE0ELNS1_11target_archE4294967295ELNS1_3gpuE0ELNS1_3repE0EEENS1_30default_config_static_selectorELNS0_4arch9wavefront6targetE1EEEvSM_,"axG",@progbits,_ZN7rocprim17ROCPRIM_400000_NS6detail17trampoline_kernelINS0_14default_configENS1_22reduce_config_selectorIlEEZNS1_11reduce_implILb1ES3_PlS7_lN6hipcub16HIPCUB_304000_NS6detail34convert_binary_result_type_wrapperINS9_3SumENS9_22TransformInputIteratorIb7NonZeroIsEPslEElEEEE10hipError_tPvRmT1_T2_T3_mT4_P12ihipStream_tbEUlT_E0_NS1_11comp_targetILNS1_3genE0ELNS1_11target_archE4294967295ELNS1_3gpuE0ELNS1_3repE0EEENS1_30default_config_static_selectorELNS0_4arch9wavefront6targetE1EEEvSM_,comdat
	.protected	_ZN7rocprim17ROCPRIM_400000_NS6detail17trampoline_kernelINS0_14default_configENS1_22reduce_config_selectorIlEEZNS1_11reduce_implILb1ES3_PlS7_lN6hipcub16HIPCUB_304000_NS6detail34convert_binary_result_type_wrapperINS9_3SumENS9_22TransformInputIteratorIb7NonZeroIsEPslEElEEEE10hipError_tPvRmT1_T2_T3_mT4_P12ihipStream_tbEUlT_E0_NS1_11comp_targetILNS1_3genE0ELNS1_11target_archE4294967295ELNS1_3gpuE0ELNS1_3repE0EEENS1_30default_config_static_selectorELNS0_4arch9wavefront6targetE1EEEvSM_ ; -- Begin function _ZN7rocprim17ROCPRIM_400000_NS6detail17trampoline_kernelINS0_14default_configENS1_22reduce_config_selectorIlEEZNS1_11reduce_implILb1ES3_PlS7_lN6hipcub16HIPCUB_304000_NS6detail34convert_binary_result_type_wrapperINS9_3SumENS9_22TransformInputIteratorIb7NonZeroIsEPslEElEEEE10hipError_tPvRmT1_T2_T3_mT4_P12ihipStream_tbEUlT_E0_NS1_11comp_targetILNS1_3genE0ELNS1_11target_archE4294967295ELNS1_3gpuE0ELNS1_3repE0EEENS1_30default_config_static_selectorELNS0_4arch9wavefront6targetE1EEEvSM_
	.globl	_ZN7rocprim17ROCPRIM_400000_NS6detail17trampoline_kernelINS0_14default_configENS1_22reduce_config_selectorIlEEZNS1_11reduce_implILb1ES3_PlS7_lN6hipcub16HIPCUB_304000_NS6detail34convert_binary_result_type_wrapperINS9_3SumENS9_22TransformInputIteratorIb7NonZeroIsEPslEElEEEE10hipError_tPvRmT1_T2_T3_mT4_P12ihipStream_tbEUlT_E0_NS1_11comp_targetILNS1_3genE0ELNS1_11target_archE4294967295ELNS1_3gpuE0ELNS1_3repE0EEENS1_30default_config_static_selectorELNS0_4arch9wavefront6targetE1EEEvSM_
	.p2align	8
	.type	_ZN7rocprim17ROCPRIM_400000_NS6detail17trampoline_kernelINS0_14default_configENS1_22reduce_config_selectorIlEEZNS1_11reduce_implILb1ES3_PlS7_lN6hipcub16HIPCUB_304000_NS6detail34convert_binary_result_type_wrapperINS9_3SumENS9_22TransformInputIteratorIb7NonZeroIsEPslEElEEEE10hipError_tPvRmT1_T2_T3_mT4_P12ihipStream_tbEUlT_E0_NS1_11comp_targetILNS1_3genE0ELNS1_11target_archE4294967295ELNS1_3gpuE0ELNS1_3repE0EEENS1_30default_config_static_selectorELNS0_4arch9wavefront6targetE1EEEvSM_,@function
_ZN7rocprim17ROCPRIM_400000_NS6detail17trampoline_kernelINS0_14default_configENS1_22reduce_config_selectorIlEEZNS1_11reduce_implILb1ES3_PlS7_lN6hipcub16HIPCUB_304000_NS6detail34convert_binary_result_type_wrapperINS9_3SumENS9_22TransformInputIteratorIb7NonZeroIsEPslEElEEEE10hipError_tPvRmT1_T2_T3_mT4_P12ihipStream_tbEUlT_E0_NS1_11comp_targetILNS1_3genE0ELNS1_11target_archE4294967295ELNS1_3gpuE0ELNS1_3repE0EEENS1_30default_config_static_selectorELNS0_4arch9wavefront6targetE1EEEvSM_: ; @_ZN7rocprim17ROCPRIM_400000_NS6detail17trampoline_kernelINS0_14default_configENS1_22reduce_config_selectorIlEEZNS1_11reduce_implILb1ES3_PlS7_lN6hipcub16HIPCUB_304000_NS6detail34convert_binary_result_type_wrapperINS9_3SumENS9_22TransformInputIteratorIb7NonZeroIsEPslEElEEEE10hipError_tPvRmT1_T2_T3_mT4_P12ihipStream_tbEUlT_E0_NS1_11comp_targetILNS1_3genE0ELNS1_11target_archE4294967295ELNS1_3gpuE0ELNS1_3repE0EEENS1_30default_config_static_selectorELNS0_4arch9wavefront6targetE1EEEvSM_
; %bb.0:
	s_load_dwordx8 s[36:43], s[0:1], 0x0
	s_load_dwordx4 s[44:47], s[0:1], 0x20
	s_load_dwordx2 s[30:31], s[0:1], 0x30
	v_lshlrev_b32_e32 v34, 3, v0
	v_mbcnt_lo_u32_b32 v1, -1, 0
	s_waitcnt lgkmcnt(0)
	s_lshl_b64 s[0:1], s[38:39], 3
	s_add_u32 s8, s36, s0
	s_addc_u32 s9, s37, s1
	s_lshl_b32 s0, s2, 12
	s_mov_b32 s1, 0
	s_lshr_b64 s[4:5], s[40:41], 12
	s_lshl_b64 s[6:7], s[0:1], 3
	s_add_u32 s34, s8, s6
	s_mov_b32 s3, s1
	s_addc_u32 s35, s9, s7
	s_cmp_lg_u64 s[4:5], s[2:3]
	s_cbranch_scc0 .LBB81_6
; %bb.1:
	v_mov_b32_e32 v35, 0
	v_lshl_add_u64 v[2:3], s[34:35], 0, v[34:35]
	global_load_dwordx2 v[6:7], v34, s[34:35]
	global_load_dwordx2 v[8:9], v34, s[34:35] offset:2048
	v_add_co_u32_e32 v4, vcc, 0x1000, v2
	v_mov_b32_e32 v41, v35
	s_nop 0
	v_addc_co_u32_e32 v5, vcc, 0, v3, vcc
	v_add_co_u32_e32 v10, vcc, 0x2000, v2
	v_mov_b32_e32 v45, v35
	s_nop 0
	v_addc_co_u32_e32 v11, vcc, 0, v3, vcc
	global_load_dwordx2 v[12:13], v[4:5], off
	global_load_dwordx2 v[14:15], v[4:5], off offset:2048
	global_load_dwordx2 v[16:17], v[10:11], off
	global_load_dwordx2 v[18:19], v[10:11], off offset:2048
	v_add_co_u32_e32 v4, vcc, 0x3000, v2
	v_mov_b32_e32 v42, v35
	s_nop 0
	v_addc_co_u32_e32 v5, vcc, 0, v3, vcc
	v_add_co_u32_e32 v10, vcc, 0x4000, v2
	v_mov_b32_e32 v49, v35
	s_nop 0
	v_addc_co_u32_e32 v11, vcc, 0, v3, vcc
	global_load_dwordx2 v[20:21], v[4:5], off
	global_load_dwordx2 v[22:23], v[4:5], off offset:2048
	global_load_dwordx2 v[24:25], v[10:11], off
	global_load_dwordx2 v[26:27], v[10:11], off offset:2048
	;; [unrolled: 12-line block ×3, first 2 shown]
	v_add_co_u32_e32 v2, vcc, 0x7000, v2
	v_mov_b32_e32 v50, v35
	s_nop 0
	v_addc_co_u32_e32 v3, vcc, 0, v3, vcc
	global_load_dwordx2 v[10:11], v[2:3], off
	global_load_dwordx2 v[38:39], v[2:3], off offset:2048
	v_mov_b32_e32 v2, v35
	v_mov_b32_e32 v57, v35
	;; [unrolled: 1-line block ×3, first 2 shown]
	v_mbcnt_hi_u32_b32 v4, -1, v1
	v_mov_b32_e32 v59, v35
	v_lshlrev_b32_e32 v5, 2, v4
	v_or_b32_e32 v35, 0xfc, v5
	v_cmp_eq_u32_e32 vcc, 0, v4
	s_waitcnt vmcnt(14)
	v_lshl_add_u64 v[6:7], v[8:9], 0, v[6:7]
	s_waitcnt vmcnt(13)
	v_lshl_add_u64 v[6:7], v[6:7], 0, v[12:13]
	;; [unrolled: 2-line block ×15, first 2 shown]
	s_nop 1
	v_mov_b32_dpp v40, v6 quad_perm:[1,0,3,2] row_mask:0xf bank_mask:0xf bound_ctrl:1
	v_mov_b32_dpp v3, v7 quad_perm:[1,0,3,2] row_mask:0xf bank_mask:0xf bound_ctrl:1
	v_lshl_add_u64 v[6:7], v[6:7], 0, v[40:41]
	v_lshl_add_u64 v[2:3], v[2:3], 0, v[6:7]
	s_nop 0
	v_mov_b32_dpp v44, v6 quad_perm:[2,3,0,1] row_mask:0xf bank_mask:0xf bound_ctrl:1
	v_mov_b32_dpp v43, v3 quad_perm:[2,3,0,1] row_mask:0xf bank_mask:0xf bound_ctrl:1
	v_lshl_add_u64 v[2:3], v[2:3], 0, v[44:45]
	v_lshl_add_u64 v[6:7], v[2:3], 0, v[42:43]
	s_nop 0
	v_mov_b32_dpp v48, v2 row_ror:4 row_mask:0xf bank_mask:0xf bound_ctrl:1
	v_mov_b32_dpp v47, v7 row_ror:4 row_mask:0xf bank_mask:0xf bound_ctrl:1
	v_lshl_add_u64 v[2:3], v[6:7], 0, v[48:49]
	v_lshl_add_u64 v[6:7], v[2:3], 0, v[46:47]
	s_nop 0
	v_mov_b32_dpp v52, v2 row_ror:8 row_mask:0xf bank_mask:0xf bound_ctrl:1
	v_mov_b32_dpp v51, v7 row_ror:8 row_mask:0xf bank_mask:0xf bound_ctrl:1
	v_lshl_add_u64 v[2:3], v[6:7], 0, v[52:53]
	v_lshl_add_u64 v[6:7], v[2:3], 0, v[50:51]
	s_nop 0
	v_mov_b32_dpp v56, v2 row_bcast:15 row_mask:0xf bank_mask:0xf bound_ctrl:1
	v_mov_b32_dpp v55, v7 row_bcast:15 row_mask:0xf bank_mask:0xf bound_ctrl:1
	v_lshl_add_u64 v[2:3], v[6:7], 0, v[56:57]
	v_lshl_add_u64 v[6:7], v[2:3], 0, v[54:55]
	s_nop 0
	v_mov_b32_dpp v58, v2 row_bcast:31 row_mask:0xf bank_mask:0xf bound_ctrl:1
	v_lshl_add_u64 v[2:3], v[6:7], 0, v[58:59]
	ds_bpermute_b32 v2, v35, v2
	s_nop 0
	v_add_u32_dpp v3, v7, v3 row_bcast:31 row_mask:0xf bank_mask:0xf bound_ctrl:1
	ds_bpermute_b32 v3, v35, v3
	s_and_saveexec_b64 s[4:5], vcc
	s_cbranch_execz .LBB81_3
; %bb.2:
	v_lshrrev_b32_e32 v6, 3, v0
	v_and_b32_e32 v6, 24, v6
	s_waitcnt lgkmcnt(0)
	ds_write_b64 v6, v[2:3]
.LBB81_3:
	s_or_b64 exec, exec, s[4:5]
	v_cmp_gt_u32_e32 vcc, 64, v0
	s_waitcnt lgkmcnt(0)
	s_barrier
	s_and_saveexec_b64 s[4:5], vcc
	s_cbranch_execz .LBB81_5
; %bb.4:
	v_and_b32_e32 v6, 3, v4
	v_lshlrev_b32_e32 v2, 3, v6
	ds_read_b64 v[2:3], v2
	v_cmp_ne_u32_e32 vcc, 3, v6
	v_or_b32_e32 v8, 8, v5
	s_nop 0
	v_addc_co_u32_e32 v4, vcc, 0, v4, vcc
	v_lshlrev_b32_e32 v6, 2, v4
	s_waitcnt lgkmcnt(0)
	ds_bpermute_b32 v4, v6, v2
	ds_bpermute_b32 v7, v6, v3
	v_mov_b32_e32 v6, 0
	v_mov_b32_e32 v5, v6
	s_waitcnt lgkmcnt(1)
	v_lshl_add_u64 v[2:3], v[2:3], 0, v[4:5]
	s_waitcnt lgkmcnt(0)
	v_lshl_add_u64 v[4:5], v[6:7], 0, v[2:3]
	ds_bpermute_b32 v2, v8, v2
	ds_bpermute_b32 v7, v8, v5
	v_mov_b32_e32 v3, v6
	s_waitcnt lgkmcnt(1)
	v_lshl_add_u64 v[2:3], v[4:5], 0, v[2:3]
	s_waitcnt lgkmcnt(0)
	v_lshl_add_u64 v[2:3], v[2:3], 0, v[6:7]
.LBB81_5:
	s_or_b64 exec, exec, s[4:5]
	s_branch .LBB81_48
.LBB81_6:
                                        ; implicit-def: $vgpr2_vgpr3
	s_cbranch_execz .LBB81_48
; %bb.7:
	s_sub_i32 s33, s40, s0
	v_mov_b32_e32 v2, 0
	v_cmp_gt_u32_e32 vcc, s33, v0
	v_mov_b32_e32 v3, v2
	v_mov_b32_e32 v4, v2
	;; [unrolled: 1-line block ×31, first 2 shown]
	s_and_saveexec_b64 s[0:1], vcc
	s_cbranch_execz .LBB81_9
; %bb.8:
	global_load_dwordx2 v[36:37], v34, s[34:35]
	v_mov_b32_e32 v38, v2
	v_mov_b32_e32 v39, v2
	;; [unrolled: 1-line block ×30, first 2 shown]
	s_waitcnt vmcnt(0)
	v_mov_b64_e32 v[2:3], v[36:37]
	v_mov_b64_e32 v[4:5], v[38:39]
	;; [unrolled: 1-line block ×16, first 2 shown]
.LBB81_9:
	s_or_b64 exec, exec, s[0:1]
	v_or_b32_e32 v35, 0x100, v0
	v_cmp_gt_u32_e32 vcc, s33, v35
	s_and_saveexec_b64 s[0:1], vcc
	s_cbranch_execz .LBB81_11
; %bb.10:
	global_load_dwordx2 v[4:5], v34, s[34:35] offset:2048
.LBB81_11:
	s_or_b64 exec, exec, s[0:1]
	v_or_b32_e32 v34, 0x200, v0
	v_cmp_gt_u32_e64 s[0:1], s33, v34
	s_and_saveexec_b64 s[4:5], s[0:1]
	s_cbranch_execz .LBB81_13
; %bb.12:
	v_lshlrev_b32_e32 v6, 3, v34
	global_load_dwordx2 v[6:7], v6, s[34:35]
.LBB81_13:
	s_or_b64 exec, exec, s[4:5]
	v_or_b32_e32 v34, 0x300, v0
	v_cmp_gt_u32_e64 s[4:5], s33, v34
	s_and_saveexec_b64 s[6:7], s[4:5]
	s_cbranch_execz .LBB81_15
; %bb.14:
	v_lshlrev_b32_e32 v8, 3, v34
	global_load_dwordx2 v[8:9], v8, s[34:35]
.LBB81_15:
	;; [unrolled: 9-line block ×14, first 2 shown]
	s_or_b64 exec, exec, s[36:37]
	s_waitcnt vmcnt(0)
	v_cndmask_b32_e32 v5, 0, v5, vcc
	v_cndmask_b32_e32 v4, 0, v4, vcc
	v_lshl_add_u64 v[2:3], v[4:5], 0, v[2:3]
	v_cndmask_b32_e64 v5, 0, v7, s[0:1]
	v_cndmask_b32_e64 v4, 0, v6, s[0:1]
	v_lshl_add_u64 v[2:3], v[2:3], 0, v[4:5]
	v_cndmask_b32_e64 v5, 0, v9, s[4:5]
	v_cndmask_b32_e64 v4, 0, v8, s[4:5]
	;; [unrolled: 3-line block ×13, first 2 shown]
	v_mbcnt_hi_u32_b32 v1, -1, v1
	v_lshl_add_u64 v[2:3], v[2:3], 0, v[4:5]
	v_cndmask_b32_e64 v5, 0, v33, s[28:29]
	v_cndmask_b32_e64 v4, 0, v32, s[28:29]
	v_and_b32_e32 v9, 63, v1
	v_lshl_add_u64 v[2:3], v[2:3], 0, v[4:5]
	s_min_u32 s6, s33, 0x100
	v_and_b32_e32 v4, 0xc0, v0
	v_cmp_ne_u32_e32 vcc, 63, v9
	v_sub_u32_e64 v8, s6, v4 clamp
	v_mov_b32_e32 v6, 0
	v_addc_co_u32_e32 v4, vcc, 0, v1, vcc
	v_lshlrev_b32_e32 v5, 2, v4
	ds_bpermute_b32 v4, v5, v2
	ds_bpermute_b32 v7, v5, v3
	v_add_u32_e32 v10, 1, v9
	v_mov_b32_e32 v5, v6
	v_cmp_lt_u32_e64 s[0:1], v10, v8
	s_waitcnt lgkmcnt(1)
	v_lshl_add_u64 v[4:5], v[2:3], 0, v[4:5]
	v_cmp_gt_u32_e32 vcc, 62, v9
	s_waitcnt lgkmcnt(0)
	v_lshl_add_u64 v[6:7], v[4:5], 0, v[6:7]
	v_cndmask_b32_e64 v12, v2, v4, s[0:1]
	v_cndmask_b32_e64 v4, 0, 2, vcc
	v_cndmask_b32_e64 v5, v3, v7, s[0:1]
	v_add_lshl_u32 v4, v4, v1, 2
	ds_bpermute_b32 v10, v4, v12
	ds_bpermute_b32 v11, v4, v5
	v_cndmask_b32_e64 v4, v2, v6, s[0:1]
	v_add_u32_e32 v13, 2, v9
	v_cmp_lt_u32_e32 vcc, v13, v8
	v_cmp_gt_u32_e64 s[4:5], 60, v9
	s_waitcnt lgkmcnt(0)
	v_lshl_add_u64 v[6:7], v[10:11], 0, v[4:5]
	v_cndmask_b32_e32 v5, v5, v7, vcc
	v_cndmask_b32_e64 v7, 0, 4, s[4:5]
	v_cndmask_b32_e32 v12, v12, v6, vcc
	v_add_lshl_u32 v7, v7, v1, 2
	ds_bpermute_b32 v10, v7, v12
	ds_bpermute_b32 v11, v7, v5
	v_cndmask_b32_e32 v4, v4, v6, vcc
	v_add_u32_e32 v13, 4, v9
	v_cmp_lt_u32_e32 vcc, v13, v8
	v_cmp_gt_u32_e64 s[4:5], 56, v9
	s_waitcnt lgkmcnt(0)
	v_lshl_add_u64 v[6:7], v[10:11], 0, v[4:5]
	v_cndmask_b32_e32 v5, v5, v7, vcc
	v_cndmask_b32_e64 v7, 0, 8, s[4:5]
	v_cndmask_b32_e32 v12, v12, v6, vcc
	v_add_lshl_u32 v7, v7, v1, 2
	ds_bpermute_b32 v10, v7, v12
	ds_bpermute_b32 v11, v7, v5
	v_cndmask_b32_e32 v4, v4, v6, vcc
	;; [unrolled: 12-line block ×3, first 2 shown]
	v_add_u32_e32 v13, 16, v9
	v_cmp_lt_u32_e32 vcc, v13, v8
	s_waitcnt lgkmcnt(0)
	v_lshl_add_u64 v[6:7], v[10:11], 0, v[4:5]
	v_lshlrev_b32_e32 v10, 2, v1
	v_cndmask_b32_e32 v13, v5, v7, vcc
	v_cndmask_b32_e32 v11, v12, v6, vcc
	v_or_b32_e32 v12, 0x80, v10
	ds_bpermute_b32 v11, v12, v11
	ds_bpermute_b32 v12, v12, v13
	s_and_saveexec_b64 s[4:5], s[0:1]
	s_cbranch_execz .LBB81_41
; %bb.40:
	v_add_u32_e32 v9, 32, v9
	v_cndmask_b32_e32 v3, v5, v7, vcc
	v_cndmask_b32_e32 v2, v4, v6, vcc
	v_cmp_lt_u32_e32 vcc, v9, v8
	s_waitcnt lgkmcnt(0)
	s_nop 0
	v_cndmask_b32_e32 v5, 0, v12, vcc
	v_cndmask_b32_e32 v4, 0, v11, vcc
	v_lshl_add_u64 v[2:3], v[2:3], 0, v[4:5]
.LBB81_41:
	s_or_b64 exec, exec, s[4:5]
	v_cmp_eq_u32_e32 vcc, 0, v1
	s_and_saveexec_b64 s[0:1], vcc
; %bb.42:
	v_lshrrev_b32_e32 v4, 3, v0
	v_and_b32_e32 v4, 24, v4
	ds_write_b64 v4, v[2:3] offset:32
; %bb.43:
	s_or_b64 exec, exec, s[0:1]
	v_cmp_gt_u32_e32 vcc, 4, v0
	s_waitcnt lgkmcnt(0)
	s_barrier
	s_and_saveexec_b64 s[0:1], vcc
	s_cbranch_execz .LBB81_47
; %bb.44:
	v_lshlrev_b32_e32 v2, 3, v1
	ds_read_b64 v[2:3], v2 offset:32
	v_and_b32_e32 v6, 3, v1
	v_cmp_ne_u32_e32 vcc, 3, v6
	v_mov_b32_e32 v8, 0
	s_add_i32 s6, s6, 63
	v_addc_co_u32_e32 v1, vcc, 0, v1, vcc
	v_lshlrev_b32_e32 v1, 2, v1
	s_waitcnt lgkmcnt(0)
	ds_bpermute_b32 v4, v1, v2
	ds_bpermute_b32 v9, v1, v3
	v_mov_b32_e32 v5, v8
	s_lshr_b32 s6, s6, 6
	v_add_u32_e32 v1, 1, v6
	s_waitcnt lgkmcnt(1)
	v_lshl_add_u64 v[12:13], v[2:3], 0, v[4:5]
	s_waitcnt lgkmcnt(0)
	v_lshl_add_u64 v[4:5], v[8:9], 0, v[12:13]
	v_cmp_gt_u32_e32 vcc, s6, v1
	v_or_b32_e32 v8, 8, v10
	s_nop 0
	v_cndmask_b32_e32 v7, v3, v5, vcc
	v_cndmask_b32_e32 v1, v2, v12, vcc
	ds_bpermute_b32 v1, v8, v1
	ds_bpermute_b32 v7, v8, v7
	s_and_saveexec_b64 s[4:5], vcc
	s_cbranch_execz .LBB81_46
; %bb.45:
	v_add_u32_e32 v2, 2, v6
	v_cmp_gt_u32_e32 vcc, s6, v2
	s_waitcnt lgkmcnt(0)
	s_nop 0
	v_cndmask_b32_e32 v3, 0, v7, vcc
	v_cndmask_b32_e32 v2, 0, v1, vcc
	v_lshl_add_u64 v[2:3], v[2:3], 0, v[4:5]
.LBB81_46:
	s_or_b64 exec, exec, s[4:5]
.LBB81_47:
	s_or_b64 exec, exec, s[0:1]
.LBB81_48:
	v_cmp_eq_u32_e32 vcc, 0, v0
	s_and_saveexec_b64 s[0:1], vcc
	s_cbranch_execnz .LBB81_50
; %bb.49:
	s_endpgm
.LBB81_50:
	s_mul_i32 s0, s46, s45
	s_mul_hi_u32 s1, s46, s44
	s_add_i32 s0, s1, s0
	s_mul_i32 s1, s47, s44
	s_add_i32 s1, s0, s1
	s_mul_i32 s0, s46, s44
	s_lshl_b64 s[0:1], s[0:1], 3
	s_add_u32 s4, s42, s0
	s_addc_u32 s5, s43, s1
	s_cmp_eq_u64 s[40:41], 0
	v_mov_b32_e32 v0, s31
	s_cselect_b64 vcc, -1, 0
	s_lshl_b64 s[0:1], s[2:3], 3
	s_waitcnt lgkmcnt(1)
	v_cndmask_b32_e32 v1, v3, v0, vcc
	v_mov_b32_e32 v0, s30
	s_add_u32 s0, s4, s0
	v_cndmask_b32_e32 v0, v2, v0, vcc
	s_addc_u32 s1, s5, s1
	v_mov_b32_e32 v2, 0
	global_store_dwordx2 v2, v[0:1], s[0:1]
	s_endpgm
	.section	.rodata,"a",@progbits
	.p2align	6, 0x0
	.amdhsa_kernel _ZN7rocprim17ROCPRIM_400000_NS6detail17trampoline_kernelINS0_14default_configENS1_22reduce_config_selectorIlEEZNS1_11reduce_implILb1ES3_PlS7_lN6hipcub16HIPCUB_304000_NS6detail34convert_binary_result_type_wrapperINS9_3SumENS9_22TransformInputIteratorIb7NonZeroIsEPslEElEEEE10hipError_tPvRmT1_T2_T3_mT4_P12ihipStream_tbEUlT_E0_NS1_11comp_targetILNS1_3genE0ELNS1_11target_archE4294967295ELNS1_3gpuE0ELNS1_3repE0EEENS1_30default_config_static_selectorELNS0_4arch9wavefront6targetE1EEEvSM_
		.amdhsa_group_segment_fixed_size 64
		.amdhsa_private_segment_fixed_size 0
		.amdhsa_kernarg_size 64
		.amdhsa_user_sgpr_count 2
		.amdhsa_user_sgpr_dispatch_ptr 0
		.amdhsa_user_sgpr_queue_ptr 0
		.amdhsa_user_sgpr_kernarg_segment_ptr 1
		.amdhsa_user_sgpr_dispatch_id 0
		.amdhsa_user_sgpr_kernarg_preload_length 0
		.amdhsa_user_sgpr_kernarg_preload_offset 0
		.amdhsa_user_sgpr_private_segment_size 0
		.amdhsa_uses_dynamic_stack 0
		.amdhsa_enable_private_segment 0
		.amdhsa_system_sgpr_workgroup_id_x 1
		.amdhsa_system_sgpr_workgroup_id_y 0
		.amdhsa_system_sgpr_workgroup_id_z 0
		.amdhsa_system_sgpr_workgroup_info 0
		.amdhsa_system_vgpr_workitem_id 0
		.amdhsa_next_free_vgpr 68
		.amdhsa_next_free_sgpr 48
		.amdhsa_accum_offset 68
		.amdhsa_reserve_vcc 1
		.amdhsa_float_round_mode_32 0
		.amdhsa_float_round_mode_16_64 0
		.amdhsa_float_denorm_mode_32 3
		.amdhsa_float_denorm_mode_16_64 3
		.amdhsa_dx10_clamp 1
		.amdhsa_ieee_mode 1
		.amdhsa_fp16_overflow 0
		.amdhsa_tg_split 0
		.amdhsa_exception_fp_ieee_invalid_op 0
		.amdhsa_exception_fp_denorm_src 0
		.amdhsa_exception_fp_ieee_div_zero 0
		.amdhsa_exception_fp_ieee_overflow 0
		.amdhsa_exception_fp_ieee_underflow 0
		.amdhsa_exception_fp_ieee_inexact 0
		.amdhsa_exception_int_div_zero 0
	.end_amdhsa_kernel
	.section	.text._ZN7rocprim17ROCPRIM_400000_NS6detail17trampoline_kernelINS0_14default_configENS1_22reduce_config_selectorIlEEZNS1_11reduce_implILb1ES3_PlS7_lN6hipcub16HIPCUB_304000_NS6detail34convert_binary_result_type_wrapperINS9_3SumENS9_22TransformInputIteratorIb7NonZeroIsEPslEElEEEE10hipError_tPvRmT1_T2_T3_mT4_P12ihipStream_tbEUlT_E0_NS1_11comp_targetILNS1_3genE0ELNS1_11target_archE4294967295ELNS1_3gpuE0ELNS1_3repE0EEENS1_30default_config_static_selectorELNS0_4arch9wavefront6targetE1EEEvSM_,"axG",@progbits,_ZN7rocprim17ROCPRIM_400000_NS6detail17trampoline_kernelINS0_14default_configENS1_22reduce_config_selectorIlEEZNS1_11reduce_implILb1ES3_PlS7_lN6hipcub16HIPCUB_304000_NS6detail34convert_binary_result_type_wrapperINS9_3SumENS9_22TransformInputIteratorIb7NonZeroIsEPslEElEEEE10hipError_tPvRmT1_T2_T3_mT4_P12ihipStream_tbEUlT_E0_NS1_11comp_targetILNS1_3genE0ELNS1_11target_archE4294967295ELNS1_3gpuE0ELNS1_3repE0EEENS1_30default_config_static_selectorELNS0_4arch9wavefront6targetE1EEEvSM_,comdat
.Lfunc_end81:
	.size	_ZN7rocprim17ROCPRIM_400000_NS6detail17trampoline_kernelINS0_14default_configENS1_22reduce_config_selectorIlEEZNS1_11reduce_implILb1ES3_PlS7_lN6hipcub16HIPCUB_304000_NS6detail34convert_binary_result_type_wrapperINS9_3SumENS9_22TransformInputIteratorIb7NonZeroIsEPslEElEEEE10hipError_tPvRmT1_T2_T3_mT4_P12ihipStream_tbEUlT_E0_NS1_11comp_targetILNS1_3genE0ELNS1_11target_archE4294967295ELNS1_3gpuE0ELNS1_3repE0EEENS1_30default_config_static_selectorELNS0_4arch9wavefront6targetE1EEEvSM_, .Lfunc_end81-_ZN7rocprim17ROCPRIM_400000_NS6detail17trampoline_kernelINS0_14default_configENS1_22reduce_config_selectorIlEEZNS1_11reduce_implILb1ES3_PlS7_lN6hipcub16HIPCUB_304000_NS6detail34convert_binary_result_type_wrapperINS9_3SumENS9_22TransformInputIteratorIb7NonZeroIsEPslEElEEEE10hipError_tPvRmT1_T2_T3_mT4_P12ihipStream_tbEUlT_E0_NS1_11comp_targetILNS1_3genE0ELNS1_11target_archE4294967295ELNS1_3gpuE0ELNS1_3repE0EEENS1_30default_config_static_selectorELNS0_4arch9wavefront6targetE1EEEvSM_
                                        ; -- End function
	.set _ZN7rocprim17ROCPRIM_400000_NS6detail17trampoline_kernelINS0_14default_configENS1_22reduce_config_selectorIlEEZNS1_11reduce_implILb1ES3_PlS7_lN6hipcub16HIPCUB_304000_NS6detail34convert_binary_result_type_wrapperINS9_3SumENS9_22TransformInputIteratorIb7NonZeroIsEPslEElEEEE10hipError_tPvRmT1_T2_T3_mT4_P12ihipStream_tbEUlT_E0_NS1_11comp_targetILNS1_3genE0ELNS1_11target_archE4294967295ELNS1_3gpuE0ELNS1_3repE0EEENS1_30default_config_static_selectorELNS0_4arch9wavefront6targetE1EEEvSM_.num_vgpr, 68
	.set _ZN7rocprim17ROCPRIM_400000_NS6detail17trampoline_kernelINS0_14default_configENS1_22reduce_config_selectorIlEEZNS1_11reduce_implILb1ES3_PlS7_lN6hipcub16HIPCUB_304000_NS6detail34convert_binary_result_type_wrapperINS9_3SumENS9_22TransformInputIteratorIb7NonZeroIsEPslEElEEEE10hipError_tPvRmT1_T2_T3_mT4_P12ihipStream_tbEUlT_E0_NS1_11comp_targetILNS1_3genE0ELNS1_11target_archE4294967295ELNS1_3gpuE0ELNS1_3repE0EEENS1_30default_config_static_selectorELNS0_4arch9wavefront6targetE1EEEvSM_.num_agpr, 0
	.set _ZN7rocprim17ROCPRIM_400000_NS6detail17trampoline_kernelINS0_14default_configENS1_22reduce_config_selectorIlEEZNS1_11reduce_implILb1ES3_PlS7_lN6hipcub16HIPCUB_304000_NS6detail34convert_binary_result_type_wrapperINS9_3SumENS9_22TransformInputIteratorIb7NonZeroIsEPslEElEEEE10hipError_tPvRmT1_T2_T3_mT4_P12ihipStream_tbEUlT_E0_NS1_11comp_targetILNS1_3genE0ELNS1_11target_archE4294967295ELNS1_3gpuE0ELNS1_3repE0EEENS1_30default_config_static_selectorELNS0_4arch9wavefront6targetE1EEEvSM_.numbered_sgpr, 48
	.set _ZN7rocprim17ROCPRIM_400000_NS6detail17trampoline_kernelINS0_14default_configENS1_22reduce_config_selectorIlEEZNS1_11reduce_implILb1ES3_PlS7_lN6hipcub16HIPCUB_304000_NS6detail34convert_binary_result_type_wrapperINS9_3SumENS9_22TransformInputIteratorIb7NonZeroIsEPslEElEEEE10hipError_tPvRmT1_T2_T3_mT4_P12ihipStream_tbEUlT_E0_NS1_11comp_targetILNS1_3genE0ELNS1_11target_archE4294967295ELNS1_3gpuE0ELNS1_3repE0EEENS1_30default_config_static_selectorELNS0_4arch9wavefront6targetE1EEEvSM_.num_named_barrier, 0
	.set _ZN7rocprim17ROCPRIM_400000_NS6detail17trampoline_kernelINS0_14default_configENS1_22reduce_config_selectorIlEEZNS1_11reduce_implILb1ES3_PlS7_lN6hipcub16HIPCUB_304000_NS6detail34convert_binary_result_type_wrapperINS9_3SumENS9_22TransformInputIteratorIb7NonZeroIsEPslEElEEEE10hipError_tPvRmT1_T2_T3_mT4_P12ihipStream_tbEUlT_E0_NS1_11comp_targetILNS1_3genE0ELNS1_11target_archE4294967295ELNS1_3gpuE0ELNS1_3repE0EEENS1_30default_config_static_selectorELNS0_4arch9wavefront6targetE1EEEvSM_.private_seg_size, 0
	.set _ZN7rocprim17ROCPRIM_400000_NS6detail17trampoline_kernelINS0_14default_configENS1_22reduce_config_selectorIlEEZNS1_11reduce_implILb1ES3_PlS7_lN6hipcub16HIPCUB_304000_NS6detail34convert_binary_result_type_wrapperINS9_3SumENS9_22TransformInputIteratorIb7NonZeroIsEPslEElEEEE10hipError_tPvRmT1_T2_T3_mT4_P12ihipStream_tbEUlT_E0_NS1_11comp_targetILNS1_3genE0ELNS1_11target_archE4294967295ELNS1_3gpuE0ELNS1_3repE0EEENS1_30default_config_static_selectorELNS0_4arch9wavefront6targetE1EEEvSM_.uses_vcc, 1
	.set _ZN7rocprim17ROCPRIM_400000_NS6detail17trampoline_kernelINS0_14default_configENS1_22reduce_config_selectorIlEEZNS1_11reduce_implILb1ES3_PlS7_lN6hipcub16HIPCUB_304000_NS6detail34convert_binary_result_type_wrapperINS9_3SumENS9_22TransformInputIteratorIb7NonZeroIsEPslEElEEEE10hipError_tPvRmT1_T2_T3_mT4_P12ihipStream_tbEUlT_E0_NS1_11comp_targetILNS1_3genE0ELNS1_11target_archE4294967295ELNS1_3gpuE0ELNS1_3repE0EEENS1_30default_config_static_selectorELNS0_4arch9wavefront6targetE1EEEvSM_.uses_flat_scratch, 0
	.set _ZN7rocprim17ROCPRIM_400000_NS6detail17trampoline_kernelINS0_14default_configENS1_22reduce_config_selectorIlEEZNS1_11reduce_implILb1ES3_PlS7_lN6hipcub16HIPCUB_304000_NS6detail34convert_binary_result_type_wrapperINS9_3SumENS9_22TransformInputIteratorIb7NonZeroIsEPslEElEEEE10hipError_tPvRmT1_T2_T3_mT4_P12ihipStream_tbEUlT_E0_NS1_11comp_targetILNS1_3genE0ELNS1_11target_archE4294967295ELNS1_3gpuE0ELNS1_3repE0EEENS1_30default_config_static_selectorELNS0_4arch9wavefront6targetE1EEEvSM_.has_dyn_sized_stack, 0
	.set _ZN7rocprim17ROCPRIM_400000_NS6detail17trampoline_kernelINS0_14default_configENS1_22reduce_config_selectorIlEEZNS1_11reduce_implILb1ES3_PlS7_lN6hipcub16HIPCUB_304000_NS6detail34convert_binary_result_type_wrapperINS9_3SumENS9_22TransformInputIteratorIb7NonZeroIsEPslEElEEEE10hipError_tPvRmT1_T2_T3_mT4_P12ihipStream_tbEUlT_E0_NS1_11comp_targetILNS1_3genE0ELNS1_11target_archE4294967295ELNS1_3gpuE0ELNS1_3repE0EEENS1_30default_config_static_selectorELNS0_4arch9wavefront6targetE1EEEvSM_.has_recursion, 0
	.set _ZN7rocprim17ROCPRIM_400000_NS6detail17trampoline_kernelINS0_14default_configENS1_22reduce_config_selectorIlEEZNS1_11reduce_implILb1ES3_PlS7_lN6hipcub16HIPCUB_304000_NS6detail34convert_binary_result_type_wrapperINS9_3SumENS9_22TransformInputIteratorIb7NonZeroIsEPslEElEEEE10hipError_tPvRmT1_T2_T3_mT4_P12ihipStream_tbEUlT_E0_NS1_11comp_targetILNS1_3genE0ELNS1_11target_archE4294967295ELNS1_3gpuE0ELNS1_3repE0EEENS1_30default_config_static_selectorELNS0_4arch9wavefront6targetE1EEEvSM_.has_indirect_call, 0
	.section	.AMDGPU.csdata,"",@progbits
; Kernel info:
; codeLenInByte = 3128
; TotalNumSgprs: 54
; NumVgprs: 68
; NumAgprs: 0
; TotalNumVgprs: 68
; ScratchSize: 0
; MemoryBound: 0
; FloatMode: 240
; IeeeMode: 1
; LDSByteSize: 64 bytes/workgroup (compile time only)
; SGPRBlocks: 6
; VGPRBlocks: 8
; NumSGPRsForWavesPerEU: 54
; NumVGPRsForWavesPerEU: 68
; AccumOffset: 68
; Occupancy: 7
; WaveLimiterHint : 1
; COMPUTE_PGM_RSRC2:SCRATCH_EN: 0
; COMPUTE_PGM_RSRC2:USER_SGPR: 2
; COMPUTE_PGM_RSRC2:TRAP_HANDLER: 0
; COMPUTE_PGM_RSRC2:TGID_X_EN: 1
; COMPUTE_PGM_RSRC2:TGID_Y_EN: 0
; COMPUTE_PGM_RSRC2:TGID_Z_EN: 0
; COMPUTE_PGM_RSRC2:TIDIG_COMP_CNT: 0
; COMPUTE_PGM_RSRC3_GFX90A:ACCUM_OFFSET: 16
; COMPUTE_PGM_RSRC3_GFX90A:TG_SPLIT: 0
	.section	.text._ZN7rocprim17ROCPRIM_400000_NS6detail17trampoline_kernelINS0_14default_configENS1_22reduce_config_selectorIlEEZNS1_11reduce_implILb1ES3_PlS7_lN6hipcub16HIPCUB_304000_NS6detail34convert_binary_result_type_wrapperINS9_3SumENS9_22TransformInputIteratorIb7NonZeroIsEPslEElEEEE10hipError_tPvRmT1_T2_T3_mT4_P12ihipStream_tbEUlT_E0_NS1_11comp_targetILNS1_3genE5ELNS1_11target_archE942ELNS1_3gpuE9ELNS1_3repE0EEENS1_30default_config_static_selectorELNS0_4arch9wavefront6targetE1EEEvSM_,"axG",@progbits,_ZN7rocprim17ROCPRIM_400000_NS6detail17trampoline_kernelINS0_14default_configENS1_22reduce_config_selectorIlEEZNS1_11reduce_implILb1ES3_PlS7_lN6hipcub16HIPCUB_304000_NS6detail34convert_binary_result_type_wrapperINS9_3SumENS9_22TransformInputIteratorIb7NonZeroIsEPslEElEEEE10hipError_tPvRmT1_T2_T3_mT4_P12ihipStream_tbEUlT_E0_NS1_11comp_targetILNS1_3genE5ELNS1_11target_archE942ELNS1_3gpuE9ELNS1_3repE0EEENS1_30default_config_static_selectorELNS0_4arch9wavefront6targetE1EEEvSM_,comdat
	.protected	_ZN7rocprim17ROCPRIM_400000_NS6detail17trampoline_kernelINS0_14default_configENS1_22reduce_config_selectorIlEEZNS1_11reduce_implILb1ES3_PlS7_lN6hipcub16HIPCUB_304000_NS6detail34convert_binary_result_type_wrapperINS9_3SumENS9_22TransformInputIteratorIb7NonZeroIsEPslEElEEEE10hipError_tPvRmT1_T2_T3_mT4_P12ihipStream_tbEUlT_E0_NS1_11comp_targetILNS1_3genE5ELNS1_11target_archE942ELNS1_3gpuE9ELNS1_3repE0EEENS1_30default_config_static_selectorELNS0_4arch9wavefront6targetE1EEEvSM_ ; -- Begin function _ZN7rocprim17ROCPRIM_400000_NS6detail17trampoline_kernelINS0_14default_configENS1_22reduce_config_selectorIlEEZNS1_11reduce_implILb1ES3_PlS7_lN6hipcub16HIPCUB_304000_NS6detail34convert_binary_result_type_wrapperINS9_3SumENS9_22TransformInputIteratorIb7NonZeroIsEPslEElEEEE10hipError_tPvRmT1_T2_T3_mT4_P12ihipStream_tbEUlT_E0_NS1_11comp_targetILNS1_3genE5ELNS1_11target_archE942ELNS1_3gpuE9ELNS1_3repE0EEENS1_30default_config_static_selectorELNS0_4arch9wavefront6targetE1EEEvSM_
	.globl	_ZN7rocprim17ROCPRIM_400000_NS6detail17trampoline_kernelINS0_14default_configENS1_22reduce_config_selectorIlEEZNS1_11reduce_implILb1ES3_PlS7_lN6hipcub16HIPCUB_304000_NS6detail34convert_binary_result_type_wrapperINS9_3SumENS9_22TransformInputIteratorIb7NonZeroIsEPslEElEEEE10hipError_tPvRmT1_T2_T3_mT4_P12ihipStream_tbEUlT_E0_NS1_11comp_targetILNS1_3genE5ELNS1_11target_archE942ELNS1_3gpuE9ELNS1_3repE0EEENS1_30default_config_static_selectorELNS0_4arch9wavefront6targetE1EEEvSM_
	.p2align	8
	.type	_ZN7rocprim17ROCPRIM_400000_NS6detail17trampoline_kernelINS0_14default_configENS1_22reduce_config_selectorIlEEZNS1_11reduce_implILb1ES3_PlS7_lN6hipcub16HIPCUB_304000_NS6detail34convert_binary_result_type_wrapperINS9_3SumENS9_22TransformInputIteratorIb7NonZeroIsEPslEElEEEE10hipError_tPvRmT1_T2_T3_mT4_P12ihipStream_tbEUlT_E0_NS1_11comp_targetILNS1_3genE5ELNS1_11target_archE942ELNS1_3gpuE9ELNS1_3repE0EEENS1_30default_config_static_selectorELNS0_4arch9wavefront6targetE1EEEvSM_,@function
_ZN7rocprim17ROCPRIM_400000_NS6detail17trampoline_kernelINS0_14default_configENS1_22reduce_config_selectorIlEEZNS1_11reduce_implILb1ES3_PlS7_lN6hipcub16HIPCUB_304000_NS6detail34convert_binary_result_type_wrapperINS9_3SumENS9_22TransformInputIteratorIb7NonZeroIsEPslEElEEEE10hipError_tPvRmT1_T2_T3_mT4_P12ihipStream_tbEUlT_E0_NS1_11comp_targetILNS1_3genE5ELNS1_11target_archE942ELNS1_3gpuE9ELNS1_3repE0EEENS1_30default_config_static_selectorELNS0_4arch9wavefront6targetE1EEEvSM_: ; @_ZN7rocprim17ROCPRIM_400000_NS6detail17trampoline_kernelINS0_14default_configENS1_22reduce_config_selectorIlEEZNS1_11reduce_implILb1ES3_PlS7_lN6hipcub16HIPCUB_304000_NS6detail34convert_binary_result_type_wrapperINS9_3SumENS9_22TransformInputIteratorIb7NonZeroIsEPslEElEEEE10hipError_tPvRmT1_T2_T3_mT4_P12ihipStream_tbEUlT_E0_NS1_11comp_targetILNS1_3genE5ELNS1_11target_archE942ELNS1_3gpuE9ELNS1_3repE0EEENS1_30default_config_static_selectorELNS0_4arch9wavefront6targetE1EEEvSM_
; %bb.0:
	.section	.rodata,"a",@progbits
	.p2align	6, 0x0
	.amdhsa_kernel _ZN7rocprim17ROCPRIM_400000_NS6detail17trampoline_kernelINS0_14default_configENS1_22reduce_config_selectorIlEEZNS1_11reduce_implILb1ES3_PlS7_lN6hipcub16HIPCUB_304000_NS6detail34convert_binary_result_type_wrapperINS9_3SumENS9_22TransformInputIteratorIb7NonZeroIsEPslEElEEEE10hipError_tPvRmT1_T2_T3_mT4_P12ihipStream_tbEUlT_E0_NS1_11comp_targetILNS1_3genE5ELNS1_11target_archE942ELNS1_3gpuE9ELNS1_3repE0EEENS1_30default_config_static_selectorELNS0_4arch9wavefront6targetE1EEEvSM_
		.amdhsa_group_segment_fixed_size 0
		.amdhsa_private_segment_fixed_size 0
		.amdhsa_kernarg_size 64
		.amdhsa_user_sgpr_count 2
		.amdhsa_user_sgpr_dispatch_ptr 0
		.amdhsa_user_sgpr_queue_ptr 0
		.amdhsa_user_sgpr_kernarg_segment_ptr 1
		.amdhsa_user_sgpr_dispatch_id 0
		.amdhsa_user_sgpr_kernarg_preload_length 0
		.amdhsa_user_sgpr_kernarg_preload_offset 0
		.amdhsa_user_sgpr_private_segment_size 0
		.amdhsa_uses_dynamic_stack 0
		.amdhsa_enable_private_segment 0
		.amdhsa_system_sgpr_workgroup_id_x 1
		.amdhsa_system_sgpr_workgroup_id_y 0
		.amdhsa_system_sgpr_workgroup_id_z 0
		.amdhsa_system_sgpr_workgroup_info 0
		.amdhsa_system_vgpr_workitem_id 0
		.amdhsa_next_free_vgpr 1
		.amdhsa_next_free_sgpr 0
		.amdhsa_accum_offset 4
		.amdhsa_reserve_vcc 0
		.amdhsa_float_round_mode_32 0
		.amdhsa_float_round_mode_16_64 0
		.amdhsa_float_denorm_mode_32 3
		.amdhsa_float_denorm_mode_16_64 3
		.amdhsa_dx10_clamp 1
		.amdhsa_ieee_mode 1
		.amdhsa_fp16_overflow 0
		.amdhsa_tg_split 0
		.amdhsa_exception_fp_ieee_invalid_op 0
		.amdhsa_exception_fp_denorm_src 0
		.amdhsa_exception_fp_ieee_div_zero 0
		.amdhsa_exception_fp_ieee_overflow 0
		.amdhsa_exception_fp_ieee_underflow 0
		.amdhsa_exception_fp_ieee_inexact 0
		.amdhsa_exception_int_div_zero 0
	.end_amdhsa_kernel
	.section	.text._ZN7rocprim17ROCPRIM_400000_NS6detail17trampoline_kernelINS0_14default_configENS1_22reduce_config_selectorIlEEZNS1_11reduce_implILb1ES3_PlS7_lN6hipcub16HIPCUB_304000_NS6detail34convert_binary_result_type_wrapperINS9_3SumENS9_22TransformInputIteratorIb7NonZeroIsEPslEElEEEE10hipError_tPvRmT1_T2_T3_mT4_P12ihipStream_tbEUlT_E0_NS1_11comp_targetILNS1_3genE5ELNS1_11target_archE942ELNS1_3gpuE9ELNS1_3repE0EEENS1_30default_config_static_selectorELNS0_4arch9wavefront6targetE1EEEvSM_,"axG",@progbits,_ZN7rocprim17ROCPRIM_400000_NS6detail17trampoline_kernelINS0_14default_configENS1_22reduce_config_selectorIlEEZNS1_11reduce_implILb1ES3_PlS7_lN6hipcub16HIPCUB_304000_NS6detail34convert_binary_result_type_wrapperINS9_3SumENS9_22TransformInputIteratorIb7NonZeroIsEPslEElEEEE10hipError_tPvRmT1_T2_T3_mT4_P12ihipStream_tbEUlT_E0_NS1_11comp_targetILNS1_3genE5ELNS1_11target_archE942ELNS1_3gpuE9ELNS1_3repE0EEENS1_30default_config_static_selectorELNS0_4arch9wavefront6targetE1EEEvSM_,comdat
.Lfunc_end82:
	.size	_ZN7rocprim17ROCPRIM_400000_NS6detail17trampoline_kernelINS0_14default_configENS1_22reduce_config_selectorIlEEZNS1_11reduce_implILb1ES3_PlS7_lN6hipcub16HIPCUB_304000_NS6detail34convert_binary_result_type_wrapperINS9_3SumENS9_22TransformInputIteratorIb7NonZeroIsEPslEElEEEE10hipError_tPvRmT1_T2_T3_mT4_P12ihipStream_tbEUlT_E0_NS1_11comp_targetILNS1_3genE5ELNS1_11target_archE942ELNS1_3gpuE9ELNS1_3repE0EEENS1_30default_config_static_selectorELNS0_4arch9wavefront6targetE1EEEvSM_, .Lfunc_end82-_ZN7rocprim17ROCPRIM_400000_NS6detail17trampoline_kernelINS0_14default_configENS1_22reduce_config_selectorIlEEZNS1_11reduce_implILb1ES3_PlS7_lN6hipcub16HIPCUB_304000_NS6detail34convert_binary_result_type_wrapperINS9_3SumENS9_22TransformInputIteratorIb7NonZeroIsEPslEElEEEE10hipError_tPvRmT1_T2_T3_mT4_P12ihipStream_tbEUlT_E0_NS1_11comp_targetILNS1_3genE5ELNS1_11target_archE942ELNS1_3gpuE9ELNS1_3repE0EEENS1_30default_config_static_selectorELNS0_4arch9wavefront6targetE1EEEvSM_
                                        ; -- End function
	.set _ZN7rocprim17ROCPRIM_400000_NS6detail17trampoline_kernelINS0_14default_configENS1_22reduce_config_selectorIlEEZNS1_11reduce_implILb1ES3_PlS7_lN6hipcub16HIPCUB_304000_NS6detail34convert_binary_result_type_wrapperINS9_3SumENS9_22TransformInputIteratorIb7NonZeroIsEPslEElEEEE10hipError_tPvRmT1_T2_T3_mT4_P12ihipStream_tbEUlT_E0_NS1_11comp_targetILNS1_3genE5ELNS1_11target_archE942ELNS1_3gpuE9ELNS1_3repE0EEENS1_30default_config_static_selectorELNS0_4arch9wavefront6targetE1EEEvSM_.num_vgpr, 0
	.set _ZN7rocprim17ROCPRIM_400000_NS6detail17trampoline_kernelINS0_14default_configENS1_22reduce_config_selectorIlEEZNS1_11reduce_implILb1ES3_PlS7_lN6hipcub16HIPCUB_304000_NS6detail34convert_binary_result_type_wrapperINS9_3SumENS9_22TransformInputIteratorIb7NonZeroIsEPslEElEEEE10hipError_tPvRmT1_T2_T3_mT4_P12ihipStream_tbEUlT_E0_NS1_11comp_targetILNS1_3genE5ELNS1_11target_archE942ELNS1_3gpuE9ELNS1_3repE0EEENS1_30default_config_static_selectorELNS0_4arch9wavefront6targetE1EEEvSM_.num_agpr, 0
	.set _ZN7rocprim17ROCPRIM_400000_NS6detail17trampoline_kernelINS0_14default_configENS1_22reduce_config_selectorIlEEZNS1_11reduce_implILb1ES3_PlS7_lN6hipcub16HIPCUB_304000_NS6detail34convert_binary_result_type_wrapperINS9_3SumENS9_22TransformInputIteratorIb7NonZeroIsEPslEElEEEE10hipError_tPvRmT1_T2_T3_mT4_P12ihipStream_tbEUlT_E0_NS1_11comp_targetILNS1_3genE5ELNS1_11target_archE942ELNS1_3gpuE9ELNS1_3repE0EEENS1_30default_config_static_selectorELNS0_4arch9wavefront6targetE1EEEvSM_.numbered_sgpr, 0
	.set _ZN7rocprim17ROCPRIM_400000_NS6detail17trampoline_kernelINS0_14default_configENS1_22reduce_config_selectorIlEEZNS1_11reduce_implILb1ES3_PlS7_lN6hipcub16HIPCUB_304000_NS6detail34convert_binary_result_type_wrapperINS9_3SumENS9_22TransformInputIteratorIb7NonZeroIsEPslEElEEEE10hipError_tPvRmT1_T2_T3_mT4_P12ihipStream_tbEUlT_E0_NS1_11comp_targetILNS1_3genE5ELNS1_11target_archE942ELNS1_3gpuE9ELNS1_3repE0EEENS1_30default_config_static_selectorELNS0_4arch9wavefront6targetE1EEEvSM_.num_named_barrier, 0
	.set _ZN7rocprim17ROCPRIM_400000_NS6detail17trampoline_kernelINS0_14default_configENS1_22reduce_config_selectorIlEEZNS1_11reduce_implILb1ES3_PlS7_lN6hipcub16HIPCUB_304000_NS6detail34convert_binary_result_type_wrapperINS9_3SumENS9_22TransformInputIteratorIb7NonZeroIsEPslEElEEEE10hipError_tPvRmT1_T2_T3_mT4_P12ihipStream_tbEUlT_E0_NS1_11comp_targetILNS1_3genE5ELNS1_11target_archE942ELNS1_3gpuE9ELNS1_3repE0EEENS1_30default_config_static_selectorELNS0_4arch9wavefront6targetE1EEEvSM_.private_seg_size, 0
	.set _ZN7rocprim17ROCPRIM_400000_NS6detail17trampoline_kernelINS0_14default_configENS1_22reduce_config_selectorIlEEZNS1_11reduce_implILb1ES3_PlS7_lN6hipcub16HIPCUB_304000_NS6detail34convert_binary_result_type_wrapperINS9_3SumENS9_22TransformInputIteratorIb7NonZeroIsEPslEElEEEE10hipError_tPvRmT1_T2_T3_mT4_P12ihipStream_tbEUlT_E0_NS1_11comp_targetILNS1_3genE5ELNS1_11target_archE942ELNS1_3gpuE9ELNS1_3repE0EEENS1_30default_config_static_selectorELNS0_4arch9wavefront6targetE1EEEvSM_.uses_vcc, 0
	.set _ZN7rocprim17ROCPRIM_400000_NS6detail17trampoline_kernelINS0_14default_configENS1_22reduce_config_selectorIlEEZNS1_11reduce_implILb1ES3_PlS7_lN6hipcub16HIPCUB_304000_NS6detail34convert_binary_result_type_wrapperINS9_3SumENS9_22TransformInputIteratorIb7NonZeroIsEPslEElEEEE10hipError_tPvRmT1_T2_T3_mT4_P12ihipStream_tbEUlT_E0_NS1_11comp_targetILNS1_3genE5ELNS1_11target_archE942ELNS1_3gpuE9ELNS1_3repE0EEENS1_30default_config_static_selectorELNS0_4arch9wavefront6targetE1EEEvSM_.uses_flat_scratch, 0
	.set _ZN7rocprim17ROCPRIM_400000_NS6detail17trampoline_kernelINS0_14default_configENS1_22reduce_config_selectorIlEEZNS1_11reduce_implILb1ES3_PlS7_lN6hipcub16HIPCUB_304000_NS6detail34convert_binary_result_type_wrapperINS9_3SumENS9_22TransformInputIteratorIb7NonZeroIsEPslEElEEEE10hipError_tPvRmT1_T2_T3_mT4_P12ihipStream_tbEUlT_E0_NS1_11comp_targetILNS1_3genE5ELNS1_11target_archE942ELNS1_3gpuE9ELNS1_3repE0EEENS1_30default_config_static_selectorELNS0_4arch9wavefront6targetE1EEEvSM_.has_dyn_sized_stack, 0
	.set _ZN7rocprim17ROCPRIM_400000_NS6detail17trampoline_kernelINS0_14default_configENS1_22reduce_config_selectorIlEEZNS1_11reduce_implILb1ES3_PlS7_lN6hipcub16HIPCUB_304000_NS6detail34convert_binary_result_type_wrapperINS9_3SumENS9_22TransformInputIteratorIb7NonZeroIsEPslEElEEEE10hipError_tPvRmT1_T2_T3_mT4_P12ihipStream_tbEUlT_E0_NS1_11comp_targetILNS1_3genE5ELNS1_11target_archE942ELNS1_3gpuE9ELNS1_3repE0EEENS1_30default_config_static_selectorELNS0_4arch9wavefront6targetE1EEEvSM_.has_recursion, 0
	.set _ZN7rocprim17ROCPRIM_400000_NS6detail17trampoline_kernelINS0_14default_configENS1_22reduce_config_selectorIlEEZNS1_11reduce_implILb1ES3_PlS7_lN6hipcub16HIPCUB_304000_NS6detail34convert_binary_result_type_wrapperINS9_3SumENS9_22TransformInputIteratorIb7NonZeroIsEPslEElEEEE10hipError_tPvRmT1_T2_T3_mT4_P12ihipStream_tbEUlT_E0_NS1_11comp_targetILNS1_3genE5ELNS1_11target_archE942ELNS1_3gpuE9ELNS1_3repE0EEENS1_30default_config_static_selectorELNS0_4arch9wavefront6targetE1EEEvSM_.has_indirect_call, 0
	.section	.AMDGPU.csdata,"",@progbits
; Kernel info:
; codeLenInByte = 0
; TotalNumSgprs: 6
; NumVgprs: 0
; NumAgprs: 0
; TotalNumVgprs: 0
; ScratchSize: 0
; MemoryBound: 0
; FloatMode: 240
; IeeeMode: 1
; LDSByteSize: 0 bytes/workgroup (compile time only)
; SGPRBlocks: 0
; VGPRBlocks: 0
; NumSGPRsForWavesPerEU: 6
; NumVGPRsForWavesPerEU: 1
; AccumOffset: 4
; Occupancy: 8
; WaveLimiterHint : 0
; COMPUTE_PGM_RSRC2:SCRATCH_EN: 0
; COMPUTE_PGM_RSRC2:USER_SGPR: 2
; COMPUTE_PGM_RSRC2:TRAP_HANDLER: 0
; COMPUTE_PGM_RSRC2:TGID_X_EN: 1
; COMPUTE_PGM_RSRC2:TGID_Y_EN: 0
; COMPUTE_PGM_RSRC2:TGID_Z_EN: 0
; COMPUTE_PGM_RSRC2:TIDIG_COMP_CNT: 0
; COMPUTE_PGM_RSRC3_GFX90A:ACCUM_OFFSET: 0
; COMPUTE_PGM_RSRC3_GFX90A:TG_SPLIT: 0
	.section	.text._ZN7rocprim17ROCPRIM_400000_NS6detail17trampoline_kernelINS0_14default_configENS1_22reduce_config_selectorIlEEZNS1_11reduce_implILb1ES3_PlS7_lN6hipcub16HIPCUB_304000_NS6detail34convert_binary_result_type_wrapperINS9_3SumENS9_22TransformInputIteratorIb7NonZeroIsEPslEElEEEE10hipError_tPvRmT1_T2_T3_mT4_P12ihipStream_tbEUlT_E0_NS1_11comp_targetILNS1_3genE4ELNS1_11target_archE910ELNS1_3gpuE8ELNS1_3repE0EEENS1_30default_config_static_selectorELNS0_4arch9wavefront6targetE1EEEvSM_,"axG",@progbits,_ZN7rocprim17ROCPRIM_400000_NS6detail17trampoline_kernelINS0_14default_configENS1_22reduce_config_selectorIlEEZNS1_11reduce_implILb1ES3_PlS7_lN6hipcub16HIPCUB_304000_NS6detail34convert_binary_result_type_wrapperINS9_3SumENS9_22TransformInputIteratorIb7NonZeroIsEPslEElEEEE10hipError_tPvRmT1_T2_T3_mT4_P12ihipStream_tbEUlT_E0_NS1_11comp_targetILNS1_3genE4ELNS1_11target_archE910ELNS1_3gpuE8ELNS1_3repE0EEENS1_30default_config_static_selectorELNS0_4arch9wavefront6targetE1EEEvSM_,comdat
	.protected	_ZN7rocprim17ROCPRIM_400000_NS6detail17trampoline_kernelINS0_14default_configENS1_22reduce_config_selectorIlEEZNS1_11reduce_implILb1ES3_PlS7_lN6hipcub16HIPCUB_304000_NS6detail34convert_binary_result_type_wrapperINS9_3SumENS9_22TransformInputIteratorIb7NonZeroIsEPslEElEEEE10hipError_tPvRmT1_T2_T3_mT4_P12ihipStream_tbEUlT_E0_NS1_11comp_targetILNS1_3genE4ELNS1_11target_archE910ELNS1_3gpuE8ELNS1_3repE0EEENS1_30default_config_static_selectorELNS0_4arch9wavefront6targetE1EEEvSM_ ; -- Begin function _ZN7rocprim17ROCPRIM_400000_NS6detail17trampoline_kernelINS0_14default_configENS1_22reduce_config_selectorIlEEZNS1_11reduce_implILb1ES3_PlS7_lN6hipcub16HIPCUB_304000_NS6detail34convert_binary_result_type_wrapperINS9_3SumENS9_22TransformInputIteratorIb7NonZeroIsEPslEElEEEE10hipError_tPvRmT1_T2_T3_mT4_P12ihipStream_tbEUlT_E0_NS1_11comp_targetILNS1_3genE4ELNS1_11target_archE910ELNS1_3gpuE8ELNS1_3repE0EEENS1_30default_config_static_selectorELNS0_4arch9wavefront6targetE1EEEvSM_
	.globl	_ZN7rocprim17ROCPRIM_400000_NS6detail17trampoline_kernelINS0_14default_configENS1_22reduce_config_selectorIlEEZNS1_11reduce_implILb1ES3_PlS7_lN6hipcub16HIPCUB_304000_NS6detail34convert_binary_result_type_wrapperINS9_3SumENS9_22TransformInputIteratorIb7NonZeroIsEPslEElEEEE10hipError_tPvRmT1_T2_T3_mT4_P12ihipStream_tbEUlT_E0_NS1_11comp_targetILNS1_3genE4ELNS1_11target_archE910ELNS1_3gpuE8ELNS1_3repE0EEENS1_30default_config_static_selectorELNS0_4arch9wavefront6targetE1EEEvSM_
	.p2align	8
	.type	_ZN7rocprim17ROCPRIM_400000_NS6detail17trampoline_kernelINS0_14default_configENS1_22reduce_config_selectorIlEEZNS1_11reduce_implILb1ES3_PlS7_lN6hipcub16HIPCUB_304000_NS6detail34convert_binary_result_type_wrapperINS9_3SumENS9_22TransformInputIteratorIb7NonZeroIsEPslEElEEEE10hipError_tPvRmT1_T2_T3_mT4_P12ihipStream_tbEUlT_E0_NS1_11comp_targetILNS1_3genE4ELNS1_11target_archE910ELNS1_3gpuE8ELNS1_3repE0EEENS1_30default_config_static_selectorELNS0_4arch9wavefront6targetE1EEEvSM_,@function
_ZN7rocprim17ROCPRIM_400000_NS6detail17trampoline_kernelINS0_14default_configENS1_22reduce_config_selectorIlEEZNS1_11reduce_implILb1ES3_PlS7_lN6hipcub16HIPCUB_304000_NS6detail34convert_binary_result_type_wrapperINS9_3SumENS9_22TransformInputIteratorIb7NonZeroIsEPslEElEEEE10hipError_tPvRmT1_T2_T3_mT4_P12ihipStream_tbEUlT_E0_NS1_11comp_targetILNS1_3genE4ELNS1_11target_archE910ELNS1_3gpuE8ELNS1_3repE0EEENS1_30default_config_static_selectorELNS0_4arch9wavefront6targetE1EEEvSM_: ; @_ZN7rocprim17ROCPRIM_400000_NS6detail17trampoline_kernelINS0_14default_configENS1_22reduce_config_selectorIlEEZNS1_11reduce_implILb1ES3_PlS7_lN6hipcub16HIPCUB_304000_NS6detail34convert_binary_result_type_wrapperINS9_3SumENS9_22TransformInputIteratorIb7NonZeroIsEPslEElEEEE10hipError_tPvRmT1_T2_T3_mT4_P12ihipStream_tbEUlT_E0_NS1_11comp_targetILNS1_3genE4ELNS1_11target_archE910ELNS1_3gpuE8ELNS1_3repE0EEENS1_30default_config_static_selectorELNS0_4arch9wavefront6targetE1EEEvSM_
; %bb.0:
	.section	.rodata,"a",@progbits
	.p2align	6, 0x0
	.amdhsa_kernel _ZN7rocprim17ROCPRIM_400000_NS6detail17trampoline_kernelINS0_14default_configENS1_22reduce_config_selectorIlEEZNS1_11reduce_implILb1ES3_PlS7_lN6hipcub16HIPCUB_304000_NS6detail34convert_binary_result_type_wrapperINS9_3SumENS9_22TransformInputIteratorIb7NonZeroIsEPslEElEEEE10hipError_tPvRmT1_T2_T3_mT4_P12ihipStream_tbEUlT_E0_NS1_11comp_targetILNS1_3genE4ELNS1_11target_archE910ELNS1_3gpuE8ELNS1_3repE0EEENS1_30default_config_static_selectorELNS0_4arch9wavefront6targetE1EEEvSM_
		.amdhsa_group_segment_fixed_size 0
		.amdhsa_private_segment_fixed_size 0
		.amdhsa_kernarg_size 64
		.amdhsa_user_sgpr_count 2
		.amdhsa_user_sgpr_dispatch_ptr 0
		.amdhsa_user_sgpr_queue_ptr 0
		.amdhsa_user_sgpr_kernarg_segment_ptr 1
		.amdhsa_user_sgpr_dispatch_id 0
		.amdhsa_user_sgpr_kernarg_preload_length 0
		.amdhsa_user_sgpr_kernarg_preload_offset 0
		.amdhsa_user_sgpr_private_segment_size 0
		.amdhsa_uses_dynamic_stack 0
		.amdhsa_enable_private_segment 0
		.amdhsa_system_sgpr_workgroup_id_x 1
		.amdhsa_system_sgpr_workgroup_id_y 0
		.amdhsa_system_sgpr_workgroup_id_z 0
		.amdhsa_system_sgpr_workgroup_info 0
		.amdhsa_system_vgpr_workitem_id 0
		.amdhsa_next_free_vgpr 1
		.amdhsa_next_free_sgpr 0
		.amdhsa_accum_offset 4
		.amdhsa_reserve_vcc 0
		.amdhsa_float_round_mode_32 0
		.amdhsa_float_round_mode_16_64 0
		.amdhsa_float_denorm_mode_32 3
		.amdhsa_float_denorm_mode_16_64 3
		.amdhsa_dx10_clamp 1
		.amdhsa_ieee_mode 1
		.amdhsa_fp16_overflow 0
		.amdhsa_tg_split 0
		.amdhsa_exception_fp_ieee_invalid_op 0
		.amdhsa_exception_fp_denorm_src 0
		.amdhsa_exception_fp_ieee_div_zero 0
		.amdhsa_exception_fp_ieee_overflow 0
		.amdhsa_exception_fp_ieee_underflow 0
		.amdhsa_exception_fp_ieee_inexact 0
		.amdhsa_exception_int_div_zero 0
	.end_amdhsa_kernel
	.section	.text._ZN7rocprim17ROCPRIM_400000_NS6detail17trampoline_kernelINS0_14default_configENS1_22reduce_config_selectorIlEEZNS1_11reduce_implILb1ES3_PlS7_lN6hipcub16HIPCUB_304000_NS6detail34convert_binary_result_type_wrapperINS9_3SumENS9_22TransformInputIteratorIb7NonZeroIsEPslEElEEEE10hipError_tPvRmT1_T2_T3_mT4_P12ihipStream_tbEUlT_E0_NS1_11comp_targetILNS1_3genE4ELNS1_11target_archE910ELNS1_3gpuE8ELNS1_3repE0EEENS1_30default_config_static_selectorELNS0_4arch9wavefront6targetE1EEEvSM_,"axG",@progbits,_ZN7rocprim17ROCPRIM_400000_NS6detail17trampoline_kernelINS0_14default_configENS1_22reduce_config_selectorIlEEZNS1_11reduce_implILb1ES3_PlS7_lN6hipcub16HIPCUB_304000_NS6detail34convert_binary_result_type_wrapperINS9_3SumENS9_22TransformInputIteratorIb7NonZeroIsEPslEElEEEE10hipError_tPvRmT1_T2_T3_mT4_P12ihipStream_tbEUlT_E0_NS1_11comp_targetILNS1_3genE4ELNS1_11target_archE910ELNS1_3gpuE8ELNS1_3repE0EEENS1_30default_config_static_selectorELNS0_4arch9wavefront6targetE1EEEvSM_,comdat
.Lfunc_end83:
	.size	_ZN7rocprim17ROCPRIM_400000_NS6detail17trampoline_kernelINS0_14default_configENS1_22reduce_config_selectorIlEEZNS1_11reduce_implILb1ES3_PlS7_lN6hipcub16HIPCUB_304000_NS6detail34convert_binary_result_type_wrapperINS9_3SumENS9_22TransformInputIteratorIb7NonZeroIsEPslEElEEEE10hipError_tPvRmT1_T2_T3_mT4_P12ihipStream_tbEUlT_E0_NS1_11comp_targetILNS1_3genE4ELNS1_11target_archE910ELNS1_3gpuE8ELNS1_3repE0EEENS1_30default_config_static_selectorELNS0_4arch9wavefront6targetE1EEEvSM_, .Lfunc_end83-_ZN7rocprim17ROCPRIM_400000_NS6detail17trampoline_kernelINS0_14default_configENS1_22reduce_config_selectorIlEEZNS1_11reduce_implILb1ES3_PlS7_lN6hipcub16HIPCUB_304000_NS6detail34convert_binary_result_type_wrapperINS9_3SumENS9_22TransformInputIteratorIb7NonZeroIsEPslEElEEEE10hipError_tPvRmT1_T2_T3_mT4_P12ihipStream_tbEUlT_E0_NS1_11comp_targetILNS1_3genE4ELNS1_11target_archE910ELNS1_3gpuE8ELNS1_3repE0EEENS1_30default_config_static_selectorELNS0_4arch9wavefront6targetE1EEEvSM_
                                        ; -- End function
	.set _ZN7rocprim17ROCPRIM_400000_NS6detail17trampoline_kernelINS0_14default_configENS1_22reduce_config_selectorIlEEZNS1_11reduce_implILb1ES3_PlS7_lN6hipcub16HIPCUB_304000_NS6detail34convert_binary_result_type_wrapperINS9_3SumENS9_22TransformInputIteratorIb7NonZeroIsEPslEElEEEE10hipError_tPvRmT1_T2_T3_mT4_P12ihipStream_tbEUlT_E0_NS1_11comp_targetILNS1_3genE4ELNS1_11target_archE910ELNS1_3gpuE8ELNS1_3repE0EEENS1_30default_config_static_selectorELNS0_4arch9wavefront6targetE1EEEvSM_.num_vgpr, 0
	.set _ZN7rocprim17ROCPRIM_400000_NS6detail17trampoline_kernelINS0_14default_configENS1_22reduce_config_selectorIlEEZNS1_11reduce_implILb1ES3_PlS7_lN6hipcub16HIPCUB_304000_NS6detail34convert_binary_result_type_wrapperINS9_3SumENS9_22TransformInputIteratorIb7NonZeroIsEPslEElEEEE10hipError_tPvRmT1_T2_T3_mT4_P12ihipStream_tbEUlT_E0_NS1_11comp_targetILNS1_3genE4ELNS1_11target_archE910ELNS1_3gpuE8ELNS1_3repE0EEENS1_30default_config_static_selectorELNS0_4arch9wavefront6targetE1EEEvSM_.num_agpr, 0
	.set _ZN7rocprim17ROCPRIM_400000_NS6detail17trampoline_kernelINS0_14default_configENS1_22reduce_config_selectorIlEEZNS1_11reduce_implILb1ES3_PlS7_lN6hipcub16HIPCUB_304000_NS6detail34convert_binary_result_type_wrapperINS9_3SumENS9_22TransformInputIteratorIb7NonZeroIsEPslEElEEEE10hipError_tPvRmT1_T2_T3_mT4_P12ihipStream_tbEUlT_E0_NS1_11comp_targetILNS1_3genE4ELNS1_11target_archE910ELNS1_3gpuE8ELNS1_3repE0EEENS1_30default_config_static_selectorELNS0_4arch9wavefront6targetE1EEEvSM_.numbered_sgpr, 0
	.set _ZN7rocprim17ROCPRIM_400000_NS6detail17trampoline_kernelINS0_14default_configENS1_22reduce_config_selectorIlEEZNS1_11reduce_implILb1ES3_PlS7_lN6hipcub16HIPCUB_304000_NS6detail34convert_binary_result_type_wrapperINS9_3SumENS9_22TransformInputIteratorIb7NonZeroIsEPslEElEEEE10hipError_tPvRmT1_T2_T3_mT4_P12ihipStream_tbEUlT_E0_NS1_11comp_targetILNS1_3genE4ELNS1_11target_archE910ELNS1_3gpuE8ELNS1_3repE0EEENS1_30default_config_static_selectorELNS0_4arch9wavefront6targetE1EEEvSM_.num_named_barrier, 0
	.set _ZN7rocprim17ROCPRIM_400000_NS6detail17trampoline_kernelINS0_14default_configENS1_22reduce_config_selectorIlEEZNS1_11reduce_implILb1ES3_PlS7_lN6hipcub16HIPCUB_304000_NS6detail34convert_binary_result_type_wrapperINS9_3SumENS9_22TransformInputIteratorIb7NonZeroIsEPslEElEEEE10hipError_tPvRmT1_T2_T3_mT4_P12ihipStream_tbEUlT_E0_NS1_11comp_targetILNS1_3genE4ELNS1_11target_archE910ELNS1_3gpuE8ELNS1_3repE0EEENS1_30default_config_static_selectorELNS0_4arch9wavefront6targetE1EEEvSM_.private_seg_size, 0
	.set _ZN7rocprim17ROCPRIM_400000_NS6detail17trampoline_kernelINS0_14default_configENS1_22reduce_config_selectorIlEEZNS1_11reduce_implILb1ES3_PlS7_lN6hipcub16HIPCUB_304000_NS6detail34convert_binary_result_type_wrapperINS9_3SumENS9_22TransformInputIteratorIb7NonZeroIsEPslEElEEEE10hipError_tPvRmT1_T2_T3_mT4_P12ihipStream_tbEUlT_E0_NS1_11comp_targetILNS1_3genE4ELNS1_11target_archE910ELNS1_3gpuE8ELNS1_3repE0EEENS1_30default_config_static_selectorELNS0_4arch9wavefront6targetE1EEEvSM_.uses_vcc, 0
	.set _ZN7rocprim17ROCPRIM_400000_NS6detail17trampoline_kernelINS0_14default_configENS1_22reduce_config_selectorIlEEZNS1_11reduce_implILb1ES3_PlS7_lN6hipcub16HIPCUB_304000_NS6detail34convert_binary_result_type_wrapperINS9_3SumENS9_22TransformInputIteratorIb7NonZeroIsEPslEElEEEE10hipError_tPvRmT1_T2_T3_mT4_P12ihipStream_tbEUlT_E0_NS1_11comp_targetILNS1_3genE4ELNS1_11target_archE910ELNS1_3gpuE8ELNS1_3repE0EEENS1_30default_config_static_selectorELNS0_4arch9wavefront6targetE1EEEvSM_.uses_flat_scratch, 0
	.set _ZN7rocprim17ROCPRIM_400000_NS6detail17trampoline_kernelINS0_14default_configENS1_22reduce_config_selectorIlEEZNS1_11reduce_implILb1ES3_PlS7_lN6hipcub16HIPCUB_304000_NS6detail34convert_binary_result_type_wrapperINS9_3SumENS9_22TransformInputIteratorIb7NonZeroIsEPslEElEEEE10hipError_tPvRmT1_T2_T3_mT4_P12ihipStream_tbEUlT_E0_NS1_11comp_targetILNS1_3genE4ELNS1_11target_archE910ELNS1_3gpuE8ELNS1_3repE0EEENS1_30default_config_static_selectorELNS0_4arch9wavefront6targetE1EEEvSM_.has_dyn_sized_stack, 0
	.set _ZN7rocprim17ROCPRIM_400000_NS6detail17trampoline_kernelINS0_14default_configENS1_22reduce_config_selectorIlEEZNS1_11reduce_implILb1ES3_PlS7_lN6hipcub16HIPCUB_304000_NS6detail34convert_binary_result_type_wrapperINS9_3SumENS9_22TransformInputIteratorIb7NonZeroIsEPslEElEEEE10hipError_tPvRmT1_T2_T3_mT4_P12ihipStream_tbEUlT_E0_NS1_11comp_targetILNS1_3genE4ELNS1_11target_archE910ELNS1_3gpuE8ELNS1_3repE0EEENS1_30default_config_static_selectorELNS0_4arch9wavefront6targetE1EEEvSM_.has_recursion, 0
	.set _ZN7rocprim17ROCPRIM_400000_NS6detail17trampoline_kernelINS0_14default_configENS1_22reduce_config_selectorIlEEZNS1_11reduce_implILb1ES3_PlS7_lN6hipcub16HIPCUB_304000_NS6detail34convert_binary_result_type_wrapperINS9_3SumENS9_22TransformInputIteratorIb7NonZeroIsEPslEElEEEE10hipError_tPvRmT1_T2_T3_mT4_P12ihipStream_tbEUlT_E0_NS1_11comp_targetILNS1_3genE4ELNS1_11target_archE910ELNS1_3gpuE8ELNS1_3repE0EEENS1_30default_config_static_selectorELNS0_4arch9wavefront6targetE1EEEvSM_.has_indirect_call, 0
	.section	.AMDGPU.csdata,"",@progbits
; Kernel info:
; codeLenInByte = 0
; TotalNumSgprs: 6
; NumVgprs: 0
; NumAgprs: 0
; TotalNumVgprs: 0
; ScratchSize: 0
; MemoryBound: 0
; FloatMode: 240
; IeeeMode: 1
; LDSByteSize: 0 bytes/workgroup (compile time only)
; SGPRBlocks: 0
; VGPRBlocks: 0
; NumSGPRsForWavesPerEU: 6
; NumVGPRsForWavesPerEU: 1
; AccumOffset: 4
; Occupancy: 8
; WaveLimiterHint : 0
; COMPUTE_PGM_RSRC2:SCRATCH_EN: 0
; COMPUTE_PGM_RSRC2:USER_SGPR: 2
; COMPUTE_PGM_RSRC2:TRAP_HANDLER: 0
; COMPUTE_PGM_RSRC2:TGID_X_EN: 1
; COMPUTE_PGM_RSRC2:TGID_Y_EN: 0
; COMPUTE_PGM_RSRC2:TGID_Z_EN: 0
; COMPUTE_PGM_RSRC2:TIDIG_COMP_CNT: 0
; COMPUTE_PGM_RSRC3_GFX90A:ACCUM_OFFSET: 0
; COMPUTE_PGM_RSRC3_GFX90A:TG_SPLIT: 0
	.section	.text._ZN7rocprim17ROCPRIM_400000_NS6detail17trampoline_kernelINS0_14default_configENS1_22reduce_config_selectorIlEEZNS1_11reduce_implILb1ES3_PlS7_lN6hipcub16HIPCUB_304000_NS6detail34convert_binary_result_type_wrapperINS9_3SumENS9_22TransformInputIteratorIb7NonZeroIsEPslEElEEEE10hipError_tPvRmT1_T2_T3_mT4_P12ihipStream_tbEUlT_E0_NS1_11comp_targetILNS1_3genE3ELNS1_11target_archE908ELNS1_3gpuE7ELNS1_3repE0EEENS1_30default_config_static_selectorELNS0_4arch9wavefront6targetE1EEEvSM_,"axG",@progbits,_ZN7rocprim17ROCPRIM_400000_NS6detail17trampoline_kernelINS0_14default_configENS1_22reduce_config_selectorIlEEZNS1_11reduce_implILb1ES3_PlS7_lN6hipcub16HIPCUB_304000_NS6detail34convert_binary_result_type_wrapperINS9_3SumENS9_22TransformInputIteratorIb7NonZeroIsEPslEElEEEE10hipError_tPvRmT1_T2_T3_mT4_P12ihipStream_tbEUlT_E0_NS1_11comp_targetILNS1_3genE3ELNS1_11target_archE908ELNS1_3gpuE7ELNS1_3repE0EEENS1_30default_config_static_selectorELNS0_4arch9wavefront6targetE1EEEvSM_,comdat
	.protected	_ZN7rocprim17ROCPRIM_400000_NS6detail17trampoline_kernelINS0_14default_configENS1_22reduce_config_selectorIlEEZNS1_11reduce_implILb1ES3_PlS7_lN6hipcub16HIPCUB_304000_NS6detail34convert_binary_result_type_wrapperINS9_3SumENS9_22TransformInputIteratorIb7NonZeroIsEPslEElEEEE10hipError_tPvRmT1_T2_T3_mT4_P12ihipStream_tbEUlT_E0_NS1_11comp_targetILNS1_3genE3ELNS1_11target_archE908ELNS1_3gpuE7ELNS1_3repE0EEENS1_30default_config_static_selectorELNS0_4arch9wavefront6targetE1EEEvSM_ ; -- Begin function _ZN7rocprim17ROCPRIM_400000_NS6detail17trampoline_kernelINS0_14default_configENS1_22reduce_config_selectorIlEEZNS1_11reduce_implILb1ES3_PlS7_lN6hipcub16HIPCUB_304000_NS6detail34convert_binary_result_type_wrapperINS9_3SumENS9_22TransformInputIteratorIb7NonZeroIsEPslEElEEEE10hipError_tPvRmT1_T2_T3_mT4_P12ihipStream_tbEUlT_E0_NS1_11comp_targetILNS1_3genE3ELNS1_11target_archE908ELNS1_3gpuE7ELNS1_3repE0EEENS1_30default_config_static_selectorELNS0_4arch9wavefront6targetE1EEEvSM_
	.globl	_ZN7rocprim17ROCPRIM_400000_NS6detail17trampoline_kernelINS0_14default_configENS1_22reduce_config_selectorIlEEZNS1_11reduce_implILb1ES3_PlS7_lN6hipcub16HIPCUB_304000_NS6detail34convert_binary_result_type_wrapperINS9_3SumENS9_22TransformInputIteratorIb7NonZeroIsEPslEElEEEE10hipError_tPvRmT1_T2_T3_mT4_P12ihipStream_tbEUlT_E0_NS1_11comp_targetILNS1_3genE3ELNS1_11target_archE908ELNS1_3gpuE7ELNS1_3repE0EEENS1_30default_config_static_selectorELNS0_4arch9wavefront6targetE1EEEvSM_
	.p2align	8
	.type	_ZN7rocprim17ROCPRIM_400000_NS6detail17trampoline_kernelINS0_14default_configENS1_22reduce_config_selectorIlEEZNS1_11reduce_implILb1ES3_PlS7_lN6hipcub16HIPCUB_304000_NS6detail34convert_binary_result_type_wrapperINS9_3SumENS9_22TransformInputIteratorIb7NonZeroIsEPslEElEEEE10hipError_tPvRmT1_T2_T3_mT4_P12ihipStream_tbEUlT_E0_NS1_11comp_targetILNS1_3genE3ELNS1_11target_archE908ELNS1_3gpuE7ELNS1_3repE0EEENS1_30default_config_static_selectorELNS0_4arch9wavefront6targetE1EEEvSM_,@function
_ZN7rocprim17ROCPRIM_400000_NS6detail17trampoline_kernelINS0_14default_configENS1_22reduce_config_selectorIlEEZNS1_11reduce_implILb1ES3_PlS7_lN6hipcub16HIPCUB_304000_NS6detail34convert_binary_result_type_wrapperINS9_3SumENS9_22TransformInputIteratorIb7NonZeroIsEPslEElEEEE10hipError_tPvRmT1_T2_T3_mT4_P12ihipStream_tbEUlT_E0_NS1_11comp_targetILNS1_3genE3ELNS1_11target_archE908ELNS1_3gpuE7ELNS1_3repE0EEENS1_30default_config_static_selectorELNS0_4arch9wavefront6targetE1EEEvSM_: ; @_ZN7rocprim17ROCPRIM_400000_NS6detail17trampoline_kernelINS0_14default_configENS1_22reduce_config_selectorIlEEZNS1_11reduce_implILb1ES3_PlS7_lN6hipcub16HIPCUB_304000_NS6detail34convert_binary_result_type_wrapperINS9_3SumENS9_22TransformInputIteratorIb7NonZeroIsEPslEElEEEE10hipError_tPvRmT1_T2_T3_mT4_P12ihipStream_tbEUlT_E0_NS1_11comp_targetILNS1_3genE3ELNS1_11target_archE908ELNS1_3gpuE7ELNS1_3repE0EEENS1_30default_config_static_selectorELNS0_4arch9wavefront6targetE1EEEvSM_
; %bb.0:
	.section	.rodata,"a",@progbits
	.p2align	6, 0x0
	.amdhsa_kernel _ZN7rocprim17ROCPRIM_400000_NS6detail17trampoline_kernelINS0_14default_configENS1_22reduce_config_selectorIlEEZNS1_11reduce_implILb1ES3_PlS7_lN6hipcub16HIPCUB_304000_NS6detail34convert_binary_result_type_wrapperINS9_3SumENS9_22TransformInputIteratorIb7NonZeroIsEPslEElEEEE10hipError_tPvRmT1_T2_T3_mT4_P12ihipStream_tbEUlT_E0_NS1_11comp_targetILNS1_3genE3ELNS1_11target_archE908ELNS1_3gpuE7ELNS1_3repE0EEENS1_30default_config_static_selectorELNS0_4arch9wavefront6targetE1EEEvSM_
		.amdhsa_group_segment_fixed_size 0
		.amdhsa_private_segment_fixed_size 0
		.amdhsa_kernarg_size 64
		.amdhsa_user_sgpr_count 2
		.amdhsa_user_sgpr_dispatch_ptr 0
		.amdhsa_user_sgpr_queue_ptr 0
		.amdhsa_user_sgpr_kernarg_segment_ptr 1
		.amdhsa_user_sgpr_dispatch_id 0
		.amdhsa_user_sgpr_kernarg_preload_length 0
		.amdhsa_user_sgpr_kernarg_preload_offset 0
		.amdhsa_user_sgpr_private_segment_size 0
		.amdhsa_uses_dynamic_stack 0
		.amdhsa_enable_private_segment 0
		.amdhsa_system_sgpr_workgroup_id_x 1
		.amdhsa_system_sgpr_workgroup_id_y 0
		.amdhsa_system_sgpr_workgroup_id_z 0
		.amdhsa_system_sgpr_workgroup_info 0
		.amdhsa_system_vgpr_workitem_id 0
		.amdhsa_next_free_vgpr 1
		.amdhsa_next_free_sgpr 0
		.amdhsa_accum_offset 4
		.amdhsa_reserve_vcc 0
		.amdhsa_float_round_mode_32 0
		.amdhsa_float_round_mode_16_64 0
		.amdhsa_float_denorm_mode_32 3
		.amdhsa_float_denorm_mode_16_64 3
		.amdhsa_dx10_clamp 1
		.amdhsa_ieee_mode 1
		.amdhsa_fp16_overflow 0
		.amdhsa_tg_split 0
		.amdhsa_exception_fp_ieee_invalid_op 0
		.amdhsa_exception_fp_denorm_src 0
		.amdhsa_exception_fp_ieee_div_zero 0
		.amdhsa_exception_fp_ieee_overflow 0
		.amdhsa_exception_fp_ieee_underflow 0
		.amdhsa_exception_fp_ieee_inexact 0
		.amdhsa_exception_int_div_zero 0
	.end_amdhsa_kernel
	.section	.text._ZN7rocprim17ROCPRIM_400000_NS6detail17trampoline_kernelINS0_14default_configENS1_22reduce_config_selectorIlEEZNS1_11reduce_implILb1ES3_PlS7_lN6hipcub16HIPCUB_304000_NS6detail34convert_binary_result_type_wrapperINS9_3SumENS9_22TransformInputIteratorIb7NonZeroIsEPslEElEEEE10hipError_tPvRmT1_T2_T3_mT4_P12ihipStream_tbEUlT_E0_NS1_11comp_targetILNS1_3genE3ELNS1_11target_archE908ELNS1_3gpuE7ELNS1_3repE0EEENS1_30default_config_static_selectorELNS0_4arch9wavefront6targetE1EEEvSM_,"axG",@progbits,_ZN7rocprim17ROCPRIM_400000_NS6detail17trampoline_kernelINS0_14default_configENS1_22reduce_config_selectorIlEEZNS1_11reduce_implILb1ES3_PlS7_lN6hipcub16HIPCUB_304000_NS6detail34convert_binary_result_type_wrapperINS9_3SumENS9_22TransformInputIteratorIb7NonZeroIsEPslEElEEEE10hipError_tPvRmT1_T2_T3_mT4_P12ihipStream_tbEUlT_E0_NS1_11comp_targetILNS1_3genE3ELNS1_11target_archE908ELNS1_3gpuE7ELNS1_3repE0EEENS1_30default_config_static_selectorELNS0_4arch9wavefront6targetE1EEEvSM_,comdat
.Lfunc_end84:
	.size	_ZN7rocprim17ROCPRIM_400000_NS6detail17trampoline_kernelINS0_14default_configENS1_22reduce_config_selectorIlEEZNS1_11reduce_implILb1ES3_PlS7_lN6hipcub16HIPCUB_304000_NS6detail34convert_binary_result_type_wrapperINS9_3SumENS9_22TransformInputIteratorIb7NonZeroIsEPslEElEEEE10hipError_tPvRmT1_T2_T3_mT4_P12ihipStream_tbEUlT_E0_NS1_11comp_targetILNS1_3genE3ELNS1_11target_archE908ELNS1_3gpuE7ELNS1_3repE0EEENS1_30default_config_static_selectorELNS0_4arch9wavefront6targetE1EEEvSM_, .Lfunc_end84-_ZN7rocprim17ROCPRIM_400000_NS6detail17trampoline_kernelINS0_14default_configENS1_22reduce_config_selectorIlEEZNS1_11reduce_implILb1ES3_PlS7_lN6hipcub16HIPCUB_304000_NS6detail34convert_binary_result_type_wrapperINS9_3SumENS9_22TransformInputIteratorIb7NonZeroIsEPslEElEEEE10hipError_tPvRmT1_T2_T3_mT4_P12ihipStream_tbEUlT_E0_NS1_11comp_targetILNS1_3genE3ELNS1_11target_archE908ELNS1_3gpuE7ELNS1_3repE0EEENS1_30default_config_static_selectorELNS0_4arch9wavefront6targetE1EEEvSM_
                                        ; -- End function
	.set _ZN7rocprim17ROCPRIM_400000_NS6detail17trampoline_kernelINS0_14default_configENS1_22reduce_config_selectorIlEEZNS1_11reduce_implILb1ES3_PlS7_lN6hipcub16HIPCUB_304000_NS6detail34convert_binary_result_type_wrapperINS9_3SumENS9_22TransformInputIteratorIb7NonZeroIsEPslEElEEEE10hipError_tPvRmT1_T2_T3_mT4_P12ihipStream_tbEUlT_E0_NS1_11comp_targetILNS1_3genE3ELNS1_11target_archE908ELNS1_3gpuE7ELNS1_3repE0EEENS1_30default_config_static_selectorELNS0_4arch9wavefront6targetE1EEEvSM_.num_vgpr, 0
	.set _ZN7rocprim17ROCPRIM_400000_NS6detail17trampoline_kernelINS0_14default_configENS1_22reduce_config_selectorIlEEZNS1_11reduce_implILb1ES3_PlS7_lN6hipcub16HIPCUB_304000_NS6detail34convert_binary_result_type_wrapperINS9_3SumENS9_22TransformInputIteratorIb7NonZeroIsEPslEElEEEE10hipError_tPvRmT1_T2_T3_mT4_P12ihipStream_tbEUlT_E0_NS1_11comp_targetILNS1_3genE3ELNS1_11target_archE908ELNS1_3gpuE7ELNS1_3repE0EEENS1_30default_config_static_selectorELNS0_4arch9wavefront6targetE1EEEvSM_.num_agpr, 0
	.set _ZN7rocprim17ROCPRIM_400000_NS6detail17trampoline_kernelINS0_14default_configENS1_22reduce_config_selectorIlEEZNS1_11reduce_implILb1ES3_PlS7_lN6hipcub16HIPCUB_304000_NS6detail34convert_binary_result_type_wrapperINS9_3SumENS9_22TransformInputIteratorIb7NonZeroIsEPslEElEEEE10hipError_tPvRmT1_T2_T3_mT4_P12ihipStream_tbEUlT_E0_NS1_11comp_targetILNS1_3genE3ELNS1_11target_archE908ELNS1_3gpuE7ELNS1_3repE0EEENS1_30default_config_static_selectorELNS0_4arch9wavefront6targetE1EEEvSM_.numbered_sgpr, 0
	.set _ZN7rocprim17ROCPRIM_400000_NS6detail17trampoline_kernelINS0_14default_configENS1_22reduce_config_selectorIlEEZNS1_11reduce_implILb1ES3_PlS7_lN6hipcub16HIPCUB_304000_NS6detail34convert_binary_result_type_wrapperINS9_3SumENS9_22TransformInputIteratorIb7NonZeroIsEPslEElEEEE10hipError_tPvRmT1_T2_T3_mT4_P12ihipStream_tbEUlT_E0_NS1_11comp_targetILNS1_3genE3ELNS1_11target_archE908ELNS1_3gpuE7ELNS1_3repE0EEENS1_30default_config_static_selectorELNS0_4arch9wavefront6targetE1EEEvSM_.num_named_barrier, 0
	.set _ZN7rocprim17ROCPRIM_400000_NS6detail17trampoline_kernelINS0_14default_configENS1_22reduce_config_selectorIlEEZNS1_11reduce_implILb1ES3_PlS7_lN6hipcub16HIPCUB_304000_NS6detail34convert_binary_result_type_wrapperINS9_3SumENS9_22TransformInputIteratorIb7NonZeroIsEPslEElEEEE10hipError_tPvRmT1_T2_T3_mT4_P12ihipStream_tbEUlT_E0_NS1_11comp_targetILNS1_3genE3ELNS1_11target_archE908ELNS1_3gpuE7ELNS1_3repE0EEENS1_30default_config_static_selectorELNS0_4arch9wavefront6targetE1EEEvSM_.private_seg_size, 0
	.set _ZN7rocprim17ROCPRIM_400000_NS6detail17trampoline_kernelINS0_14default_configENS1_22reduce_config_selectorIlEEZNS1_11reduce_implILb1ES3_PlS7_lN6hipcub16HIPCUB_304000_NS6detail34convert_binary_result_type_wrapperINS9_3SumENS9_22TransformInputIteratorIb7NonZeroIsEPslEElEEEE10hipError_tPvRmT1_T2_T3_mT4_P12ihipStream_tbEUlT_E0_NS1_11comp_targetILNS1_3genE3ELNS1_11target_archE908ELNS1_3gpuE7ELNS1_3repE0EEENS1_30default_config_static_selectorELNS0_4arch9wavefront6targetE1EEEvSM_.uses_vcc, 0
	.set _ZN7rocprim17ROCPRIM_400000_NS6detail17trampoline_kernelINS0_14default_configENS1_22reduce_config_selectorIlEEZNS1_11reduce_implILb1ES3_PlS7_lN6hipcub16HIPCUB_304000_NS6detail34convert_binary_result_type_wrapperINS9_3SumENS9_22TransformInputIteratorIb7NonZeroIsEPslEElEEEE10hipError_tPvRmT1_T2_T3_mT4_P12ihipStream_tbEUlT_E0_NS1_11comp_targetILNS1_3genE3ELNS1_11target_archE908ELNS1_3gpuE7ELNS1_3repE0EEENS1_30default_config_static_selectorELNS0_4arch9wavefront6targetE1EEEvSM_.uses_flat_scratch, 0
	.set _ZN7rocprim17ROCPRIM_400000_NS6detail17trampoline_kernelINS0_14default_configENS1_22reduce_config_selectorIlEEZNS1_11reduce_implILb1ES3_PlS7_lN6hipcub16HIPCUB_304000_NS6detail34convert_binary_result_type_wrapperINS9_3SumENS9_22TransformInputIteratorIb7NonZeroIsEPslEElEEEE10hipError_tPvRmT1_T2_T3_mT4_P12ihipStream_tbEUlT_E0_NS1_11comp_targetILNS1_3genE3ELNS1_11target_archE908ELNS1_3gpuE7ELNS1_3repE0EEENS1_30default_config_static_selectorELNS0_4arch9wavefront6targetE1EEEvSM_.has_dyn_sized_stack, 0
	.set _ZN7rocprim17ROCPRIM_400000_NS6detail17trampoline_kernelINS0_14default_configENS1_22reduce_config_selectorIlEEZNS1_11reduce_implILb1ES3_PlS7_lN6hipcub16HIPCUB_304000_NS6detail34convert_binary_result_type_wrapperINS9_3SumENS9_22TransformInputIteratorIb7NonZeroIsEPslEElEEEE10hipError_tPvRmT1_T2_T3_mT4_P12ihipStream_tbEUlT_E0_NS1_11comp_targetILNS1_3genE3ELNS1_11target_archE908ELNS1_3gpuE7ELNS1_3repE0EEENS1_30default_config_static_selectorELNS0_4arch9wavefront6targetE1EEEvSM_.has_recursion, 0
	.set _ZN7rocprim17ROCPRIM_400000_NS6detail17trampoline_kernelINS0_14default_configENS1_22reduce_config_selectorIlEEZNS1_11reduce_implILb1ES3_PlS7_lN6hipcub16HIPCUB_304000_NS6detail34convert_binary_result_type_wrapperINS9_3SumENS9_22TransformInputIteratorIb7NonZeroIsEPslEElEEEE10hipError_tPvRmT1_T2_T3_mT4_P12ihipStream_tbEUlT_E0_NS1_11comp_targetILNS1_3genE3ELNS1_11target_archE908ELNS1_3gpuE7ELNS1_3repE0EEENS1_30default_config_static_selectorELNS0_4arch9wavefront6targetE1EEEvSM_.has_indirect_call, 0
	.section	.AMDGPU.csdata,"",@progbits
; Kernel info:
; codeLenInByte = 0
; TotalNumSgprs: 6
; NumVgprs: 0
; NumAgprs: 0
; TotalNumVgprs: 0
; ScratchSize: 0
; MemoryBound: 0
; FloatMode: 240
; IeeeMode: 1
; LDSByteSize: 0 bytes/workgroup (compile time only)
; SGPRBlocks: 0
; VGPRBlocks: 0
; NumSGPRsForWavesPerEU: 6
; NumVGPRsForWavesPerEU: 1
; AccumOffset: 4
; Occupancy: 8
; WaveLimiterHint : 0
; COMPUTE_PGM_RSRC2:SCRATCH_EN: 0
; COMPUTE_PGM_RSRC2:USER_SGPR: 2
; COMPUTE_PGM_RSRC2:TRAP_HANDLER: 0
; COMPUTE_PGM_RSRC2:TGID_X_EN: 1
; COMPUTE_PGM_RSRC2:TGID_Y_EN: 0
; COMPUTE_PGM_RSRC2:TGID_Z_EN: 0
; COMPUTE_PGM_RSRC2:TIDIG_COMP_CNT: 0
; COMPUTE_PGM_RSRC3_GFX90A:ACCUM_OFFSET: 0
; COMPUTE_PGM_RSRC3_GFX90A:TG_SPLIT: 0
	.section	.text._ZN7rocprim17ROCPRIM_400000_NS6detail17trampoline_kernelINS0_14default_configENS1_22reduce_config_selectorIlEEZNS1_11reduce_implILb1ES3_PlS7_lN6hipcub16HIPCUB_304000_NS6detail34convert_binary_result_type_wrapperINS9_3SumENS9_22TransformInputIteratorIb7NonZeroIsEPslEElEEEE10hipError_tPvRmT1_T2_T3_mT4_P12ihipStream_tbEUlT_E0_NS1_11comp_targetILNS1_3genE2ELNS1_11target_archE906ELNS1_3gpuE6ELNS1_3repE0EEENS1_30default_config_static_selectorELNS0_4arch9wavefront6targetE1EEEvSM_,"axG",@progbits,_ZN7rocprim17ROCPRIM_400000_NS6detail17trampoline_kernelINS0_14default_configENS1_22reduce_config_selectorIlEEZNS1_11reduce_implILb1ES3_PlS7_lN6hipcub16HIPCUB_304000_NS6detail34convert_binary_result_type_wrapperINS9_3SumENS9_22TransformInputIteratorIb7NonZeroIsEPslEElEEEE10hipError_tPvRmT1_T2_T3_mT4_P12ihipStream_tbEUlT_E0_NS1_11comp_targetILNS1_3genE2ELNS1_11target_archE906ELNS1_3gpuE6ELNS1_3repE0EEENS1_30default_config_static_selectorELNS0_4arch9wavefront6targetE1EEEvSM_,comdat
	.protected	_ZN7rocprim17ROCPRIM_400000_NS6detail17trampoline_kernelINS0_14default_configENS1_22reduce_config_selectorIlEEZNS1_11reduce_implILb1ES3_PlS7_lN6hipcub16HIPCUB_304000_NS6detail34convert_binary_result_type_wrapperINS9_3SumENS9_22TransformInputIteratorIb7NonZeroIsEPslEElEEEE10hipError_tPvRmT1_T2_T3_mT4_P12ihipStream_tbEUlT_E0_NS1_11comp_targetILNS1_3genE2ELNS1_11target_archE906ELNS1_3gpuE6ELNS1_3repE0EEENS1_30default_config_static_selectorELNS0_4arch9wavefront6targetE1EEEvSM_ ; -- Begin function _ZN7rocprim17ROCPRIM_400000_NS6detail17trampoline_kernelINS0_14default_configENS1_22reduce_config_selectorIlEEZNS1_11reduce_implILb1ES3_PlS7_lN6hipcub16HIPCUB_304000_NS6detail34convert_binary_result_type_wrapperINS9_3SumENS9_22TransformInputIteratorIb7NonZeroIsEPslEElEEEE10hipError_tPvRmT1_T2_T3_mT4_P12ihipStream_tbEUlT_E0_NS1_11comp_targetILNS1_3genE2ELNS1_11target_archE906ELNS1_3gpuE6ELNS1_3repE0EEENS1_30default_config_static_selectorELNS0_4arch9wavefront6targetE1EEEvSM_
	.globl	_ZN7rocprim17ROCPRIM_400000_NS6detail17trampoline_kernelINS0_14default_configENS1_22reduce_config_selectorIlEEZNS1_11reduce_implILb1ES3_PlS7_lN6hipcub16HIPCUB_304000_NS6detail34convert_binary_result_type_wrapperINS9_3SumENS9_22TransformInputIteratorIb7NonZeroIsEPslEElEEEE10hipError_tPvRmT1_T2_T3_mT4_P12ihipStream_tbEUlT_E0_NS1_11comp_targetILNS1_3genE2ELNS1_11target_archE906ELNS1_3gpuE6ELNS1_3repE0EEENS1_30default_config_static_selectorELNS0_4arch9wavefront6targetE1EEEvSM_
	.p2align	8
	.type	_ZN7rocprim17ROCPRIM_400000_NS6detail17trampoline_kernelINS0_14default_configENS1_22reduce_config_selectorIlEEZNS1_11reduce_implILb1ES3_PlS7_lN6hipcub16HIPCUB_304000_NS6detail34convert_binary_result_type_wrapperINS9_3SumENS9_22TransformInputIteratorIb7NonZeroIsEPslEElEEEE10hipError_tPvRmT1_T2_T3_mT4_P12ihipStream_tbEUlT_E0_NS1_11comp_targetILNS1_3genE2ELNS1_11target_archE906ELNS1_3gpuE6ELNS1_3repE0EEENS1_30default_config_static_selectorELNS0_4arch9wavefront6targetE1EEEvSM_,@function
_ZN7rocprim17ROCPRIM_400000_NS6detail17trampoline_kernelINS0_14default_configENS1_22reduce_config_selectorIlEEZNS1_11reduce_implILb1ES3_PlS7_lN6hipcub16HIPCUB_304000_NS6detail34convert_binary_result_type_wrapperINS9_3SumENS9_22TransformInputIteratorIb7NonZeroIsEPslEElEEEE10hipError_tPvRmT1_T2_T3_mT4_P12ihipStream_tbEUlT_E0_NS1_11comp_targetILNS1_3genE2ELNS1_11target_archE906ELNS1_3gpuE6ELNS1_3repE0EEENS1_30default_config_static_selectorELNS0_4arch9wavefront6targetE1EEEvSM_: ; @_ZN7rocprim17ROCPRIM_400000_NS6detail17trampoline_kernelINS0_14default_configENS1_22reduce_config_selectorIlEEZNS1_11reduce_implILb1ES3_PlS7_lN6hipcub16HIPCUB_304000_NS6detail34convert_binary_result_type_wrapperINS9_3SumENS9_22TransformInputIteratorIb7NonZeroIsEPslEElEEEE10hipError_tPvRmT1_T2_T3_mT4_P12ihipStream_tbEUlT_E0_NS1_11comp_targetILNS1_3genE2ELNS1_11target_archE906ELNS1_3gpuE6ELNS1_3repE0EEENS1_30default_config_static_selectorELNS0_4arch9wavefront6targetE1EEEvSM_
; %bb.0:
	.section	.rodata,"a",@progbits
	.p2align	6, 0x0
	.amdhsa_kernel _ZN7rocprim17ROCPRIM_400000_NS6detail17trampoline_kernelINS0_14default_configENS1_22reduce_config_selectorIlEEZNS1_11reduce_implILb1ES3_PlS7_lN6hipcub16HIPCUB_304000_NS6detail34convert_binary_result_type_wrapperINS9_3SumENS9_22TransformInputIteratorIb7NonZeroIsEPslEElEEEE10hipError_tPvRmT1_T2_T3_mT4_P12ihipStream_tbEUlT_E0_NS1_11comp_targetILNS1_3genE2ELNS1_11target_archE906ELNS1_3gpuE6ELNS1_3repE0EEENS1_30default_config_static_selectorELNS0_4arch9wavefront6targetE1EEEvSM_
		.amdhsa_group_segment_fixed_size 0
		.amdhsa_private_segment_fixed_size 0
		.amdhsa_kernarg_size 64
		.amdhsa_user_sgpr_count 2
		.amdhsa_user_sgpr_dispatch_ptr 0
		.amdhsa_user_sgpr_queue_ptr 0
		.amdhsa_user_sgpr_kernarg_segment_ptr 1
		.amdhsa_user_sgpr_dispatch_id 0
		.amdhsa_user_sgpr_kernarg_preload_length 0
		.amdhsa_user_sgpr_kernarg_preload_offset 0
		.amdhsa_user_sgpr_private_segment_size 0
		.amdhsa_uses_dynamic_stack 0
		.amdhsa_enable_private_segment 0
		.amdhsa_system_sgpr_workgroup_id_x 1
		.amdhsa_system_sgpr_workgroup_id_y 0
		.amdhsa_system_sgpr_workgroup_id_z 0
		.amdhsa_system_sgpr_workgroup_info 0
		.amdhsa_system_vgpr_workitem_id 0
		.amdhsa_next_free_vgpr 1
		.amdhsa_next_free_sgpr 0
		.amdhsa_accum_offset 4
		.amdhsa_reserve_vcc 0
		.amdhsa_float_round_mode_32 0
		.amdhsa_float_round_mode_16_64 0
		.amdhsa_float_denorm_mode_32 3
		.amdhsa_float_denorm_mode_16_64 3
		.amdhsa_dx10_clamp 1
		.amdhsa_ieee_mode 1
		.amdhsa_fp16_overflow 0
		.amdhsa_tg_split 0
		.amdhsa_exception_fp_ieee_invalid_op 0
		.amdhsa_exception_fp_denorm_src 0
		.amdhsa_exception_fp_ieee_div_zero 0
		.amdhsa_exception_fp_ieee_overflow 0
		.amdhsa_exception_fp_ieee_underflow 0
		.amdhsa_exception_fp_ieee_inexact 0
		.amdhsa_exception_int_div_zero 0
	.end_amdhsa_kernel
	.section	.text._ZN7rocprim17ROCPRIM_400000_NS6detail17trampoline_kernelINS0_14default_configENS1_22reduce_config_selectorIlEEZNS1_11reduce_implILb1ES3_PlS7_lN6hipcub16HIPCUB_304000_NS6detail34convert_binary_result_type_wrapperINS9_3SumENS9_22TransformInputIteratorIb7NonZeroIsEPslEElEEEE10hipError_tPvRmT1_T2_T3_mT4_P12ihipStream_tbEUlT_E0_NS1_11comp_targetILNS1_3genE2ELNS1_11target_archE906ELNS1_3gpuE6ELNS1_3repE0EEENS1_30default_config_static_selectorELNS0_4arch9wavefront6targetE1EEEvSM_,"axG",@progbits,_ZN7rocprim17ROCPRIM_400000_NS6detail17trampoline_kernelINS0_14default_configENS1_22reduce_config_selectorIlEEZNS1_11reduce_implILb1ES3_PlS7_lN6hipcub16HIPCUB_304000_NS6detail34convert_binary_result_type_wrapperINS9_3SumENS9_22TransformInputIteratorIb7NonZeroIsEPslEElEEEE10hipError_tPvRmT1_T2_T3_mT4_P12ihipStream_tbEUlT_E0_NS1_11comp_targetILNS1_3genE2ELNS1_11target_archE906ELNS1_3gpuE6ELNS1_3repE0EEENS1_30default_config_static_selectorELNS0_4arch9wavefront6targetE1EEEvSM_,comdat
.Lfunc_end85:
	.size	_ZN7rocprim17ROCPRIM_400000_NS6detail17trampoline_kernelINS0_14default_configENS1_22reduce_config_selectorIlEEZNS1_11reduce_implILb1ES3_PlS7_lN6hipcub16HIPCUB_304000_NS6detail34convert_binary_result_type_wrapperINS9_3SumENS9_22TransformInputIteratorIb7NonZeroIsEPslEElEEEE10hipError_tPvRmT1_T2_T3_mT4_P12ihipStream_tbEUlT_E0_NS1_11comp_targetILNS1_3genE2ELNS1_11target_archE906ELNS1_3gpuE6ELNS1_3repE0EEENS1_30default_config_static_selectorELNS0_4arch9wavefront6targetE1EEEvSM_, .Lfunc_end85-_ZN7rocprim17ROCPRIM_400000_NS6detail17trampoline_kernelINS0_14default_configENS1_22reduce_config_selectorIlEEZNS1_11reduce_implILb1ES3_PlS7_lN6hipcub16HIPCUB_304000_NS6detail34convert_binary_result_type_wrapperINS9_3SumENS9_22TransformInputIteratorIb7NonZeroIsEPslEElEEEE10hipError_tPvRmT1_T2_T3_mT4_P12ihipStream_tbEUlT_E0_NS1_11comp_targetILNS1_3genE2ELNS1_11target_archE906ELNS1_3gpuE6ELNS1_3repE0EEENS1_30default_config_static_selectorELNS0_4arch9wavefront6targetE1EEEvSM_
                                        ; -- End function
	.set _ZN7rocprim17ROCPRIM_400000_NS6detail17trampoline_kernelINS0_14default_configENS1_22reduce_config_selectorIlEEZNS1_11reduce_implILb1ES3_PlS7_lN6hipcub16HIPCUB_304000_NS6detail34convert_binary_result_type_wrapperINS9_3SumENS9_22TransformInputIteratorIb7NonZeroIsEPslEElEEEE10hipError_tPvRmT1_T2_T3_mT4_P12ihipStream_tbEUlT_E0_NS1_11comp_targetILNS1_3genE2ELNS1_11target_archE906ELNS1_3gpuE6ELNS1_3repE0EEENS1_30default_config_static_selectorELNS0_4arch9wavefront6targetE1EEEvSM_.num_vgpr, 0
	.set _ZN7rocprim17ROCPRIM_400000_NS6detail17trampoline_kernelINS0_14default_configENS1_22reduce_config_selectorIlEEZNS1_11reduce_implILb1ES3_PlS7_lN6hipcub16HIPCUB_304000_NS6detail34convert_binary_result_type_wrapperINS9_3SumENS9_22TransformInputIteratorIb7NonZeroIsEPslEElEEEE10hipError_tPvRmT1_T2_T3_mT4_P12ihipStream_tbEUlT_E0_NS1_11comp_targetILNS1_3genE2ELNS1_11target_archE906ELNS1_3gpuE6ELNS1_3repE0EEENS1_30default_config_static_selectorELNS0_4arch9wavefront6targetE1EEEvSM_.num_agpr, 0
	.set _ZN7rocprim17ROCPRIM_400000_NS6detail17trampoline_kernelINS0_14default_configENS1_22reduce_config_selectorIlEEZNS1_11reduce_implILb1ES3_PlS7_lN6hipcub16HIPCUB_304000_NS6detail34convert_binary_result_type_wrapperINS9_3SumENS9_22TransformInputIteratorIb7NonZeroIsEPslEElEEEE10hipError_tPvRmT1_T2_T3_mT4_P12ihipStream_tbEUlT_E0_NS1_11comp_targetILNS1_3genE2ELNS1_11target_archE906ELNS1_3gpuE6ELNS1_3repE0EEENS1_30default_config_static_selectorELNS0_4arch9wavefront6targetE1EEEvSM_.numbered_sgpr, 0
	.set _ZN7rocprim17ROCPRIM_400000_NS6detail17trampoline_kernelINS0_14default_configENS1_22reduce_config_selectorIlEEZNS1_11reduce_implILb1ES3_PlS7_lN6hipcub16HIPCUB_304000_NS6detail34convert_binary_result_type_wrapperINS9_3SumENS9_22TransformInputIteratorIb7NonZeroIsEPslEElEEEE10hipError_tPvRmT1_T2_T3_mT4_P12ihipStream_tbEUlT_E0_NS1_11comp_targetILNS1_3genE2ELNS1_11target_archE906ELNS1_3gpuE6ELNS1_3repE0EEENS1_30default_config_static_selectorELNS0_4arch9wavefront6targetE1EEEvSM_.num_named_barrier, 0
	.set _ZN7rocprim17ROCPRIM_400000_NS6detail17trampoline_kernelINS0_14default_configENS1_22reduce_config_selectorIlEEZNS1_11reduce_implILb1ES3_PlS7_lN6hipcub16HIPCUB_304000_NS6detail34convert_binary_result_type_wrapperINS9_3SumENS9_22TransformInputIteratorIb7NonZeroIsEPslEElEEEE10hipError_tPvRmT1_T2_T3_mT4_P12ihipStream_tbEUlT_E0_NS1_11comp_targetILNS1_3genE2ELNS1_11target_archE906ELNS1_3gpuE6ELNS1_3repE0EEENS1_30default_config_static_selectorELNS0_4arch9wavefront6targetE1EEEvSM_.private_seg_size, 0
	.set _ZN7rocprim17ROCPRIM_400000_NS6detail17trampoline_kernelINS0_14default_configENS1_22reduce_config_selectorIlEEZNS1_11reduce_implILb1ES3_PlS7_lN6hipcub16HIPCUB_304000_NS6detail34convert_binary_result_type_wrapperINS9_3SumENS9_22TransformInputIteratorIb7NonZeroIsEPslEElEEEE10hipError_tPvRmT1_T2_T3_mT4_P12ihipStream_tbEUlT_E0_NS1_11comp_targetILNS1_3genE2ELNS1_11target_archE906ELNS1_3gpuE6ELNS1_3repE0EEENS1_30default_config_static_selectorELNS0_4arch9wavefront6targetE1EEEvSM_.uses_vcc, 0
	.set _ZN7rocprim17ROCPRIM_400000_NS6detail17trampoline_kernelINS0_14default_configENS1_22reduce_config_selectorIlEEZNS1_11reduce_implILb1ES3_PlS7_lN6hipcub16HIPCUB_304000_NS6detail34convert_binary_result_type_wrapperINS9_3SumENS9_22TransformInputIteratorIb7NonZeroIsEPslEElEEEE10hipError_tPvRmT1_T2_T3_mT4_P12ihipStream_tbEUlT_E0_NS1_11comp_targetILNS1_3genE2ELNS1_11target_archE906ELNS1_3gpuE6ELNS1_3repE0EEENS1_30default_config_static_selectorELNS0_4arch9wavefront6targetE1EEEvSM_.uses_flat_scratch, 0
	.set _ZN7rocprim17ROCPRIM_400000_NS6detail17trampoline_kernelINS0_14default_configENS1_22reduce_config_selectorIlEEZNS1_11reduce_implILb1ES3_PlS7_lN6hipcub16HIPCUB_304000_NS6detail34convert_binary_result_type_wrapperINS9_3SumENS9_22TransformInputIteratorIb7NonZeroIsEPslEElEEEE10hipError_tPvRmT1_T2_T3_mT4_P12ihipStream_tbEUlT_E0_NS1_11comp_targetILNS1_3genE2ELNS1_11target_archE906ELNS1_3gpuE6ELNS1_3repE0EEENS1_30default_config_static_selectorELNS0_4arch9wavefront6targetE1EEEvSM_.has_dyn_sized_stack, 0
	.set _ZN7rocprim17ROCPRIM_400000_NS6detail17trampoline_kernelINS0_14default_configENS1_22reduce_config_selectorIlEEZNS1_11reduce_implILb1ES3_PlS7_lN6hipcub16HIPCUB_304000_NS6detail34convert_binary_result_type_wrapperINS9_3SumENS9_22TransformInputIteratorIb7NonZeroIsEPslEElEEEE10hipError_tPvRmT1_T2_T3_mT4_P12ihipStream_tbEUlT_E0_NS1_11comp_targetILNS1_3genE2ELNS1_11target_archE906ELNS1_3gpuE6ELNS1_3repE0EEENS1_30default_config_static_selectorELNS0_4arch9wavefront6targetE1EEEvSM_.has_recursion, 0
	.set _ZN7rocprim17ROCPRIM_400000_NS6detail17trampoline_kernelINS0_14default_configENS1_22reduce_config_selectorIlEEZNS1_11reduce_implILb1ES3_PlS7_lN6hipcub16HIPCUB_304000_NS6detail34convert_binary_result_type_wrapperINS9_3SumENS9_22TransformInputIteratorIb7NonZeroIsEPslEElEEEE10hipError_tPvRmT1_T2_T3_mT4_P12ihipStream_tbEUlT_E0_NS1_11comp_targetILNS1_3genE2ELNS1_11target_archE906ELNS1_3gpuE6ELNS1_3repE0EEENS1_30default_config_static_selectorELNS0_4arch9wavefront6targetE1EEEvSM_.has_indirect_call, 0
	.section	.AMDGPU.csdata,"",@progbits
; Kernel info:
; codeLenInByte = 0
; TotalNumSgprs: 6
; NumVgprs: 0
; NumAgprs: 0
; TotalNumVgprs: 0
; ScratchSize: 0
; MemoryBound: 0
; FloatMode: 240
; IeeeMode: 1
; LDSByteSize: 0 bytes/workgroup (compile time only)
; SGPRBlocks: 0
; VGPRBlocks: 0
; NumSGPRsForWavesPerEU: 6
; NumVGPRsForWavesPerEU: 1
; AccumOffset: 4
; Occupancy: 8
; WaveLimiterHint : 0
; COMPUTE_PGM_RSRC2:SCRATCH_EN: 0
; COMPUTE_PGM_RSRC2:USER_SGPR: 2
; COMPUTE_PGM_RSRC2:TRAP_HANDLER: 0
; COMPUTE_PGM_RSRC2:TGID_X_EN: 1
; COMPUTE_PGM_RSRC2:TGID_Y_EN: 0
; COMPUTE_PGM_RSRC2:TGID_Z_EN: 0
; COMPUTE_PGM_RSRC2:TIDIG_COMP_CNT: 0
; COMPUTE_PGM_RSRC3_GFX90A:ACCUM_OFFSET: 0
; COMPUTE_PGM_RSRC3_GFX90A:TG_SPLIT: 0
	.section	.text._ZN7rocprim17ROCPRIM_400000_NS6detail17trampoline_kernelINS0_14default_configENS1_22reduce_config_selectorIlEEZNS1_11reduce_implILb1ES3_PlS7_lN6hipcub16HIPCUB_304000_NS6detail34convert_binary_result_type_wrapperINS9_3SumENS9_22TransformInputIteratorIb7NonZeroIsEPslEElEEEE10hipError_tPvRmT1_T2_T3_mT4_P12ihipStream_tbEUlT_E0_NS1_11comp_targetILNS1_3genE10ELNS1_11target_archE1201ELNS1_3gpuE5ELNS1_3repE0EEENS1_30default_config_static_selectorELNS0_4arch9wavefront6targetE1EEEvSM_,"axG",@progbits,_ZN7rocprim17ROCPRIM_400000_NS6detail17trampoline_kernelINS0_14default_configENS1_22reduce_config_selectorIlEEZNS1_11reduce_implILb1ES3_PlS7_lN6hipcub16HIPCUB_304000_NS6detail34convert_binary_result_type_wrapperINS9_3SumENS9_22TransformInputIteratorIb7NonZeroIsEPslEElEEEE10hipError_tPvRmT1_T2_T3_mT4_P12ihipStream_tbEUlT_E0_NS1_11comp_targetILNS1_3genE10ELNS1_11target_archE1201ELNS1_3gpuE5ELNS1_3repE0EEENS1_30default_config_static_selectorELNS0_4arch9wavefront6targetE1EEEvSM_,comdat
	.protected	_ZN7rocprim17ROCPRIM_400000_NS6detail17trampoline_kernelINS0_14default_configENS1_22reduce_config_selectorIlEEZNS1_11reduce_implILb1ES3_PlS7_lN6hipcub16HIPCUB_304000_NS6detail34convert_binary_result_type_wrapperINS9_3SumENS9_22TransformInputIteratorIb7NonZeroIsEPslEElEEEE10hipError_tPvRmT1_T2_T3_mT4_P12ihipStream_tbEUlT_E0_NS1_11comp_targetILNS1_3genE10ELNS1_11target_archE1201ELNS1_3gpuE5ELNS1_3repE0EEENS1_30default_config_static_selectorELNS0_4arch9wavefront6targetE1EEEvSM_ ; -- Begin function _ZN7rocprim17ROCPRIM_400000_NS6detail17trampoline_kernelINS0_14default_configENS1_22reduce_config_selectorIlEEZNS1_11reduce_implILb1ES3_PlS7_lN6hipcub16HIPCUB_304000_NS6detail34convert_binary_result_type_wrapperINS9_3SumENS9_22TransformInputIteratorIb7NonZeroIsEPslEElEEEE10hipError_tPvRmT1_T2_T3_mT4_P12ihipStream_tbEUlT_E0_NS1_11comp_targetILNS1_3genE10ELNS1_11target_archE1201ELNS1_3gpuE5ELNS1_3repE0EEENS1_30default_config_static_selectorELNS0_4arch9wavefront6targetE1EEEvSM_
	.globl	_ZN7rocprim17ROCPRIM_400000_NS6detail17trampoline_kernelINS0_14default_configENS1_22reduce_config_selectorIlEEZNS1_11reduce_implILb1ES3_PlS7_lN6hipcub16HIPCUB_304000_NS6detail34convert_binary_result_type_wrapperINS9_3SumENS9_22TransformInputIteratorIb7NonZeroIsEPslEElEEEE10hipError_tPvRmT1_T2_T3_mT4_P12ihipStream_tbEUlT_E0_NS1_11comp_targetILNS1_3genE10ELNS1_11target_archE1201ELNS1_3gpuE5ELNS1_3repE0EEENS1_30default_config_static_selectorELNS0_4arch9wavefront6targetE1EEEvSM_
	.p2align	8
	.type	_ZN7rocprim17ROCPRIM_400000_NS6detail17trampoline_kernelINS0_14default_configENS1_22reduce_config_selectorIlEEZNS1_11reduce_implILb1ES3_PlS7_lN6hipcub16HIPCUB_304000_NS6detail34convert_binary_result_type_wrapperINS9_3SumENS9_22TransformInputIteratorIb7NonZeroIsEPslEElEEEE10hipError_tPvRmT1_T2_T3_mT4_P12ihipStream_tbEUlT_E0_NS1_11comp_targetILNS1_3genE10ELNS1_11target_archE1201ELNS1_3gpuE5ELNS1_3repE0EEENS1_30default_config_static_selectorELNS0_4arch9wavefront6targetE1EEEvSM_,@function
_ZN7rocprim17ROCPRIM_400000_NS6detail17trampoline_kernelINS0_14default_configENS1_22reduce_config_selectorIlEEZNS1_11reduce_implILb1ES3_PlS7_lN6hipcub16HIPCUB_304000_NS6detail34convert_binary_result_type_wrapperINS9_3SumENS9_22TransformInputIteratorIb7NonZeroIsEPslEElEEEE10hipError_tPvRmT1_T2_T3_mT4_P12ihipStream_tbEUlT_E0_NS1_11comp_targetILNS1_3genE10ELNS1_11target_archE1201ELNS1_3gpuE5ELNS1_3repE0EEENS1_30default_config_static_selectorELNS0_4arch9wavefront6targetE1EEEvSM_: ; @_ZN7rocprim17ROCPRIM_400000_NS6detail17trampoline_kernelINS0_14default_configENS1_22reduce_config_selectorIlEEZNS1_11reduce_implILb1ES3_PlS7_lN6hipcub16HIPCUB_304000_NS6detail34convert_binary_result_type_wrapperINS9_3SumENS9_22TransformInputIteratorIb7NonZeroIsEPslEElEEEE10hipError_tPvRmT1_T2_T3_mT4_P12ihipStream_tbEUlT_E0_NS1_11comp_targetILNS1_3genE10ELNS1_11target_archE1201ELNS1_3gpuE5ELNS1_3repE0EEENS1_30default_config_static_selectorELNS0_4arch9wavefront6targetE1EEEvSM_
; %bb.0:
	.section	.rodata,"a",@progbits
	.p2align	6, 0x0
	.amdhsa_kernel _ZN7rocprim17ROCPRIM_400000_NS6detail17trampoline_kernelINS0_14default_configENS1_22reduce_config_selectorIlEEZNS1_11reduce_implILb1ES3_PlS7_lN6hipcub16HIPCUB_304000_NS6detail34convert_binary_result_type_wrapperINS9_3SumENS9_22TransformInputIteratorIb7NonZeroIsEPslEElEEEE10hipError_tPvRmT1_T2_T3_mT4_P12ihipStream_tbEUlT_E0_NS1_11comp_targetILNS1_3genE10ELNS1_11target_archE1201ELNS1_3gpuE5ELNS1_3repE0EEENS1_30default_config_static_selectorELNS0_4arch9wavefront6targetE1EEEvSM_
		.amdhsa_group_segment_fixed_size 0
		.amdhsa_private_segment_fixed_size 0
		.amdhsa_kernarg_size 64
		.amdhsa_user_sgpr_count 2
		.amdhsa_user_sgpr_dispatch_ptr 0
		.amdhsa_user_sgpr_queue_ptr 0
		.amdhsa_user_sgpr_kernarg_segment_ptr 1
		.amdhsa_user_sgpr_dispatch_id 0
		.amdhsa_user_sgpr_kernarg_preload_length 0
		.amdhsa_user_sgpr_kernarg_preload_offset 0
		.amdhsa_user_sgpr_private_segment_size 0
		.amdhsa_uses_dynamic_stack 0
		.amdhsa_enable_private_segment 0
		.amdhsa_system_sgpr_workgroup_id_x 1
		.amdhsa_system_sgpr_workgroup_id_y 0
		.amdhsa_system_sgpr_workgroup_id_z 0
		.amdhsa_system_sgpr_workgroup_info 0
		.amdhsa_system_vgpr_workitem_id 0
		.amdhsa_next_free_vgpr 1
		.amdhsa_next_free_sgpr 0
		.amdhsa_accum_offset 4
		.amdhsa_reserve_vcc 0
		.amdhsa_float_round_mode_32 0
		.amdhsa_float_round_mode_16_64 0
		.amdhsa_float_denorm_mode_32 3
		.amdhsa_float_denorm_mode_16_64 3
		.amdhsa_dx10_clamp 1
		.amdhsa_ieee_mode 1
		.amdhsa_fp16_overflow 0
		.amdhsa_tg_split 0
		.amdhsa_exception_fp_ieee_invalid_op 0
		.amdhsa_exception_fp_denorm_src 0
		.amdhsa_exception_fp_ieee_div_zero 0
		.amdhsa_exception_fp_ieee_overflow 0
		.amdhsa_exception_fp_ieee_underflow 0
		.amdhsa_exception_fp_ieee_inexact 0
		.amdhsa_exception_int_div_zero 0
	.end_amdhsa_kernel
	.section	.text._ZN7rocprim17ROCPRIM_400000_NS6detail17trampoline_kernelINS0_14default_configENS1_22reduce_config_selectorIlEEZNS1_11reduce_implILb1ES3_PlS7_lN6hipcub16HIPCUB_304000_NS6detail34convert_binary_result_type_wrapperINS9_3SumENS9_22TransformInputIteratorIb7NonZeroIsEPslEElEEEE10hipError_tPvRmT1_T2_T3_mT4_P12ihipStream_tbEUlT_E0_NS1_11comp_targetILNS1_3genE10ELNS1_11target_archE1201ELNS1_3gpuE5ELNS1_3repE0EEENS1_30default_config_static_selectorELNS0_4arch9wavefront6targetE1EEEvSM_,"axG",@progbits,_ZN7rocprim17ROCPRIM_400000_NS6detail17trampoline_kernelINS0_14default_configENS1_22reduce_config_selectorIlEEZNS1_11reduce_implILb1ES3_PlS7_lN6hipcub16HIPCUB_304000_NS6detail34convert_binary_result_type_wrapperINS9_3SumENS9_22TransformInputIteratorIb7NonZeroIsEPslEElEEEE10hipError_tPvRmT1_T2_T3_mT4_P12ihipStream_tbEUlT_E0_NS1_11comp_targetILNS1_3genE10ELNS1_11target_archE1201ELNS1_3gpuE5ELNS1_3repE0EEENS1_30default_config_static_selectorELNS0_4arch9wavefront6targetE1EEEvSM_,comdat
.Lfunc_end86:
	.size	_ZN7rocprim17ROCPRIM_400000_NS6detail17trampoline_kernelINS0_14default_configENS1_22reduce_config_selectorIlEEZNS1_11reduce_implILb1ES3_PlS7_lN6hipcub16HIPCUB_304000_NS6detail34convert_binary_result_type_wrapperINS9_3SumENS9_22TransformInputIteratorIb7NonZeroIsEPslEElEEEE10hipError_tPvRmT1_T2_T3_mT4_P12ihipStream_tbEUlT_E0_NS1_11comp_targetILNS1_3genE10ELNS1_11target_archE1201ELNS1_3gpuE5ELNS1_3repE0EEENS1_30default_config_static_selectorELNS0_4arch9wavefront6targetE1EEEvSM_, .Lfunc_end86-_ZN7rocprim17ROCPRIM_400000_NS6detail17trampoline_kernelINS0_14default_configENS1_22reduce_config_selectorIlEEZNS1_11reduce_implILb1ES3_PlS7_lN6hipcub16HIPCUB_304000_NS6detail34convert_binary_result_type_wrapperINS9_3SumENS9_22TransformInputIteratorIb7NonZeroIsEPslEElEEEE10hipError_tPvRmT1_T2_T3_mT4_P12ihipStream_tbEUlT_E0_NS1_11comp_targetILNS1_3genE10ELNS1_11target_archE1201ELNS1_3gpuE5ELNS1_3repE0EEENS1_30default_config_static_selectorELNS0_4arch9wavefront6targetE1EEEvSM_
                                        ; -- End function
	.set _ZN7rocprim17ROCPRIM_400000_NS6detail17trampoline_kernelINS0_14default_configENS1_22reduce_config_selectorIlEEZNS1_11reduce_implILb1ES3_PlS7_lN6hipcub16HIPCUB_304000_NS6detail34convert_binary_result_type_wrapperINS9_3SumENS9_22TransformInputIteratorIb7NonZeroIsEPslEElEEEE10hipError_tPvRmT1_T2_T3_mT4_P12ihipStream_tbEUlT_E0_NS1_11comp_targetILNS1_3genE10ELNS1_11target_archE1201ELNS1_3gpuE5ELNS1_3repE0EEENS1_30default_config_static_selectorELNS0_4arch9wavefront6targetE1EEEvSM_.num_vgpr, 0
	.set _ZN7rocprim17ROCPRIM_400000_NS6detail17trampoline_kernelINS0_14default_configENS1_22reduce_config_selectorIlEEZNS1_11reduce_implILb1ES3_PlS7_lN6hipcub16HIPCUB_304000_NS6detail34convert_binary_result_type_wrapperINS9_3SumENS9_22TransformInputIteratorIb7NonZeroIsEPslEElEEEE10hipError_tPvRmT1_T2_T3_mT4_P12ihipStream_tbEUlT_E0_NS1_11comp_targetILNS1_3genE10ELNS1_11target_archE1201ELNS1_3gpuE5ELNS1_3repE0EEENS1_30default_config_static_selectorELNS0_4arch9wavefront6targetE1EEEvSM_.num_agpr, 0
	.set _ZN7rocprim17ROCPRIM_400000_NS6detail17trampoline_kernelINS0_14default_configENS1_22reduce_config_selectorIlEEZNS1_11reduce_implILb1ES3_PlS7_lN6hipcub16HIPCUB_304000_NS6detail34convert_binary_result_type_wrapperINS9_3SumENS9_22TransformInputIteratorIb7NonZeroIsEPslEElEEEE10hipError_tPvRmT1_T2_T3_mT4_P12ihipStream_tbEUlT_E0_NS1_11comp_targetILNS1_3genE10ELNS1_11target_archE1201ELNS1_3gpuE5ELNS1_3repE0EEENS1_30default_config_static_selectorELNS0_4arch9wavefront6targetE1EEEvSM_.numbered_sgpr, 0
	.set _ZN7rocprim17ROCPRIM_400000_NS6detail17trampoline_kernelINS0_14default_configENS1_22reduce_config_selectorIlEEZNS1_11reduce_implILb1ES3_PlS7_lN6hipcub16HIPCUB_304000_NS6detail34convert_binary_result_type_wrapperINS9_3SumENS9_22TransformInputIteratorIb7NonZeroIsEPslEElEEEE10hipError_tPvRmT1_T2_T3_mT4_P12ihipStream_tbEUlT_E0_NS1_11comp_targetILNS1_3genE10ELNS1_11target_archE1201ELNS1_3gpuE5ELNS1_3repE0EEENS1_30default_config_static_selectorELNS0_4arch9wavefront6targetE1EEEvSM_.num_named_barrier, 0
	.set _ZN7rocprim17ROCPRIM_400000_NS6detail17trampoline_kernelINS0_14default_configENS1_22reduce_config_selectorIlEEZNS1_11reduce_implILb1ES3_PlS7_lN6hipcub16HIPCUB_304000_NS6detail34convert_binary_result_type_wrapperINS9_3SumENS9_22TransformInputIteratorIb7NonZeroIsEPslEElEEEE10hipError_tPvRmT1_T2_T3_mT4_P12ihipStream_tbEUlT_E0_NS1_11comp_targetILNS1_3genE10ELNS1_11target_archE1201ELNS1_3gpuE5ELNS1_3repE0EEENS1_30default_config_static_selectorELNS0_4arch9wavefront6targetE1EEEvSM_.private_seg_size, 0
	.set _ZN7rocprim17ROCPRIM_400000_NS6detail17trampoline_kernelINS0_14default_configENS1_22reduce_config_selectorIlEEZNS1_11reduce_implILb1ES3_PlS7_lN6hipcub16HIPCUB_304000_NS6detail34convert_binary_result_type_wrapperINS9_3SumENS9_22TransformInputIteratorIb7NonZeroIsEPslEElEEEE10hipError_tPvRmT1_T2_T3_mT4_P12ihipStream_tbEUlT_E0_NS1_11comp_targetILNS1_3genE10ELNS1_11target_archE1201ELNS1_3gpuE5ELNS1_3repE0EEENS1_30default_config_static_selectorELNS0_4arch9wavefront6targetE1EEEvSM_.uses_vcc, 0
	.set _ZN7rocprim17ROCPRIM_400000_NS6detail17trampoline_kernelINS0_14default_configENS1_22reduce_config_selectorIlEEZNS1_11reduce_implILb1ES3_PlS7_lN6hipcub16HIPCUB_304000_NS6detail34convert_binary_result_type_wrapperINS9_3SumENS9_22TransformInputIteratorIb7NonZeroIsEPslEElEEEE10hipError_tPvRmT1_T2_T3_mT4_P12ihipStream_tbEUlT_E0_NS1_11comp_targetILNS1_3genE10ELNS1_11target_archE1201ELNS1_3gpuE5ELNS1_3repE0EEENS1_30default_config_static_selectorELNS0_4arch9wavefront6targetE1EEEvSM_.uses_flat_scratch, 0
	.set _ZN7rocprim17ROCPRIM_400000_NS6detail17trampoline_kernelINS0_14default_configENS1_22reduce_config_selectorIlEEZNS1_11reduce_implILb1ES3_PlS7_lN6hipcub16HIPCUB_304000_NS6detail34convert_binary_result_type_wrapperINS9_3SumENS9_22TransformInputIteratorIb7NonZeroIsEPslEElEEEE10hipError_tPvRmT1_T2_T3_mT4_P12ihipStream_tbEUlT_E0_NS1_11comp_targetILNS1_3genE10ELNS1_11target_archE1201ELNS1_3gpuE5ELNS1_3repE0EEENS1_30default_config_static_selectorELNS0_4arch9wavefront6targetE1EEEvSM_.has_dyn_sized_stack, 0
	.set _ZN7rocprim17ROCPRIM_400000_NS6detail17trampoline_kernelINS0_14default_configENS1_22reduce_config_selectorIlEEZNS1_11reduce_implILb1ES3_PlS7_lN6hipcub16HIPCUB_304000_NS6detail34convert_binary_result_type_wrapperINS9_3SumENS9_22TransformInputIteratorIb7NonZeroIsEPslEElEEEE10hipError_tPvRmT1_T2_T3_mT4_P12ihipStream_tbEUlT_E0_NS1_11comp_targetILNS1_3genE10ELNS1_11target_archE1201ELNS1_3gpuE5ELNS1_3repE0EEENS1_30default_config_static_selectorELNS0_4arch9wavefront6targetE1EEEvSM_.has_recursion, 0
	.set _ZN7rocprim17ROCPRIM_400000_NS6detail17trampoline_kernelINS0_14default_configENS1_22reduce_config_selectorIlEEZNS1_11reduce_implILb1ES3_PlS7_lN6hipcub16HIPCUB_304000_NS6detail34convert_binary_result_type_wrapperINS9_3SumENS9_22TransformInputIteratorIb7NonZeroIsEPslEElEEEE10hipError_tPvRmT1_T2_T3_mT4_P12ihipStream_tbEUlT_E0_NS1_11comp_targetILNS1_3genE10ELNS1_11target_archE1201ELNS1_3gpuE5ELNS1_3repE0EEENS1_30default_config_static_selectorELNS0_4arch9wavefront6targetE1EEEvSM_.has_indirect_call, 0
	.section	.AMDGPU.csdata,"",@progbits
; Kernel info:
; codeLenInByte = 0
; TotalNumSgprs: 6
; NumVgprs: 0
; NumAgprs: 0
; TotalNumVgprs: 0
; ScratchSize: 0
; MemoryBound: 0
; FloatMode: 240
; IeeeMode: 1
; LDSByteSize: 0 bytes/workgroup (compile time only)
; SGPRBlocks: 0
; VGPRBlocks: 0
; NumSGPRsForWavesPerEU: 6
; NumVGPRsForWavesPerEU: 1
; AccumOffset: 4
; Occupancy: 8
; WaveLimiterHint : 0
; COMPUTE_PGM_RSRC2:SCRATCH_EN: 0
; COMPUTE_PGM_RSRC2:USER_SGPR: 2
; COMPUTE_PGM_RSRC2:TRAP_HANDLER: 0
; COMPUTE_PGM_RSRC2:TGID_X_EN: 1
; COMPUTE_PGM_RSRC2:TGID_Y_EN: 0
; COMPUTE_PGM_RSRC2:TGID_Z_EN: 0
; COMPUTE_PGM_RSRC2:TIDIG_COMP_CNT: 0
; COMPUTE_PGM_RSRC3_GFX90A:ACCUM_OFFSET: 0
; COMPUTE_PGM_RSRC3_GFX90A:TG_SPLIT: 0
	.section	.text._ZN7rocprim17ROCPRIM_400000_NS6detail17trampoline_kernelINS0_14default_configENS1_22reduce_config_selectorIlEEZNS1_11reduce_implILb1ES3_PlS7_lN6hipcub16HIPCUB_304000_NS6detail34convert_binary_result_type_wrapperINS9_3SumENS9_22TransformInputIteratorIb7NonZeroIsEPslEElEEEE10hipError_tPvRmT1_T2_T3_mT4_P12ihipStream_tbEUlT_E0_NS1_11comp_targetILNS1_3genE10ELNS1_11target_archE1200ELNS1_3gpuE4ELNS1_3repE0EEENS1_30default_config_static_selectorELNS0_4arch9wavefront6targetE1EEEvSM_,"axG",@progbits,_ZN7rocprim17ROCPRIM_400000_NS6detail17trampoline_kernelINS0_14default_configENS1_22reduce_config_selectorIlEEZNS1_11reduce_implILb1ES3_PlS7_lN6hipcub16HIPCUB_304000_NS6detail34convert_binary_result_type_wrapperINS9_3SumENS9_22TransformInputIteratorIb7NonZeroIsEPslEElEEEE10hipError_tPvRmT1_T2_T3_mT4_P12ihipStream_tbEUlT_E0_NS1_11comp_targetILNS1_3genE10ELNS1_11target_archE1200ELNS1_3gpuE4ELNS1_3repE0EEENS1_30default_config_static_selectorELNS0_4arch9wavefront6targetE1EEEvSM_,comdat
	.protected	_ZN7rocprim17ROCPRIM_400000_NS6detail17trampoline_kernelINS0_14default_configENS1_22reduce_config_selectorIlEEZNS1_11reduce_implILb1ES3_PlS7_lN6hipcub16HIPCUB_304000_NS6detail34convert_binary_result_type_wrapperINS9_3SumENS9_22TransformInputIteratorIb7NonZeroIsEPslEElEEEE10hipError_tPvRmT1_T2_T3_mT4_P12ihipStream_tbEUlT_E0_NS1_11comp_targetILNS1_3genE10ELNS1_11target_archE1200ELNS1_3gpuE4ELNS1_3repE0EEENS1_30default_config_static_selectorELNS0_4arch9wavefront6targetE1EEEvSM_ ; -- Begin function _ZN7rocprim17ROCPRIM_400000_NS6detail17trampoline_kernelINS0_14default_configENS1_22reduce_config_selectorIlEEZNS1_11reduce_implILb1ES3_PlS7_lN6hipcub16HIPCUB_304000_NS6detail34convert_binary_result_type_wrapperINS9_3SumENS9_22TransformInputIteratorIb7NonZeroIsEPslEElEEEE10hipError_tPvRmT1_T2_T3_mT4_P12ihipStream_tbEUlT_E0_NS1_11comp_targetILNS1_3genE10ELNS1_11target_archE1200ELNS1_3gpuE4ELNS1_3repE0EEENS1_30default_config_static_selectorELNS0_4arch9wavefront6targetE1EEEvSM_
	.globl	_ZN7rocprim17ROCPRIM_400000_NS6detail17trampoline_kernelINS0_14default_configENS1_22reduce_config_selectorIlEEZNS1_11reduce_implILb1ES3_PlS7_lN6hipcub16HIPCUB_304000_NS6detail34convert_binary_result_type_wrapperINS9_3SumENS9_22TransformInputIteratorIb7NonZeroIsEPslEElEEEE10hipError_tPvRmT1_T2_T3_mT4_P12ihipStream_tbEUlT_E0_NS1_11comp_targetILNS1_3genE10ELNS1_11target_archE1200ELNS1_3gpuE4ELNS1_3repE0EEENS1_30default_config_static_selectorELNS0_4arch9wavefront6targetE1EEEvSM_
	.p2align	8
	.type	_ZN7rocprim17ROCPRIM_400000_NS6detail17trampoline_kernelINS0_14default_configENS1_22reduce_config_selectorIlEEZNS1_11reduce_implILb1ES3_PlS7_lN6hipcub16HIPCUB_304000_NS6detail34convert_binary_result_type_wrapperINS9_3SumENS9_22TransformInputIteratorIb7NonZeroIsEPslEElEEEE10hipError_tPvRmT1_T2_T3_mT4_P12ihipStream_tbEUlT_E0_NS1_11comp_targetILNS1_3genE10ELNS1_11target_archE1200ELNS1_3gpuE4ELNS1_3repE0EEENS1_30default_config_static_selectorELNS0_4arch9wavefront6targetE1EEEvSM_,@function
_ZN7rocprim17ROCPRIM_400000_NS6detail17trampoline_kernelINS0_14default_configENS1_22reduce_config_selectorIlEEZNS1_11reduce_implILb1ES3_PlS7_lN6hipcub16HIPCUB_304000_NS6detail34convert_binary_result_type_wrapperINS9_3SumENS9_22TransformInputIteratorIb7NonZeroIsEPslEElEEEE10hipError_tPvRmT1_T2_T3_mT4_P12ihipStream_tbEUlT_E0_NS1_11comp_targetILNS1_3genE10ELNS1_11target_archE1200ELNS1_3gpuE4ELNS1_3repE0EEENS1_30default_config_static_selectorELNS0_4arch9wavefront6targetE1EEEvSM_: ; @_ZN7rocprim17ROCPRIM_400000_NS6detail17trampoline_kernelINS0_14default_configENS1_22reduce_config_selectorIlEEZNS1_11reduce_implILb1ES3_PlS7_lN6hipcub16HIPCUB_304000_NS6detail34convert_binary_result_type_wrapperINS9_3SumENS9_22TransformInputIteratorIb7NonZeroIsEPslEElEEEE10hipError_tPvRmT1_T2_T3_mT4_P12ihipStream_tbEUlT_E0_NS1_11comp_targetILNS1_3genE10ELNS1_11target_archE1200ELNS1_3gpuE4ELNS1_3repE0EEENS1_30default_config_static_selectorELNS0_4arch9wavefront6targetE1EEEvSM_
; %bb.0:
	.section	.rodata,"a",@progbits
	.p2align	6, 0x0
	.amdhsa_kernel _ZN7rocprim17ROCPRIM_400000_NS6detail17trampoline_kernelINS0_14default_configENS1_22reduce_config_selectorIlEEZNS1_11reduce_implILb1ES3_PlS7_lN6hipcub16HIPCUB_304000_NS6detail34convert_binary_result_type_wrapperINS9_3SumENS9_22TransformInputIteratorIb7NonZeroIsEPslEElEEEE10hipError_tPvRmT1_T2_T3_mT4_P12ihipStream_tbEUlT_E0_NS1_11comp_targetILNS1_3genE10ELNS1_11target_archE1200ELNS1_3gpuE4ELNS1_3repE0EEENS1_30default_config_static_selectorELNS0_4arch9wavefront6targetE1EEEvSM_
		.amdhsa_group_segment_fixed_size 0
		.amdhsa_private_segment_fixed_size 0
		.amdhsa_kernarg_size 64
		.amdhsa_user_sgpr_count 2
		.amdhsa_user_sgpr_dispatch_ptr 0
		.amdhsa_user_sgpr_queue_ptr 0
		.amdhsa_user_sgpr_kernarg_segment_ptr 1
		.amdhsa_user_sgpr_dispatch_id 0
		.amdhsa_user_sgpr_kernarg_preload_length 0
		.amdhsa_user_sgpr_kernarg_preload_offset 0
		.amdhsa_user_sgpr_private_segment_size 0
		.amdhsa_uses_dynamic_stack 0
		.amdhsa_enable_private_segment 0
		.amdhsa_system_sgpr_workgroup_id_x 1
		.amdhsa_system_sgpr_workgroup_id_y 0
		.amdhsa_system_sgpr_workgroup_id_z 0
		.amdhsa_system_sgpr_workgroup_info 0
		.amdhsa_system_vgpr_workitem_id 0
		.amdhsa_next_free_vgpr 1
		.amdhsa_next_free_sgpr 0
		.amdhsa_accum_offset 4
		.amdhsa_reserve_vcc 0
		.amdhsa_float_round_mode_32 0
		.amdhsa_float_round_mode_16_64 0
		.amdhsa_float_denorm_mode_32 3
		.amdhsa_float_denorm_mode_16_64 3
		.amdhsa_dx10_clamp 1
		.amdhsa_ieee_mode 1
		.amdhsa_fp16_overflow 0
		.amdhsa_tg_split 0
		.amdhsa_exception_fp_ieee_invalid_op 0
		.amdhsa_exception_fp_denorm_src 0
		.amdhsa_exception_fp_ieee_div_zero 0
		.amdhsa_exception_fp_ieee_overflow 0
		.amdhsa_exception_fp_ieee_underflow 0
		.amdhsa_exception_fp_ieee_inexact 0
		.amdhsa_exception_int_div_zero 0
	.end_amdhsa_kernel
	.section	.text._ZN7rocprim17ROCPRIM_400000_NS6detail17trampoline_kernelINS0_14default_configENS1_22reduce_config_selectorIlEEZNS1_11reduce_implILb1ES3_PlS7_lN6hipcub16HIPCUB_304000_NS6detail34convert_binary_result_type_wrapperINS9_3SumENS9_22TransformInputIteratorIb7NonZeroIsEPslEElEEEE10hipError_tPvRmT1_T2_T3_mT4_P12ihipStream_tbEUlT_E0_NS1_11comp_targetILNS1_3genE10ELNS1_11target_archE1200ELNS1_3gpuE4ELNS1_3repE0EEENS1_30default_config_static_selectorELNS0_4arch9wavefront6targetE1EEEvSM_,"axG",@progbits,_ZN7rocprim17ROCPRIM_400000_NS6detail17trampoline_kernelINS0_14default_configENS1_22reduce_config_selectorIlEEZNS1_11reduce_implILb1ES3_PlS7_lN6hipcub16HIPCUB_304000_NS6detail34convert_binary_result_type_wrapperINS9_3SumENS9_22TransformInputIteratorIb7NonZeroIsEPslEElEEEE10hipError_tPvRmT1_T2_T3_mT4_P12ihipStream_tbEUlT_E0_NS1_11comp_targetILNS1_3genE10ELNS1_11target_archE1200ELNS1_3gpuE4ELNS1_3repE0EEENS1_30default_config_static_selectorELNS0_4arch9wavefront6targetE1EEEvSM_,comdat
.Lfunc_end87:
	.size	_ZN7rocprim17ROCPRIM_400000_NS6detail17trampoline_kernelINS0_14default_configENS1_22reduce_config_selectorIlEEZNS1_11reduce_implILb1ES3_PlS7_lN6hipcub16HIPCUB_304000_NS6detail34convert_binary_result_type_wrapperINS9_3SumENS9_22TransformInputIteratorIb7NonZeroIsEPslEElEEEE10hipError_tPvRmT1_T2_T3_mT4_P12ihipStream_tbEUlT_E0_NS1_11comp_targetILNS1_3genE10ELNS1_11target_archE1200ELNS1_3gpuE4ELNS1_3repE0EEENS1_30default_config_static_selectorELNS0_4arch9wavefront6targetE1EEEvSM_, .Lfunc_end87-_ZN7rocprim17ROCPRIM_400000_NS6detail17trampoline_kernelINS0_14default_configENS1_22reduce_config_selectorIlEEZNS1_11reduce_implILb1ES3_PlS7_lN6hipcub16HIPCUB_304000_NS6detail34convert_binary_result_type_wrapperINS9_3SumENS9_22TransformInputIteratorIb7NonZeroIsEPslEElEEEE10hipError_tPvRmT1_T2_T3_mT4_P12ihipStream_tbEUlT_E0_NS1_11comp_targetILNS1_3genE10ELNS1_11target_archE1200ELNS1_3gpuE4ELNS1_3repE0EEENS1_30default_config_static_selectorELNS0_4arch9wavefront6targetE1EEEvSM_
                                        ; -- End function
	.set _ZN7rocprim17ROCPRIM_400000_NS6detail17trampoline_kernelINS0_14default_configENS1_22reduce_config_selectorIlEEZNS1_11reduce_implILb1ES3_PlS7_lN6hipcub16HIPCUB_304000_NS6detail34convert_binary_result_type_wrapperINS9_3SumENS9_22TransformInputIteratorIb7NonZeroIsEPslEElEEEE10hipError_tPvRmT1_T2_T3_mT4_P12ihipStream_tbEUlT_E0_NS1_11comp_targetILNS1_3genE10ELNS1_11target_archE1200ELNS1_3gpuE4ELNS1_3repE0EEENS1_30default_config_static_selectorELNS0_4arch9wavefront6targetE1EEEvSM_.num_vgpr, 0
	.set _ZN7rocprim17ROCPRIM_400000_NS6detail17trampoline_kernelINS0_14default_configENS1_22reduce_config_selectorIlEEZNS1_11reduce_implILb1ES3_PlS7_lN6hipcub16HIPCUB_304000_NS6detail34convert_binary_result_type_wrapperINS9_3SumENS9_22TransformInputIteratorIb7NonZeroIsEPslEElEEEE10hipError_tPvRmT1_T2_T3_mT4_P12ihipStream_tbEUlT_E0_NS1_11comp_targetILNS1_3genE10ELNS1_11target_archE1200ELNS1_3gpuE4ELNS1_3repE0EEENS1_30default_config_static_selectorELNS0_4arch9wavefront6targetE1EEEvSM_.num_agpr, 0
	.set _ZN7rocprim17ROCPRIM_400000_NS6detail17trampoline_kernelINS0_14default_configENS1_22reduce_config_selectorIlEEZNS1_11reduce_implILb1ES3_PlS7_lN6hipcub16HIPCUB_304000_NS6detail34convert_binary_result_type_wrapperINS9_3SumENS9_22TransformInputIteratorIb7NonZeroIsEPslEElEEEE10hipError_tPvRmT1_T2_T3_mT4_P12ihipStream_tbEUlT_E0_NS1_11comp_targetILNS1_3genE10ELNS1_11target_archE1200ELNS1_3gpuE4ELNS1_3repE0EEENS1_30default_config_static_selectorELNS0_4arch9wavefront6targetE1EEEvSM_.numbered_sgpr, 0
	.set _ZN7rocprim17ROCPRIM_400000_NS6detail17trampoline_kernelINS0_14default_configENS1_22reduce_config_selectorIlEEZNS1_11reduce_implILb1ES3_PlS7_lN6hipcub16HIPCUB_304000_NS6detail34convert_binary_result_type_wrapperINS9_3SumENS9_22TransformInputIteratorIb7NonZeroIsEPslEElEEEE10hipError_tPvRmT1_T2_T3_mT4_P12ihipStream_tbEUlT_E0_NS1_11comp_targetILNS1_3genE10ELNS1_11target_archE1200ELNS1_3gpuE4ELNS1_3repE0EEENS1_30default_config_static_selectorELNS0_4arch9wavefront6targetE1EEEvSM_.num_named_barrier, 0
	.set _ZN7rocprim17ROCPRIM_400000_NS6detail17trampoline_kernelINS0_14default_configENS1_22reduce_config_selectorIlEEZNS1_11reduce_implILb1ES3_PlS7_lN6hipcub16HIPCUB_304000_NS6detail34convert_binary_result_type_wrapperINS9_3SumENS9_22TransformInputIteratorIb7NonZeroIsEPslEElEEEE10hipError_tPvRmT1_T2_T3_mT4_P12ihipStream_tbEUlT_E0_NS1_11comp_targetILNS1_3genE10ELNS1_11target_archE1200ELNS1_3gpuE4ELNS1_3repE0EEENS1_30default_config_static_selectorELNS0_4arch9wavefront6targetE1EEEvSM_.private_seg_size, 0
	.set _ZN7rocprim17ROCPRIM_400000_NS6detail17trampoline_kernelINS0_14default_configENS1_22reduce_config_selectorIlEEZNS1_11reduce_implILb1ES3_PlS7_lN6hipcub16HIPCUB_304000_NS6detail34convert_binary_result_type_wrapperINS9_3SumENS9_22TransformInputIteratorIb7NonZeroIsEPslEElEEEE10hipError_tPvRmT1_T2_T3_mT4_P12ihipStream_tbEUlT_E0_NS1_11comp_targetILNS1_3genE10ELNS1_11target_archE1200ELNS1_3gpuE4ELNS1_3repE0EEENS1_30default_config_static_selectorELNS0_4arch9wavefront6targetE1EEEvSM_.uses_vcc, 0
	.set _ZN7rocprim17ROCPRIM_400000_NS6detail17trampoline_kernelINS0_14default_configENS1_22reduce_config_selectorIlEEZNS1_11reduce_implILb1ES3_PlS7_lN6hipcub16HIPCUB_304000_NS6detail34convert_binary_result_type_wrapperINS9_3SumENS9_22TransformInputIteratorIb7NonZeroIsEPslEElEEEE10hipError_tPvRmT1_T2_T3_mT4_P12ihipStream_tbEUlT_E0_NS1_11comp_targetILNS1_3genE10ELNS1_11target_archE1200ELNS1_3gpuE4ELNS1_3repE0EEENS1_30default_config_static_selectorELNS0_4arch9wavefront6targetE1EEEvSM_.uses_flat_scratch, 0
	.set _ZN7rocprim17ROCPRIM_400000_NS6detail17trampoline_kernelINS0_14default_configENS1_22reduce_config_selectorIlEEZNS1_11reduce_implILb1ES3_PlS7_lN6hipcub16HIPCUB_304000_NS6detail34convert_binary_result_type_wrapperINS9_3SumENS9_22TransformInputIteratorIb7NonZeroIsEPslEElEEEE10hipError_tPvRmT1_T2_T3_mT4_P12ihipStream_tbEUlT_E0_NS1_11comp_targetILNS1_3genE10ELNS1_11target_archE1200ELNS1_3gpuE4ELNS1_3repE0EEENS1_30default_config_static_selectorELNS0_4arch9wavefront6targetE1EEEvSM_.has_dyn_sized_stack, 0
	.set _ZN7rocprim17ROCPRIM_400000_NS6detail17trampoline_kernelINS0_14default_configENS1_22reduce_config_selectorIlEEZNS1_11reduce_implILb1ES3_PlS7_lN6hipcub16HIPCUB_304000_NS6detail34convert_binary_result_type_wrapperINS9_3SumENS9_22TransformInputIteratorIb7NonZeroIsEPslEElEEEE10hipError_tPvRmT1_T2_T3_mT4_P12ihipStream_tbEUlT_E0_NS1_11comp_targetILNS1_3genE10ELNS1_11target_archE1200ELNS1_3gpuE4ELNS1_3repE0EEENS1_30default_config_static_selectorELNS0_4arch9wavefront6targetE1EEEvSM_.has_recursion, 0
	.set _ZN7rocprim17ROCPRIM_400000_NS6detail17trampoline_kernelINS0_14default_configENS1_22reduce_config_selectorIlEEZNS1_11reduce_implILb1ES3_PlS7_lN6hipcub16HIPCUB_304000_NS6detail34convert_binary_result_type_wrapperINS9_3SumENS9_22TransformInputIteratorIb7NonZeroIsEPslEElEEEE10hipError_tPvRmT1_T2_T3_mT4_P12ihipStream_tbEUlT_E0_NS1_11comp_targetILNS1_3genE10ELNS1_11target_archE1200ELNS1_3gpuE4ELNS1_3repE0EEENS1_30default_config_static_selectorELNS0_4arch9wavefront6targetE1EEEvSM_.has_indirect_call, 0
	.section	.AMDGPU.csdata,"",@progbits
; Kernel info:
; codeLenInByte = 0
; TotalNumSgprs: 6
; NumVgprs: 0
; NumAgprs: 0
; TotalNumVgprs: 0
; ScratchSize: 0
; MemoryBound: 0
; FloatMode: 240
; IeeeMode: 1
; LDSByteSize: 0 bytes/workgroup (compile time only)
; SGPRBlocks: 0
; VGPRBlocks: 0
; NumSGPRsForWavesPerEU: 6
; NumVGPRsForWavesPerEU: 1
; AccumOffset: 4
; Occupancy: 8
; WaveLimiterHint : 0
; COMPUTE_PGM_RSRC2:SCRATCH_EN: 0
; COMPUTE_PGM_RSRC2:USER_SGPR: 2
; COMPUTE_PGM_RSRC2:TRAP_HANDLER: 0
; COMPUTE_PGM_RSRC2:TGID_X_EN: 1
; COMPUTE_PGM_RSRC2:TGID_Y_EN: 0
; COMPUTE_PGM_RSRC2:TGID_Z_EN: 0
; COMPUTE_PGM_RSRC2:TIDIG_COMP_CNT: 0
; COMPUTE_PGM_RSRC3_GFX90A:ACCUM_OFFSET: 0
; COMPUTE_PGM_RSRC3_GFX90A:TG_SPLIT: 0
	.section	.text._ZN7rocprim17ROCPRIM_400000_NS6detail17trampoline_kernelINS0_14default_configENS1_22reduce_config_selectorIlEEZNS1_11reduce_implILb1ES3_PlS7_lN6hipcub16HIPCUB_304000_NS6detail34convert_binary_result_type_wrapperINS9_3SumENS9_22TransformInputIteratorIb7NonZeroIsEPslEElEEEE10hipError_tPvRmT1_T2_T3_mT4_P12ihipStream_tbEUlT_E0_NS1_11comp_targetILNS1_3genE9ELNS1_11target_archE1100ELNS1_3gpuE3ELNS1_3repE0EEENS1_30default_config_static_selectorELNS0_4arch9wavefront6targetE1EEEvSM_,"axG",@progbits,_ZN7rocprim17ROCPRIM_400000_NS6detail17trampoline_kernelINS0_14default_configENS1_22reduce_config_selectorIlEEZNS1_11reduce_implILb1ES3_PlS7_lN6hipcub16HIPCUB_304000_NS6detail34convert_binary_result_type_wrapperINS9_3SumENS9_22TransformInputIteratorIb7NonZeroIsEPslEElEEEE10hipError_tPvRmT1_T2_T3_mT4_P12ihipStream_tbEUlT_E0_NS1_11comp_targetILNS1_3genE9ELNS1_11target_archE1100ELNS1_3gpuE3ELNS1_3repE0EEENS1_30default_config_static_selectorELNS0_4arch9wavefront6targetE1EEEvSM_,comdat
	.protected	_ZN7rocprim17ROCPRIM_400000_NS6detail17trampoline_kernelINS0_14default_configENS1_22reduce_config_selectorIlEEZNS1_11reduce_implILb1ES3_PlS7_lN6hipcub16HIPCUB_304000_NS6detail34convert_binary_result_type_wrapperINS9_3SumENS9_22TransformInputIteratorIb7NonZeroIsEPslEElEEEE10hipError_tPvRmT1_T2_T3_mT4_P12ihipStream_tbEUlT_E0_NS1_11comp_targetILNS1_3genE9ELNS1_11target_archE1100ELNS1_3gpuE3ELNS1_3repE0EEENS1_30default_config_static_selectorELNS0_4arch9wavefront6targetE1EEEvSM_ ; -- Begin function _ZN7rocprim17ROCPRIM_400000_NS6detail17trampoline_kernelINS0_14default_configENS1_22reduce_config_selectorIlEEZNS1_11reduce_implILb1ES3_PlS7_lN6hipcub16HIPCUB_304000_NS6detail34convert_binary_result_type_wrapperINS9_3SumENS9_22TransformInputIteratorIb7NonZeroIsEPslEElEEEE10hipError_tPvRmT1_T2_T3_mT4_P12ihipStream_tbEUlT_E0_NS1_11comp_targetILNS1_3genE9ELNS1_11target_archE1100ELNS1_3gpuE3ELNS1_3repE0EEENS1_30default_config_static_selectorELNS0_4arch9wavefront6targetE1EEEvSM_
	.globl	_ZN7rocprim17ROCPRIM_400000_NS6detail17trampoline_kernelINS0_14default_configENS1_22reduce_config_selectorIlEEZNS1_11reduce_implILb1ES3_PlS7_lN6hipcub16HIPCUB_304000_NS6detail34convert_binary_result_type_wrapperINS9_3SumENS9_22TransformInputIteratorIb7NonZeroIsEPslEElEEEE10hipError_tPvRmT1_T2_T3_mT4_P12ihipStream_tbEUlT_E0_NS1_11comp_targetILNS1_3genE9ELNS1_11target_archE1100ELNS1_3gpuE3ELNS1_3repE0EEENS1_30default_config_static_selectorELNS0_4arch9wavefront6targetE1EEEvSM_
	.p2align	8
	.type	_ZN7rocprim17ROCPRIM_400000_NS6detail17trampoline_kernelINS0_14default_configENS1_22reduce_config_selectorIlEEZNS1_11reduce_implILb1ES3_PlS7_lN6hipcub16HIPCUB_304000_NS6detail34convert_binary_result_type_wrapperINS9_3SumENS9_22TransformInputIteratorIb7NonZeroIsEPslEElEEEE10hipError_tPvRmT1_T2_T3_mT4_P12ihipStream_tbEUlT_E0_NS1_11comp_targetILNS1_3genE9ELNS1_11target_archE1100ELNS1_3gpuE3ELNS1_3repE0EEENS1_30default_config_static_selectorELNS0_4arch9wavefront6targetE1EEEvSM_,@function
_ZN7rocprim17ROCPRIM_400000_NS6detail17trampoline_kernelINS0_14default_configENS1_22reduce_config_selectorIlEEZNS1_11reduce_implILb1ES3_PlS7_lN6hipcub16HIPCUB_304000_NS6detail34convert_binary_result_type_wrapperINS9_3SumENS9_22TransformInputIteratorIb7NonZeroIsEPslEElEEEE10hipError_tPvRmT1_T2_T3_mT4_P12ihipStream_tbEUlT_E0_NS1_11comp_targetILNS1_3genE9ELNS1_11target_archE1100ELNS1_3gpuE3ELNS1_3repE0EEENS1_30default_config_static_selectorELNS0_4arch9wavefront6targetE1EEEvSM_: ; @_ZN7rocprim17ROCPRIM_400000_NS6detail17trampoline_kernelINS0_14default_configENS1_22reduce_config_selectorIlEEZNS1_11reduce_implILb1ES3_PlS7_lN6hipcub16HIPCUB_304000_NS6detail34convert_binary_result_type_wrapperINS9_3SumENS9_22TransformInputIteratorIb7NonZeroIsEPslEElEEEE10hipError_tPvRmT1_T2_T3_mT4_P12ihipStream_tbEUlT_E0_NS1_11comp_targetILNS1_3genE9ELNS1_11target_archE1100ELNS1_3gpuE3ELNS1_3repE0EEENS1_30default_config_static_selectorELNS0_4arch9wavefront6targetE1EEEvSM_
; %bb.0:
	.section	.rodata,"a",@progbits
	.p2align	6, 0x0
	.amdhsa_kernel _ZN7rocprim17ROCPRIM_400000_NS6detail17trampoline_kernelINS0_14default_configENS1_22reduce_config_selectorIlEEZNS1_11reduce_implILb1ES3_PlS7_lN6hipcub16HIPCUB_304000_NS6detail34convert_binary_result_type_wrapperINS9_3SumENS9_22TransformInputIteratorIb7NonZeroIsEPslEElEEEE10hipError_tPvRmT1_T2_T3_mT4_P12ihipStream_tbEUlT_E0_NS1_11comp_targetILNS1_3genE9ELNS1_11target_archE1100ELNS1_3gpuE3ELNS1_3repE0EEENS1_30default_config_static_selectorELNS0_4arch9wavefront6targetE1EEEvSM_
		.amdhsa_group_segment_fixed_size 0
		.amdhsa_private_segment_fixed_size 0
		.amdhsa_kernarg_size 64
		.amdhsa_user_sgpr_count 2
		.amdhsa_user_sgpr_dispatch_ptr 0
		.amdhsa_user_sgpr_queue_ptr 0
		.amdhsa_user_sgpr_kernarg_segment_ptr 1
		.amdhsa_user_sgpr_dispatch_id 0
		.amdhsa_user_sgpr_kernarg_preload_length 0
		.amdhsa_user_sgpr_kernarg_preload_offset 0
		.amdhsa_user_sgpr_private_segment_size 0
		.amdhsa_uses_dynamic_stack 0
		.amdhsa_enable_private_segment 0
		.amdhsa_system_sgpr_workgroup_id_x 1
		.amdhsa_system_sgpr_workgroup_id_y 0
		.amdhsa_system_sgpr_workgroup_id_z 0
		.amdhsa_system_sgpr_workgroup_info 0
		.amdhsa_system_vgpr_workitem_id 0
		.amdhsa_next_free_vgpr 1
		.amdhsa_next_free_sgpr 0
		.amdhsa_accum_offset 4
		.amdhsa_reserve_vcc 0
		.amdhsa_float_round_mode_32 0
		.amdhsa_float_round_mode_16_64 0
		.amdhsa_float_denorm_mode_32 3
		.amdhsa_float_denorm_mode_16_64 3
		.amdhsa_dx10_clamp 1
		.amdhsa_ieee_mode 1
		.amdhsa_fp16_overflow 0
		.amdhsa_tg_split 0
		.amdhsa_exception_fp_ieee_invalid_op 0
		.amdhsa_exception_fp_denorm_src 0
		.amdhsa_exception_fp_ieee_div_zero 0
		.amdhsa_exception_fp_ieee_overflow 0
		.amdhsa_exception_fp_ieee_underflow 0
		.amdhsa_exception_fp_ieee_inexact 0
		.amdhsa_exception_int_div_zero 0
	.end_amdhsa_kernel
	.section	.text._ZN7rocprim17ROCPRIM_400000_NS6detail17trampoline_kernelINS0_14default_configENS1_22reduce_config_selectorIlEEZNS1_11reduce_implILb1ES3_PlS7_lN6hipcub16HIPCUB_304000_NS6detail34convert_binary_result_type_wrapperINS9_3SumENS9_22TransformInputIteratorIb7NonZeroIsEPslEElEEEE10hipError_tPvRmT1_T2_T3_mT4_P12ihipStream_tbEUlT_E0_NS1_11comp_targetILNS1_3genE9ELNS1_11target_archE1100ELNS1_3gpuE3ELNS1_3repE0EEENS1_30default_config_static_selectorELNS0_4arch9wavefront6targetE1EEEvSM_,"axG",@progbits,_ZN7rocprim17ROCPRIM_400000_NS6detail17trampoline_kernelINS0_14default_configENS1_22reduce_config_selectorIlEEZNS1_11reduce_implILb1ES3_PlS7_lN6hipcub16HIPCUB_304000_NS6detail34convert_binary_result_type_wrapperINS9_3SumENS9_22TransformInputIteratorIb7NonZeroIsEPslEElEEEE10hipError_tPvRmT1_T2_T3_mT4_P12ihipStream_tbEUlT_E0_NS1_11comp_targetILNS1_3genE9ELNS1_11target_archE1100ELNS1_3gpuE3ELNS1_3repE0EEENS1_30default_config_static_selectorELNS0_4arch9wavefront6targetE1EEEvSM_,comdat
.Lfunc_end88:
	.size	_ZN7rocprim17ROCPRIM_400000_NS6detail17trampoline_kernelINS0_14default_configENS1_22reduce_config_selectorIlEEZNS1_11reduce_implILb1ES3_PlS7_lN6hipcub16HIPCUB_304000_NS6detail34convert_binary_result_type_wrapperINS9_3SumENS9_22TransformInputIteratorIb7NonZeroIsEPslEElEEEE10hipError_tPvRmT1_T2_T3_mT4_P12ihipStream_tbEUlT_E0_NS1_11comp_targetILNS1_3genE9ELNS1_11target_archE1100ELNS1_3gpuE3ELNS1_3repE0EEENS1_30default_config_static_selectorELNS0_4arch9wavefront6targetE1EEEvSM_, .Lfunc_end88-_ZN7rocprim17ROCPRIM_400000_NS6detail17trampoline_kernelINS0_14default_configENS1_22reduce_config_selectorIlEEZNS1_11reduce_implILb1ES3_PlS7_lN6hipcub16HIPCUB_304000_NS6detail34convert_binary_result_type_wrapperINS9_3SumENS9_22TransformInputIteratorIb7NonZeroIsEPslEElEEEE10hipError_tPvRmT1_T2_T3_mT4_P12ihipStream_tbEUlT_E0_NS1_11comp_targetILNS1_3genE9ELNS1_11target_archE1100ELNS1_3gpuE3ELNS1_3repE0EEENS1_30default_config_static_selectorELNS0_4arch9wavefront6targetE1EEEvSM_
                                        ; -- End function
	.set _ZN7rocprim17ROCPRIM_400000_NS6detail17trampoline_kernelINS0_14default_configENS1_22reduce_config_selectorIlEEZNS1_11reduce_implILb1ES3_PlS7_lN6hipcub16HIPCUB_304000_NS6detail34convert_binary_result_type_wrapperINS9_3SumENS9_22TransformInputIteratorIb7NonZeroIsEPslEElEEEE10hipError_tPvRmT1_T2_T3_mT4_P12ihipStream_tbEUlT_E0_NS1_11comp_targetILNS1_3genE9ELNS1_11target_archE1100ELNS1_3gpuE3ELNS1_3repE0EEENS1_30default_config_static_selectorELNS0_4arch9wavefront6targetE1EEEvSM_.num_vgpr, 0
	.set _ZN7rocprim17ROCPRIM_400000_NS6detail17trampoline_kernelINS0_14default_configENS1_22reduce_config_selectorIlEEZNS1_11reduce_implILb1ES3_PlS7_lN6hipcub16HIPCUB_304000_NS6detail34convert_binary_result_type_wrapperINS9_3SumENS9_22TransformInputIteratorIb7NonZeroIsEPslEElEEEE10hipError_tPvRmT1_T2_T3_mT4_P12ihipStream_tbEUlT_E0_NS1_11comp_targetILNS1_3genE9ELNS1_11target_archE1100ELNS1_3gpuE3ELNS1_3repE0EEENS1_30default_config_static_selectorELNS0_4arch9wavefront6targetE1EEEvSM_.num_agpr, 0
	.set _ZN7rocprim17ROCPRIM_400000_NS6detail17trampoline_kernelINS0_14default_configENS1_22reduce_config_selectorIlEEZNS1_11reduce_implILb1ES3_PlS7_lN6hipcub16HIPCUB_304000_NS6detail34convert_binary_result_type_wrapperINS9_3SumENS9_22TransformInputIteratorIb7NonZeroIsEPslEElEEEE10hipError_tPvRmT1_T2_T3_mT4_P12ihipStream_tbEUlT_E0_NS1_11comp_targetILNS1_3genE9ELNS1_11target_archE1100ELNS1_3gpuE3ELNS1_3repE0EEENS1_30default_config_static_selectorELNS0_4arch9wavefront6targetE1EEEvSM_.numbered_sgpr, 0
	.set _ZN7rocprim17ROCPRIM_400000_NS6detail17trampoline_kernelINS0_14default_configENS1_22reduce_config_selectorIlEEZNS1_11reduce_implILb1ES3_PlS7_lN6hipcub16HIPCUB_304000_NS6detail34convert_binary_result_type_wrapperINS9_3SumENS9_22TransformInputIteratorIb7NonZeroIsEPslEElEEEE10hipError_tPvRmT1_T2_T3_mT4_P12ihipStream_tbEUlT_E0_NS1_11comp_targetILNS1_3genE9ELNS1_11target_archE1100ELNS1_3gpuE3ELNS1_3repE0EEENS1_30default_config_static_selectorELNS0_4arch9wavefront6targetE1EEEvSM_.num_named_barrier, 0
	.set _ZN7rocprim17ROCPRIM_400000_NS6detail17trampoline_kernelINS0_14default_configENS1_22reduce_config_selectorIlEEZNS1_11reduce_implILb1ES3_PlS7_lN6hipcub16HIPCUB_304000_NS6detail34convert_binary_result_type_wrapperINS9_3SumENS9_22TransformInputIteratorIb7NonZeroIsEPslEElEEEE10hipError_tPvRmT1_T2_T3_mT4_P12ihipStream_tbEUlT_E0_NS1_11comp_targetILNS1_3genE9ELNS1_11target_archE1100ELNS1_3gpuE3ELNS1_3repE0EEENS1_30default_config_static_selectorELNS0_4arch9wavefront6targetE1EEEvSM_.private_seg_size, 0
	.set _ZN7rocprim17ROCPRIM_400000_NS6detail17trampoline_kernelINS0_14default_configENS1_22reduce_config_selectorIlEEZNS1_11reduce_implILb1ES3_PlS7_lN6hipcub16HIPCUB_304000_NS6detail34convert_binary_result_type_wrapperINS9_3SumENS9_22TransformInputIteratorIb7NonZeroIsEPslEElEEEE10hipError_tPvRmT1_T2_T3_mT4_P12ihipStream_tbEUlT_E0_NS1_11comp_targetILNS1_3genE9ELNS1_11target_archE1100ELNS1_3gpuE3ELNS1_3repE0EEENS1_30default_config_static_selectorELNS0_4arch9wavefront6targetE1EEEvSM_.uses_vcc, 0
	.set _ZN7rocprim17ROCPRIM_400000_NS6detail17trampoline_kernelINS0_14default_configENS1_22reduce_config_selectorIlEEZNS1_11reduce_implILb1ES3_PlS7_lN6hipcub16HIPCUB_304000_NS6detail34convert_binary_result_type_wrapperINS9_3SumENS9_22TransformInputIteratorIb7NonZeroIsEPslEElEEEE10hipError_tPvRmT1_T2_T3_mT4_P12ihipStream_tbEUlT_E0_NS1_11comp_targetILNS1_3genE9ELNS1_11target_archE1100ELNS1_3gpuE3ELNS1_3repE0EEENS1_30default_config_static_selectorELNS0_4arch9wavefront6targetE1EEEvSM_.uses_flat_scratch, 0
	.set _ZN7rocprim17ROCPRIM_400000_NS6detail17trampoline_kernelINS0_14default_configENS1_22reduce_config_selectorIlEEZNS1_11reduce_implILb1ES3_PlS7_lN6hipcub16HIPCUB_304000_NS6detail34convert_binary_result_type_wrapperINS9_3SumENS9_22TransformInputIteratorIb7NonZeroIsEPslEElEEEE10hipError_tPvRmT1_T2_T3_mT4_P12ihipStream_tbEUlT_E0_NS1_11comp_targetILNS1_3genE9ELNS1_11target_archE1100ELNS1_3gpuE3ELNS1_3repE0EEENS1_30default_config_static_selectorELNS0_4arch9wavefront6targetE1EEEvSM_.has_dyn_sized_stack, 0
	.set _ZN7rocprim17ROCPRIM_400000_NS6detail17trampoline_kernelINS0_14default_configENS1_22reduce_config_selectorIlEEZNS1_11reduce_implILb1ES3_PlS7_lN6hipcub16HIPCUB_304000_NS6detail34convert_binary_result_type_wrapperINS9_3SumENS9_22TransformInputIteratorIb7NonZeroIsEPslEElEEEE10hipError_tPvRmT1_T2_T3_mT4_P12ihipStream_tbEUlT_E0_NS1_11comp_targetILNS1_3genE9ELNS1_11target_archE1100ELNS1_3gpuE3ELNS1_3repE0EEENS1_30default_config_static_selectorELNS0_4arch9wavefront6targetE1EEEvSM_.has_recursion, 0
	.set _ZN7rocprim17ROCPRIM_400000_NS6detail17trampoline_kernelINS0_14default_configENS1_22reduce_config_selectorIlEEZNS1_11reduce_implILb1ES3_PlS7_lN6hipcub16HIPCUB_304000_NS6detail34convert_binary_result_type_wrapperINS9_3SumENS9_22TransformInputIteratorIb7NonZeroIsEPslEElEEEE10hipError_tPvRmT1_T2_T3_mT4_P12ihipStream_tbEUlT_E0_NS1_11comp_targetILNS1_3genE9ELNS1_11target_archE1100ELNS1_3gpuE3ELNS1_3repE0EEENS1_30default_config_static_selectorELNS0_4arch9wavefront6targetE1EEEvSM_.has_indirect_call, 0
	.section	.AMDGPU.csdata,"",@progbits
; Kernel info:
; codeLenInByte = 0
; TotalNumSgprs: 6
; NumVgprs: 0
; NumAgprs: 0
; TotalNumVgprs: 0
; ScratchSize: 0
; MemoryBound: 0
; FloatMode: 240
; IeeeMode: 1
; LDSByteSize: 0 bytes/workgroup (compile time only)
; SGPRBlocks: 0
; VGPRBlocks: 0
; NumSGPRsForWavesPerEU: 6
; NumVGPRsForWavesPerEU: 1
; AccumOffset: 4
; Occupancy: 8
; WaveLimiterHint : 0
; COMPUTE_PGM_RSRC2:SCRATCH_EN: 0
; COMPUTE_PGM_RSRC2:USER_SGPR: 2
; COMPUTE_PGM_RSRC2:TRAP_HANDLER: 0
; COMPUTE_PGM_RSRC2:TGID_X_EN: 1
; COMPUTE_PGM_RSRC2:TGID_Y_EN: 0
; COMPUTE_PGM_RSRC2:TGID_Z_EN: 0
; COMPUTE_PGM_RSRC2:TIDIG_COMP_CNT: 0
; COMPUTE_PGM_RSRC3_GFX90A:ACCUM_OFFSET: 0
; COMPUTE_PGM_RSRC3_GFX90A:TG_SPLIT: 0
	.section	.text._ZN7rocprim17ROCPRIM_400000_NS6detail17trampoline_kernelINS0_14default_configENS1_22reduce_config_selectorIlEEZNS1_11reduce_implILb1ES3_PlS7_lN6hipcub16HIPCUB_304000_NS6detail34convert_binary_result_type_wrapperINS9_3SumENS9_22TransformInputIteratorIb7NonZeroIsEPslEElEEEE10hipError_tPvRmT1_T2_T3_mT4_P12ihipStream_tbEUlT_E0_NS1_11comp_targetILNS1_3genE8ELNS1_11target_archE1030ELNS1_3gpuE2ELNS1_3repE0EEENS1_30default_config_static_selectorELNS0_4arch9wavefront6targetE1EEEvSM_,"axG",@progbits,_ZN7rocprim17ROCPRIM_400000_NS6detail17trampoline_kernelINS0_14default_configENS1_22reduce_config_selectorIlEEZNS1_11reduce_implILb1ES3_PlS7_lN6hipcub16HIPCUB_304000_NS6detail34convert_binary_result_type_wrapperINS9_3SumENS9_22TransformInputIteratorIb7NonZeroIsEPslEElEEEE10hipError_tPvRmT1_T2_T3_mT4_P12ihipStream_tbEUlT_E0_NS1_11comp_targetILNS1_3genE8ELNS1_11target_archE1030ELNS1_3gpuE2ELNS1_3repE0EEENS1_30default_config_static_selectorELNS0_4arch9wavefront6targetE1EEEvSM_,comdat
	.protected	_ZN7rocprim17ROCPRIM_400000_NS6detail17trampoline_kernelINS0_14default_configENS1_22reduce_config_selectorIlEEZNS1_11reduce_implILb1ES3_PlS7_lN6hipcub16HIPCUB_304000_NS6detail34convert_binary_result_type_wrapperINS9_3SumENS9_22TransformInputIteratorIb7NonZeroIsEPslEElEEEE10hipError_tPvRmT1_T2_T3_mT4_P12ihipStream_tbEUlT_E0_NS1_11comp_targetILNS1_3genE8ELNS1_11target_archE1030ELNS1_3gpuE2ELNS1_3repE0EEENS1_30default_config_static_selectorELNS0_4arch9wavefront6targetE1EEEvSM_ ; -- Begin function _ZN7rocprim17ROCPRIM_400000_NS6detail17trampoline_kernelINS0_14default_configENS1_22reduce_config_selectorIlEEZNS1_11reduce_implILb1ES3_PlS7_lN6hipcub16HIPCUB_304000_NS6detail34convert_binary_result_type_wrapperINS9_3SumENS9_22TransformInputIteratorIb7NonZeroIsEPslEElEEEE10hipError_tPvRmT1_T2_T3_mT4_P12ihipStream_tbEUlT_E0_NS1_11comp_targetILNS1_3genE8ELNS1_11target_archE1030ELNS1_3gpuE2ELNS1_3repE0EEENS1_30default_config_static_selectorELNS0_4arch9wavefront6targetE1EEEvSM_
	.globl	_ZN7rocprim17ROCPRIM_400000_NS6detail17trampoline_kernelINS0_14default_configENS1_22reduce_config_selectorIlEEZNS1_11reduce_implILb1ES3_PlS7_lN6hipcub16HIPCUB_304000_NS6detail34convert_binary_result_type_wrapperINS9_3SumENS9_22TransformInputIteratorIb7NonZeroIsEPslEElEEEE10hipError_tPvRmT1_T2_T3_mT4_P12ihipStream_tbEUlT_E0_NS1_11comp_targetILNS1_3genE8ELNS1_11target_archE1030ELNS1_3gpuE2ELNS1_3repE0EEENS1_30default_config_static_selectorELNS0_4arch9wavefront6targetE1EEEvSM_
	.p2align	8
	.type	_ZN7rocprim17ROCPRIM_400000_NS6detail17trampoline_kernelINS0_14default_configENS1_22reduce_config_selectorIlEEZNS1_11reduce_implILb1ES3_PlS7_lN6hipcub16HIPCUB_304000_NS6detail34convert_binary_result_type_wrapperINS9_3SumENS9_22TransformInputIteratorIb7NonZeroIsEPslEElEEEE10hipError_tPvRmT1_T2_T3_mT4_P12ihipStream_tbEUlT_E0_NS1_11comp_targetILNS1_3genE8ELNS1_11target_archE1030ELNS1_3gpuE2ELNS1_3repE0EEENS1_30default_config_static_selectorELNS0_4arch9wavefront6targetE1EEEvSM_,@function
_ZN7rocprim17ROCPRIM_400000_NS6detail17trampoline_kernelINS0_14default_configENS1_22reduce_config_selectorIlEEZNS1_11reduce_implILb1ES3_PlS7_lN6hipcub16HIPCUB_304000_NS6detail34convert_binary_result_type_wrapperINS9_3SumENS9_22TransformInputIteratorIb7NonZeroIsEPslEElEEEE10hipError_tPvRmT1_T2_T3_mT4_P12ihipStream_tbEUlT_E0_NS1_11comp_targetILNS1_3genE8ELNS1_11target_archE1030ELNS1_3gpuE2ELNS1_3repE0EEENS1_30default_config_static_selectorELNS0_4arch9wavefront6targetE1EEEvSM_: ; @_ZN7rocprim17ROCPRIM_400000_NS6detail17trampoline_kernelINS0_14default_configENS1_22reduce_config_selectorIlEEZNS1_11reduce_implILb1ES3_PlS7_lN6hipcub16HIPCUB_304000_NS6detail34convert_binary_result_type_wrapperINS9_3SumENS9_22TransformInputIteratorIb7NonZeroIsEPslEElEEEE10hipError_tPvRmT1_T2_T3_mT4_P12ihipStream_tbEUlT_E0_NS1_11comp_targetILNS1_3genE8ELNS1_11target_archE1030ELNS1_3gpuE2ELNS1_3repE0EEENS1_30default_config_static_selectorELNS0_4arch9wavefront6targetE1EEEvSM_
; %bb.0:
	.section	.rodata,"a",@progbits
	.p2align	6, 0x0
	.amdhsa_kernel _ZN7rocprim17ROCPRIM_400000_NS6detail17trampoline_kernelINS0_14default_configENS1_22reduce_config_selectorIlEEZNS1_11reduce_implILb1ES3_PlS7_lN6hipcub16HIPCUB_304000_NS6detail34convert_binary_result_type_wrapperINS9_3SumENS9_22TransformInputIteratorIb7NonZeroIsEPslEElEEEE10hipError_tPvRmT1_T2_T3_mT4_P12ihipStream_tbEUlT_E0_NS1_11comp_targetILNS1_3genE8ELNS1_11target_archE1030ELNS1_3gpuE2ELNS1_3repE0EEENS1_30default_config_static_selectorELNS0_4arch9wavefront6targetE1EEEvSM_
		.amdhsa_group_segment_fixed_size 0
		.amdhsa_private_segment_fixed_size 0
		.amdhsa_kernarg_size 64
		.amdhsa_user_sgpr_count 2
		.amdhsa_user_sgpr_dispatch_ptr 0
		.amdhsa_user_sgpr_queue_ptr 0
		.amdhsa_user_sgpr_kernarg_segment_ptr 1
		.amdhsa_user_sgpr_dispatch_id 0
		.amdhsa_user_sgpr_kernarg_preload_length 0
		.amdhsa_user_sgpr_kernarg_preload_offset 0
		.amdhsa_user_sgpr_private_segment_size 0
		.amdhsa_uses_dynamic_stack 0
		.amdhsa_enable_private_segment 0
		.amdhsa_system_sgpr_workgroup_id_x 1
		.amdhsa_system_sgpr_workgroup_id_y 0
		.amdhsa_system_sgpr_workgroup_id_z 0
		.amdhsa_system_sgpr_workgroup_info 0
		.amdhsa_system_vgpr_workitem_id 0
		.amdhsa_next_free_vgpr 1
		.amdhsa_next_free_sgpr 0
		.amdhsa_accum_offset 4
		.amdhsa_reserve_vcc 0
		.amdhsa_float_round_mode_32 0
		.amdhsa_float_round_mode_16_64 0
		.amdhsa_float_denorm_mode_32 3
		.amdhsa_float_denorm_mode_16_64 3
		.amdhsa_dx10_clamp 1
		.amdhsa_ieee_mode 1
		.amdhsa_fp16_overflow 0
		.amdhsa_tg_split 0
		.amdhsa_exception_fp_ieee_invalid_op 0
		.amdhsa_exception_fp_denorm_src 0
		.amdhsa_exception_fp_ieee_div_zero 0
		.amdhsa_exception_fp_ieee_overflow 0
		.amdhsa_exception_fp_ieee_underflow 0
		.amdhsa_exception_fp_ieee_inexact 0
		.amdhsa_exception_int_div_zero 0
	.end_amdhsa_kernel
	.section	.text._ZN7rocprim17ROCPRIM_400000_NS6detail17trampoline_kernelINS0_14default_configENS1_22reduce_config_selectorIlEEZNS1_11reduce_implILb1ES3_PlS7_lN6hipcub16HIPCUB_304000_NS6detail34convert_binary_result_type_wrapperINS9_3SumENS9_22TransformInputIteratorIb7NonZeroIsEPslEElEEEE10hipError_tPvRmT1_T2_T3_mT4_P12ihipStream_tbEUlT_E0_NS1_11comp_targetILNS1_3genE8ELNS1_11target_archE1030ELNS1_3gpuE2ELNS1_3repE0EEENS1_30default_config_static_selectorELNS0_4arch9wavefront6targetE1EEEvSM_,"axG",@progbits,_ZN7rocprim17ROCPRIM_400000_NS6detail17trampoline_kernelINS0_14default_configENS1_22reduce_config_selectorIlEEZNS1_11reduce_implILb1ES3_PlS7_lN6hipcub16HIPCUB_304000_NS6detail34convert_binary_result_type_wrapperINS9_3SumENS9_22TransformInputIteratorIb7NonZeroIsEPslEElEEEE10hipError_tPvRmT1_T2_T3_mT4_P12ihipStream_tbEUlT_E0_NS1_11comp_targetILNS1_3genE8ELNS1_11target_archE1030ELNS1_3gpuE2ELNS1_3repE0EEENS1_30default_config_static_selectorELNS0_4arch9wavefront6targetE1EEEvSM_,comdat
.Lfunc_end89:
	.size	_ZN7rocprim17ROCPRIM_400000_NS6detail17trampoline_kernelINS0_14default_configENS1_22reduce_config_selectorIlEEZNS1_11reduce_implILb1ES3_PlS7_lN6hipcub16HIPCUB_304000_NS6detail34convert_binary_result_type_wrapperINS9_3SumENS9_22TransformInputIteratorIb7NonZeroIsEPslEElEEEE10hipError_tPvRmT1_T2_T3_mT4_P12ihipStream_tbEUlT_E0_NS1_11comp_targetILNS1_3genE8ELNS1_11target_archE1030ELNS1_3gpuE2ELNS1_3repE0EEENS1_30default_config_static_selectorELNS0_4arch9wavefront6targetE1EEEvSM_, .Lfunc_end89-_ZN7rocprim17ROCPRIM_400000_NS6detail17trampoline_kernelINS0_14default_configENS1_22reduce_config_selectorIlEEZNS1_11reduce_implILb1ES3_PlS7_lN6hipcub16HIPCUB_304000_NS6detail34convert_binary_result_type_wrapperINS9_3SumENS9_22TransformInputIteratorIb7NonZeroIsEPslEElEEEE10hipError_tPvRmT1_T2_T3_mT4_P12ihipStream_tbEUlT_E0_NS1_11comp_targetILNS1_3genE8ELNS1_11target_archE1030ELNS1_3gpuE2ELNS1_3repE0EEENS1_30default_config_static_selectorELNS0_4arch9wavefront6targetE1EEEvSM_
                                        ; -- End function
	.set _ZN7rocprim17ROCPRIM_400000_NS6detail17trampoline_kernelINS0_14default_configENS1_22reduce_config_selectorIlEEZNS1_11reduce_implILb1ES3_PlS7_lN6hipcub16HIPCUB_304000_NS6detail34convert_binary_result_type_wrapperINS9_3SumENS9_22TransformInputIteratorIb7NonZeroIsEPslEElEEEE10hipError_tPvRmT1_T2_T3_mT4_P12ihipStream_tbEUlT_E0_NS1_11comp_targetILNS1_3genE8ELNS1_11target_archE1030ELNS1_3gpuE2ELNS1_3repE0EEENS1_30default_config_static_selectorELNS0_4arch9wavefront6targetE1EEEvSM_.num_vgpr, 0
	.set _ZN7rocprim17ROCPRIM_400000_NS6detail17trampoline_kernelINS0_14default_configENS1_22reduce_config_selectorIlEEZNS1_11reduce_implILb1ES3_PlS7_lN6hipcub16HIPCUB_304000_NS6detail34convert_binary_result_type_wrapperINS9_3SumENS9_22TransformInputIteratorIb7NonZeroIsEPslEElEEEE10hipError_tPvRmT1_T2_T3_mT4_P12ihipStream_tbEUlT_E0_NS1_11comp_targetILNS1_3genE8ELNS1_11target_archE1030ELNS1_3gpuE2ELNS1_3repE0EEENS1_30default_config_static_selectorELNS0_4arch9wavefront6targetE1EEEvSM_.num_agpr, 0
	.set _ZN7rocprim17ROCPRIM_400000_NS6detail17trampoline_kernelINS0_14default_configENS1_22reduce_config_selectorIlEEZNS1_11reduce_implILb1ES3_PlS7_lN6hipcub16HIPCUB_304000_NS6detail34convert_binary_result_type_wrapperINS9_3SumENS9_22TransformInputIteratorIb7NonZeroIsEPslEElEEEE10hipError_tPvRmT1_T2_T3_mT4_P12ihipStream_tbEUlT_E0_NS1_11comp_targetILNS1_3genE8ELNS1_11target_archE1030ELNS1_3gpuE2ELNS1_3repE0EEENS1_30default_config_static_selectorELNS0_4arch9wavefront6targetE1EEEvSM_.numbered_sgpr, 0
	.set _ZN7rocprim17ROCPRIM_400000_NS6detail17trampoline_kernelINS0_14default_configENS1_22reduce_config_selectorIlEEZNS1_11reduce_implILb1ES3_PlS7_lN6hipcub16HIPCUB_304000_NS6detail34convert_binary_result_type_wrapperINS9_3SumENS9_22TransformInputIteratorIb7NonZeroIsEPslEElEEEE10hipError_tPvRmT1_T2_T3_mT4_P12ihipStream_tbEUlT_E0_NS1_11comp_targetILNS1_3genE8ELNS1_11target_archE1030ELNS1_3gpuE2ELNS1_3repE0EEENS1_30default_config_static_selectorELNS0_4arch9wavefront6targetE1EEEvSM_.num_named_barrier, 0
	.set _ZN7rocprim17ROCPRIM_400000_NS6detail17trampoline_kernelINS0_14default_configENS1_22reduce_config_selectorIlEEZNS1_11reduce_implILb1ES3_PlS7_lN6hipcub16HIPCUB_304000_NS6detail34convert_binary_result_type_wrapperINS9_3SumENS9_22TransformInputIteratorIb7NonZeroIsEPslEElEEEE10hipError_tPvRmT1_T2_T3_mT4_P12ihipStream_tbEUlT_E0_NS1_11comp_targetILNS1_3genE8ELNS1_11target_archE1030ELNS1_3gpuE2ELNS1_3repE0EEENS1_30default_config_static_selectorELNS0_4arch9wavefront6targetE1EEEvSM_.private_seg_size, 0
	.set _ZN7rocprim17ROCPRIM_400000_NS6detail17trampoline_kernelINS0_14default_configENS1_22reduce_config_selectorIlEEZNS1_11reduce_implILb1ES3_PlS7_lN6hipcub16HIPCUB_304000_NS6detail34convert_binary_result_type_wrapperINS9_3SumENS9_22TransformInputIteratorIb7NonZeroIsEPslEElEEEE10hipError_tPvRmT1_T2_T3_mT4_P12ihipStream_tbEUlT_E0_NS1_11comp_targetILNS1_3genE8ELNS1_11target_archE1030ELNS1_3gpuE2ELNS1_3repE0EEENS1_30default_config_static_selectorELNS0_4arch9wavefront6targetE1EEEvSM_.uses_vcc, 0
	.set _ZN7rocprim17ROCPRIM_400000_NS6detail17trampoline_kernelINS0_14default_configENS1_22reduce_config_selectorIlEEZNS1_11reduce_implILb1ES3_PlS7_lN6hipcub16HIPCUB_304000_NS6detail34convert_binary_result_type_wrapperINS9_3SumENS9_22TransformInputIteratorIb7NonZeroIsEPslEElEEEE10hipError_tPvRmT1_T2_T3_mT4_P12ihipStream_tbEUlT_E0_NS1_11comp_targetILNS1_3genE8ELNS1_11target_archE1030ELNS1_3gpuE2ELNS1_3repE0EEENS1_30default_config_static_selectorELNS0_4arch9wavefront6targetE1EEEvSM_.uses_flat_scratch, 0
	.set _ZN7rocprim17ROCPRIM_400000_NS6detail17trampoline_kernelINS0_14default_configENS1_22reduce_config_selectorIlEEZNS1_11reduce_implILb1ES3_PlS7_lN6hipcub16HIPCUB_304000_NS6detail34convert_binary_result_type_wrapperINS9_3SumENS9_22TransformInputIteratorIb7NonZeroIsEPslEElEEEE10hipError_tPvRmT1_T2_T3_mT4_P12ihipStream_tbEUlT_E0_NS1_11comp_targetILNS1_3genE8ELNS1_11target_archE1030ELNS1_3gpuE2ELNS1_3repE0EEENS1_30default_config_static_selectorELNS0_4arch9wavefront6targetE1EEEvSM_.has_dyn_sized_stack, 0
	.set _ZN7rocprim17ROCPRIM_400000_NS6detail17trampoline_kernelINS0_14default_configENS1_22reduce_config_selectorIlEEZNS1_11reduce_implILb1ES3_PlS7_lN6hipcub16HIPCUB_304000_NS6detail34convert_binary_result_type_wrapperINS9_3SumENS9_22TransformInputIteratorIb7NonZeroIsEPslEElEEEE10hipError_tPvRmT1_T2_T3_mT4_P12ihipStream_tbEUlT_E0_NS1_11comp_targetILNS1_3genE8ELNS1_11target_archE1030ELNS1_3gpuE2ELNS1_3repE0EEENS1_30default_config_static_selectorELNS0_4arch9wavefront6targetE1EEEvSM_.has_recursion, 0
	.set _ZN7rocprim17ROCPRIM_400000_NS6detail17trampoline_kernelINS0_14default_configENS1_22reduce_config_selectorIlEEZNS1_11reduce_implILb1ES3_PlS7_lN6hipcub16HIPCUB_304000_NS6detail34convert_binary_result_type_wrapperINS9_3SumENS9_22TransformInputIteratorIb7NonZeroIsEPslEElEEEE10hipError_tPvRmT1_T2_T3_mT4_P12ihipStream_tbEUlT_E0_NS1_11comp_targetILNS1_3genE8ELNS1_11target_archE1030ELNS1_3gpuE2ELNS1_3repE0EEENS1_30default_config_static_selectorELNS0_4arch9wavefront6targetE1EEEvSM_.has_indirect_call, 0
	.section	.AMDGPU.csdata,"",@progbits
; Kernel info:
; codeLenInByte = 0
; TotalNumSgprs: 6
; NumVgprs: 0
; NumAgprs: 0
; TotalNumVgprs: 0
; ScratchSize: 0
; MemoryBound: 0
; FloatMode: 240
; IeeeMode: 1
; LDSByteSize: 0 bytes/workgroup (compile time only)
; SGPRBlocks: 0
; VGPRBlocks: 0
; NumSGPRsForWavesPerEU: 6
; NumVGPRsForWavesPerEU: 1
; AccumOffset: 4
; Occupancy: 8
; WaveLimiterHint : 0
; COMPUTE_PGM_RSRC2:SCRATCH_EN: 0
; COMPUTE_PGM_RSRC2:USER_SGPR: 2
; COMPUTE_PGM_RSRC2:TRAP_HANDLER: 0
; COMPUTE_PGM_RSRC2:TGID_X_EN: 1
; COMPUTE_PGM_RSRC2:TGID_Y_EN: 0
; COMPUTE_PGM_RSRC2:TGID_Z_EN: 0
; COMPUTE_PGM_RSRC2:TIDIG_COMP_CNT: 0
; COMPUTE_PGM_RSRC3_GFX90A:ACCUM_OFFSET: 0
; COMPUTE_PGM_RSRC3_GFX90A:TG_SPLIT: 0
	.section	.text._ZN7rocprim17ROCPRIM_400000_NS6detail17trampoline_kernelINS0_14default_configENS1_22reduce_config_selectorIlEEZNS1_11reduce_implILb1ES3_PlS7_lN6hipcub16HIPCUB_304000_NS6detail34convert_binary_result_type_wrapperINS9_3SumENS9_22TransformInputIteratorIb7NonZeroIsEPslEElEEEE10hipError_tPvRmT1_T2_T3_mT4_P12ihipStream_tbEUlT_E1_NS1_11comp_targetILNS1_3genE0ELNS1_11target_archE4294967295ELNS1_3gpuE0ELNS1_3repE0EEENS1_30default_config_static_selectorELNS0_4arch9wavefront6targetE1EEEvSM_,"axG",@progbits,_ZN7rocprim17ROCPRIM_400000_NS6detail17trampoline_kernelINS0_14default_configENS1_22reduce_config_selectorIlEEZNS1_11reduce_implILb1ES3_PlS7_lN6hipcub16HIPCUB_304000_NS6detail34convert_binary_result_type_wrapperINS9_3SumENS9_22TransformInputIteratorIb7NonZeroIsEPslEElEEEE10hipError_tPvRmT1_T2_T3_mT4_P12ihipStream_tbEUlT_E1_NS1_11comp_targetILNS1_3genE0ELNS1_11target_archE4294967295ELNS1_3gpuE0ELNS1_3repE0EEENS1_30default_config_static_selectorELNS0_4arch9wavefront6targetE1EEEvSM_,comdat
	.protected	_ZN7rocprim17ROCPRIM_400000_NS6detail17trampoline_kernelINS0_14default_configENS1_22reduce_config_selectorIlEEZNS1_11reduce_implILb1ES3_PlS7_lN6hipcub16HIPCUB_304000_NS6detail34convert_binary_result_type_wrapperINS9_3SumENS9_22TransformInputIteratorIb7NonZeroIsEPslEElEEEE10hipError_tPvRmT1_T2_T3_mT4_P12ihipStream_tbEUlT_E1_NS1_11comp_targetILNS1_3genE0ELNS1_11target_archE4294967295ELNS1_3gpuE0ELNS1_3repE0EEENS1_30default_config_static_selectorELNS0_4arch9wavefront6targetE1EEEvSM_ ; -- Begin function _ZN7rocprim17ROCPRIM_400000_NS6detail17trampoline_kernelINS0_14default_configENS1_22reduce_config_selectorIlEEZNS1_11reduce_implILb1ES3_PlS7_lN6hipcub16HIPCUB_304000_NS6detail34convert_binary_result_type_wrapperINS9_3SumENS9_22TransformInputIteratorIb7NonZeroIsEPslEElEEEE10hipError_tPvRmT1_T2_T3_mT4_P12ihipStream_tbEUlT_E1_NS1_11comp_targetILNS1_3genE0ELNS1_11target_archE4294967295ELNS1_3gpuE0ELNS1_3repE0EEENS1_30default_config_static_selectorELNS0_4arch9wavefront6targetE1EEEvSM_
	.globl	_ZN7rocprim17ROCPRIM_400000_NS6detail17trampoline_kernelINS0_14default_configENS1_22reduce_config_selectorIlEEZNS1_11reduce_implILb1ES3_PlS7_lN6hipcub16HIPCUB_304000_NS6detail34convert_binary_result_type_wrapperINS9_3SumENS9_22TransformInputIteratorIb7NonZeroIsEPslEElEEEE10hipError_tPvRmT1_T2_T3_mT4_P12ihipStream_tbEUlT_E1_NS1_11comp_targetILNS1_3genE0ELNS1_11target_archE4294967295ELNS1_3gpuE0ELNS1_3repE0EEENS1_30default_config_static_selectorELNS0_4arch9wavefront6targetE1EEEvSM_
	.p2align	8
	.type	_ZN7rocprim17ROCPRIM_400000_NS6detail17trampoline_kernelINS0_14default_configENS1_22reduce_config_selectorIlEEZNS1_11reduce_implILb1ES3_PlS7_lN6hipcub16HIPCUB_304000_NS6detail34convert_binary_result_type_wrapperINS9_3SumENS9_22TransformInputIteratorIb7NonZeroIsEPslEElEEEE10hipError_tPvRmT1_T2_T3_mT4_P12ihipStream_tbEUlT_E1_NS1_11comp_targetILNS1_3genE0ELNS1_11target_archE4294967295ELNS1_3gpuE0ELNS1_3repE0EEENS1_30default_config_static_selectorELNS0_4arch9wavefront6targetE1EEEvSM_,@function
_ZN7rocprim17ROCPRIM_400000_NS6detail17trampoline_kernelINS0_14default_configENS1_22reduce_config_selectorIlEEZNS1_11reduce_implILb1ES3_PlS7_lN6hipcub16HIPCUB_304000_NS6detail34convert_binary_result_type_wrapperINS9_3SumENS9_22TransformInputIteratorIb7NonZeroIsEPslEElEEEE10hipError_tPvRmT1_T2_T3_mT4_P12ihipStream_tbEUlT_E1_NS1_11comp_targetILNS1_3genE0ELNS1_11target_archE4294967295ELNS1_3gpuE0ELNS1_3repE0EEENS1_30default_config_static_selectorELNS0_4arch9wavefront6targetE1EEEvSM_: ; @_ZN7rocprim17ROCPRIM_400000_NS6detail17trampoline_kernelINS0_14default_configENS1_22reduce_config_selectorIlEEZNS1_11reduce_implILb1ES3_PlS7_lN6hipcub16HIPCUB_304000_NS6detail34convert_binary_result_type_wrapperINS9_3SumENS9_22TransformInputIteratorIb7NonZeroIsEPslEElEEEE10hipError_tPvRmT1_T2_T3_mT4_P12ihipStream_tbEUlT_E1_NS1_11comp_targetILNS1_3genE0ELNS1_11target_archE4294967295ELNS1_3gpuE0ELNS1_3repE0EEENS1_30default_config_static_selectorELNS0_4arch9wavefront6targetE1EEEvSM_
; %bb.0:
	s_load_dword s33, s[0:1], 0x4
	s_load_dwordx8 s[36:43], s[0:1], 0x8
	s_waitcnt lgkmcnt(0)
	s_cmp_lt_i32 s33, 4
	s_cbranch_scc1 .LBB90_10
; %bb.1:
	s_cmp_gt_i32 s33, 7
	s_cbranch_scc0 .LBB90_11
; %bb.2:
	s_cmp_gt_i32 s33, 15
	s_cbranch_scc0 .LBB90_12
; %bb.3:
	s_mov_b64 s[30:31], 0
	s_cmp_eq_u32 s33, 16
	s_mov_b64 s[0:1], 0
                                        ; implicit-def: $vgpr2_vgpr3
                                        ; implicit-def: $vgpr4_vgpr5
	s_cbranch_scc0 .LBB90_13
; %bb.4:
	s_mov_b32 s3, 0
	s_lshl_b32 s0, s2, 12
	s_mov_b32 s1, s3
	s_lshr_b64 s[4:5], s[38:39], 12
	s_lshl_b64 s[6:7], s[0:1], 3
	s_add_u32 s34, s36, s6
	s_addc_u32 s35, s37, s7
	s_cmp_lg_u64 s[4:5], s[2:3]
	s_cbranch_scc0 .LBB90_21
; %bb.5:
	v_lshlrev_b32_e32 v2, 3, v0
	v_mov_b32_e32 v3, 0
	v_lshl_add_u64 v[4:5], s[34:35], 0, v[2:3]
	global_load_dwordx2 v[6:7], v2, s[34:35]
	global_load_dwordx2 v[8:9], v2, s[34:35] offset:2048
	v_add_co_u32_e32 v10, vcc, 0x1000, v4
	v_mov_b32_e32 v38, v3
	s_nop 0
	v_addc_co_u32_e32 v11, vcc, 0, v5, vcc
	v_add_co_u32_e32 v12, vcc, 0x2000, v4
	v_mov_b32_e32 v40, v3
	s_nop 0
	v_addc_co_u32_e32 v13, vcc, 0, v5, vcc
	global_load_dwordx2 v[14:15], v[10:11], off
	global_load_dwordx2 v[16:17], v[10:11], off offset:2048
	global_load_dwordx2 v[18:19], v[12:13], off
	global_load_dwordx2 v[20:21], v[12:13], off offset:2048
	v_add_co_u32_e32 v10, vcc, 0x3000, v4
	v_mov_b32_e32 v42, v3
	s_nop 0
	v_addc_co_u32_e32 v11, vcc, 0, v5, vcc
	v_add_co_u32_e32 v12, vcc, 0x4000, v4
	v_mov_b32_e32 v44, v3
	s_nop 0
	v_addc_co_u32_e32 v13, vcc, 0, v5, vcc
	global_load_dwordx2 v[22:23], v[10:11], off
	global_load_dwordx2 v[24:25], v[10:11], off offset:2048
	global_load_dwordx2 v[26:27], v[12:13], off
	global_load_dwordx2 v[28:29], v[12:13], off offset:2048
	v_add_co_u32_e32 v10, vcc, 0x5000, v4
	v_mbcnt_lo_u32_b32 v1, -1, 0
	s_nop 0
	v_addc_co_u32_e32 v11, vcc, 0, v5, vcc
	v_add_co_u32_e32 v12, vcc, 0x6000, v4
	v_mov_b32_e32 v46, v3
	s_nop 0
	v_addc_co_u32_e32 v13, vcc, 0, v5, vcc
	global_load_dwordx2 v[30:31], v[10:11], off
	global_load_dwordx2 v[32:33], v[10:11], off offset:2048
	global_load_dwordx2 v[34:35], v[12:13], off
	global_load_dwordx2 v[36:37], v[12:13], off offset:2048
	v_add_co_u32_e32 v4, vcc, 0x7000, v4
	v_mbcnt_hi_u32_b32 v1, -1, v1
	s_nop 0
	v_addc_co_u32_e32 v5, vcc, 0, v5, vcc
	global_load_dwordx2 v[10:11], v[4:5], off
	global_load_dwordx2 v[12:13], v[4:5], off offset:2048
	v_lshlrev_b32_e32 v4, 2, v1
	v_or_b32_e32 v5, 0xfc, v4
	v_cmp_eq_u32_e32 vcc, 0, v1
	s_waitcnt vmcnt(14)
	v_lshl_add_u64 v[6:7], v[8:9], 0, v[6:7]
	s_waitcnt vmcnt(13)
	v_lshl_add_u64 v[6:7], v[6:7], 0, v[14:15]
	;; [unrolled: 2-line block ×15, first 2 shown]
	s_nop 1
	v_mov_b32_dpp v2, v6 quad_perm:[1,0,3,2] row_mask:0xf bank_mask:0xf bound_ctrl:1
	v_mov_b32_dpp v39, v7 quad_perm:[1,0,3,2] row_mask:0xf bank_mask:0xf bound_ctrl:1
	v_lshl_add_u64 v[6:7], v[6:7], 0, v[2:3]
	v_lshl_add_u64 v[8:9], v[38:39], 0, v[6:7]
	s_nop 0
	v_mov_b32_dpp v2, v6 quad_perm:[2,3,0,1] row_mask:0xf bank_mask:0xf bound_ctrl:1
	v_mov_b32_dpp v41, v9 quad_perm:[2,3,0,1] row_mask:0xf bank_mask:0xf bound_ctrl:1
	v_lshl_add_u64 v[6:7], v[8:9], 0, v[2:3]
	v_lshl_add_u64 v[8:9], v[6:7], 0, v[40:41]
	s_nop 0
	v_mov_b32_dpp v2, v6 row_ror:4 row_mask:0xf bank_mask:0xf bound_ctrl:1
	v_mov_b32_dpp v43, v9 row_ror:4 row_mask:0xf bank_mask:0xf bound_ctrl:1
	v_lshl_add_u64 v[6:7], v[8:9], 0, v[2:3]
	v_lshl_add_u64 v[8:9], v[6:7], 0, v[42:43]
	s_nop 0
	v_mov_b32_dpp v2, v6 row_ror:8 row_mask:0xf bank_mask:0xf bound_ctrl:1
	v_mov_b32_dpp v45, v9 row_ror:8 row_mask:0xf bank_mask:0xf bound_ctrl:1
	v_lshl_add_u64 v[6:7], v[8:9], 0, v[2:3]
	v_lshl_add_u64 v[8:9], v[6:7], 0, v[44:45]
	s_nop 0
	v_mov_b32_dpp v2, v6 row_bcast:15 row_mask:0xf bank_mask:0xf bound_ctrl:1
	v_mov_b32_dpp v47, v9 row_bcast:15 row_mask:0xf bank_mask:0xf bound_ctrl:1
	v_lshl_add_u64 v[6:7], v[8:9], 0, v[2:3]
	v_lshl_add_u64 v[8:9], v[6:7], 0, v[46:47]
	s_nop 0
	v_mov_b32_dpp v2, v6 row_bcast:31 row_mask:0xf bank_mask:0xf bound_ctrl:1
	v_lshl_add_u64 v[2:3], v[8:9], 0, v[2:3]
	ds_bpermute_b32 v2, v5, v2
	s_nop 0
	v_add_u32_dpp v3, v9, v3 row_bcast:31 row_mask:0xf bank_mask:0xf bound_ctrl:1
	ds_bpermute_b32 v3, v5, v3
	s_and_saveexec_b64 s[4:5], vcc
	s_cbranch_execz .LBB90_7
; %bb.6:
	v_lshrrev_b32_e32 v5, 3, v0
	v_and_b32_e32 v5, 24, v5
	s_waitcnt lgkmcnt(0)
	ds_write_b64 v5, v[2:3]
.LBB90_7:
	s_or_b64 exec, exec, s[4:5]
	v_cmp_gt_u32_e32 vcc, 64, v0
	s_waitcnt lgkmcnt(0)
	s_barrier
	s_and_saveexec_b64 s[4:5], vcc
	s_cbranch_execz .LBB90_9
; %bb.8:
	v_and_b32_e32 v5, 3, v1
	v_lshlrev_b32_e32 v2, 3, v5
	ds_read_b64 v[2:3], v2
	v_cmp_ne_u32_e32 vcc, 3, v5
	v_mov_b32_e32 v8, 0
	v_mov_b32_e32 v7, v8
	v_addc_co_u32_e32 v1, vcc, 0, v1, vcc
	v_lshlrev_b32_e32 v1, 2, v1
	s_waitcnt lgkmcnt(0)
	ds_bpermute_b32 v6, v1, v2
	ds_bpermute_b32 v9, v1, v3
	v_or_b32_e32 v1, 8, v4
	s_waitcnt lgkmcnt(1)
	v_lshl_add_u64 v[2:3], v[2:3], 0, v[6:7]
	s_waitcnt lgkmcnt(0)
	v_lshl_add_u64 v[4:5], v[8:9], 0, v[2:3]
	ds_bpermute_b32 v2, v1, v2
	ds_bpermute_b32 v9, v1, v5
	v_mov_b32_e32 v3, v8
	s_waitcnt lgkmcnt(1)
	v_lshl_add_u64 v[2:3], v[4:5], 0, v[2:3]
	s_waitcnt lgkmcnt(0)
	v_lshl_add_u64 v[2:3], v[2:3], 0, v[8:9]
.LBB90_9:
	s_or_b64 exec, exec, s[4:5]
	s_mov_b64 s[4:5], 0
	s_branch .LBB90_22
.LBB90_10:
	s_mov_b64 s[0:1], 0
                                        ; implicit-def: $vgpr2_vgpr3
                                        ; implicit-def: $vgpr4_vgpr5
	s_cbranch_execnz .LBB90_121
	s_branch .LBB90_166
.LBB90_11:
	s_mov_b64 s[0:1], 0
                                        ; implicit-def: $vgpr2_vgpr3
                                        ; implicit-def: $vgpr4_vgpr5
	s_cbranch_execnz .LBB90_94
	s_branch .LBB90_120
.LBB90_12:
	s_mov_b64 s[30:31], -1
	s_mov_b64 s[0:1], 0
                                        ; implicit-def: $vgpr2_vgpr3
                                        ; implicit-def: $vgpr4_vgpr5
.LBB90_13:
	s_and_b64 vcc, exec, s[30:31]
	s_cbranch_vccz .LBB90_93
.LBB90_14:
	s_cmp_eq_u32 s33, 8
                                        ; implicit-def: $vgpr2_vgpr3
                                        ; implicit-def: $vgpr4_vgpr5
	s_cbranch_scc0 .LBB90_93
; %bb.15:
	s_mov_b32 s3, 0
	s_lshl_b32 s0, s2, 11
	s_mov_b32 s1, s3
	s_lshr_b64 s[4:5], s[38:39], 11
	s_lshl_b64 s[6:7], s[0:1], 3
	s_add_u32 s14, s36, s6
	s_addc_u32 s15, s37, s7
	s_cmp_lg_u64 s[4:5], s[2:3]
	s_cbranch_scc0 .LBB90_65
; %bb.16:
	v_lshlrev_b32_e32 v2, 3, v0
	v_mov_b32_e32 v3, 0
	v_lshl_add_u64 v[4:5], s[14:15], 0, v[2:3]
	s_waitcnt lgkmcnt(0)
	global_load_dwordx2 v[6:7], v2, s[14:15]
	global_load_dwordx2 v[8:9], v2, s[14:15] offset:2048
	v_add_co_u32_e32 v10, vcc, 0x1000, v4
	v_mov_b32_e32 v22, v3
	s_nop 0
	v_addc_co_u32_e32 v11, vcc, 0, v5, vcc
	v_add_co_u32_e32 v12, vcc, 0x2000, v4
	v_mov_b32_e32 v24, v3
	s_nop 0
	v_addc_co_u32_e32 v13, vcc, 0, v5, vcc
	global_load_dwordx2 v[14:15], v[10:11], off
	global_load_dwordx2 v[16:17], v[10:11], off offset:2048
	global_load_dwordx2 v[18:19], v[12:13], off
	global_load_dwordx2 v[20:21], v[12:13], off offset:2048
	v_add_co_u32_e32 v4, vcc, 0x3000, v4
	v_mov_b32_e32 v26, v3
	s_nop 0
	v_addc_co_u32_e32 v5, vcc, 0, v5, vcc
	global_load_dwordx2 v[10:11], v[4:5], off
	global_load_dwordx2 v[12:13], v[4:5], off offset:2048
	v_mov_b32_e32 v28, v3
	v_mbcnt_lo_u32_b32 v1, -1, 0
	v_mov_b32_e32 v30, v3
	v_mbcnt_hi_u32_b32 v1, -1, v1
	v_lshlrev_b32_e32 v4, 2, v1
	v_or_b32_e32 v5, 0xfc, v4
	v_cmp_eq_u32_e32 vcc, 0, v1
	s_waitcnt vmcnt(6)
	v_lshl_add_u64 v[6:7], v[8:9], 0, v[6:7]
	s_waitcnt vmcnt(5)
	v_lshl_add_u64 v[6:7], v[6:7], 0, v[14:15]
	;; [unrolled: 2-line block ×7, first 2 shown]
	s_nop 1
	v_mov_b32_dpp v2, v6 quad_perm:[1,0,3,2] row_mask:0xf bank_mask:0xf bound_ctrl:1
	v_mov_b32_dpp v23, v7 quad_perm:[1,0,3,2] row_mask:0xf bank_mask:0xf bound_ctrl:1
	v_lshl_add_u64 v[6:7], v[6:7], 0, v[2:3]
	v_lshl_add_u64 v[8:9], v[22:23], 0, v[6:7]
	s_nop 0
	v_mov_b32_dpp v2, v6 quad_perm:[2,3,0,1] row_mask:0xf bank_mask:0xf bound_ctrl:1
	v_mov_b32_dpp v25, v9 quad_perm:[2,3,0,1] row_mask:0xf bank_mask:0xf bound_ctrl:1
	v_lshl_add_u64 v[6:7], v[8:9], 0, v[2:3]
	v_lshl_add_u64 v[8:9], v[6:7], 0, v[24:25]
	s_nop 0
	v_mov_b32_dpp v2, v6 row_ror:4 row_mask:0xf bank_mask:0xf bound_ctrl:1
	v_mov_b32_dpp v27, v9 row_ror:4 row_mask:0xf bank_mask:0xf bound_ctrl:1
	v_lshl_add_u64 v[6:7], v[8:9], 0, v[2:3]
	v_lshl_add_u64 v[8:9], v[6:7], 0, v[26:27]
	s_nop 0
	v_mov_b32_dpp v2, v6 row_ror:8 row_mask:0xf bank_mask:0xf bound_ctrl:1
	v_mov_b32_dpp v29, v9 row_ror:8 row_mask:0xf bank_mask:0xf bound_ctrl:1
	v_lshl_add_u64 v[6:7], v[8:9], 0, v[2:3]
	v_lshl_add_u64 v[8:9], v[6:7], 0, v[28:29]
	s_nop 0
	v_mov_b32_dpp v2, v6 row_bcast:15 row_mask:0xf bank_mask:0xf bound_ctrl:1
	v_mov_b32_dpp v31, v9 row_bcast:15 row_mask:0xf bank_mask:0xf bound_ctrl:1
	v_lshl_add_u64 v[6:7], v[8:9], 0, v[2:3]
	v_lshl_add_u64 v[8:9], v[6:7], 0, v[30:31]
	s_nop 0
	v_mov_b32_dpp v2, v6 row_bcast:31 row_mask:0xf bank_mask:0xf bound_ctrl:1
	v_lshl_add_u64 v[2:3], v[8:9], 0, v[2:3]
	ds_bpermute_b32 v2, v5, v2
	s_nop 0
	v_add_u32_dpp v3, v9, v3 row_bcast:31 row_mask:0xf bank_mask:0xf bound_ctrl:1
	ds_bpermute_b32 v3, v5, v3
	s_and_saveexec_b64 s[4:5], vcc
	s_cbranch_execz .LBB90_18
; %bb.17:
	v_lshrrev_b32_e32 v5, 3, v0
	v_and_b32_e32 v5, 24, v5
	s_waitcnt lgkmcnt(0)
	ds_write_b64 v5, v[2:3] offset:128
.LBB90_18:
	s_or_b64 exec, exec, s[4:5]
	v_cmp_gt_u32_e32 vcc, 64, v0
	s_waitcnt lgkmcnt(0)
	s_barrier
	s_and_saveexec_b64 s[4:5], vcc
	s_cbranch_execz .LBB90_20
; %bb.19:
	v_and_b32_e32 v5, 3, v1
	v_lshlrev_b32_e32 v2, 3, v5
	ds_read_b64 v[2:3], v2 offset:128
	v_cmp_ne_u32_e32 vcc, 3, v5
	v_mov_b32_e32 v8, 0
	v_mov_b32_e32 v7, v8
	v_addc_co_u32_e32 v1, vcc, 0, v1, vcc
	v_lshlrev_b32_e32 v1, 2, v1
	s_waitcnt lgkmcnt(0)
	ds_bpermute_b32 v6, v1, v2
	ds_bpermute_b32 v9, v1, v3
	v_or_b32_e32 v1, 8, v4
	s_waitcnt lgkmcnt(1)
	v_lshl_add_u64 v[2:3], v[2:3], 0, v[6:7]
	s_waitcnt lgkmcnt(0)
	v_lshl_add_u64 v[4:5], v[8:9], 0, v[2:3]
	ds_bpermute_b32 v2, v1, v2
	ds_bpermute_b32 v9, v1, v5
	v_mov_b32_e32 v3, v8
	s_waitcnt lgkmcnt(1)
	v_lshl_add_u64 v[2:3], v[4:5], 0, v[2:3]
	s_waitcnt lgkmcnt(0)
	v_lshl_add_u64 v[2:3], v[2:3], 0, v[8:9]
.LBB90_20:
	s_or_b64 exec, exec, s[4:5]
	s_mov_b64 s[4:5], 0
	s_branch .LBB90_66
.LBB90_21:
	s_mov_b64 s[4:5], -1
                                        ; implicit-def: $vgpr2_vgpr3
.LBB90_22:
	s_and_b64 vcc, exec, s[4:5]
	s_cbranch_vccz .LBB90_64
; %bb.23:
	s_sub_i32 s46, s38, s0
	v_mov_b32_e32 v2, 0
	v_cmp_gt_u32_e32 vcc, s46, v0
	v_mov_b32_e32 v3, v2
	v_mov_b32_e32 v4, v2
	;; [unrolled: 1-line block ×31, first 2 shown]
	s_and_saveexec_b64 s[0:1], vcc
	s_cbranch_execz .LBB90_25
; %bb.24:
	v_lshlrev_b32_e32 v1, 3, v0
	global_load_dwordx2 v[4:5], v1, s[34:35]
	v_mov_b32_e32 v6, v2
	v_mov_b32_e32 v7, v2
	;; [unrolled: 1-line block ×30, first 2 shown]
	s_waitcnt vmcnt(0)
	v_mov_b64_e32 v[2:3], v[4:5]
	v_mov_b64_e32 v[4:5], v[6:7]
	;; [unrolled: 1-line block ×16, first 2 shown]
.LBB90_25:
	s_or_b64 exec, exec, s[0:1]
	v_or_b32_e32 v1, 0x100, v0
	v_cmp_gt_u32_e32 vcc, s46, v1
	s_and_saveexec_b64 s[0:1], vcc
	s_cbranch_execz .LBB90_27
; %bb.26:
	v_lshlrev_b32_e32 v1, 3, v0
	global_load_dwordx2 v[4:5], v1, s[34:35] offset:2048
.LBB90_27:
	s_or_b64 exec, exec, s[0:1]
	v_or_b32_e32 v1, 0x200, v0
	v_cmp_gt_u32_e64 s[0:1], s46, v1
	s_and_saveexec_b64 s[4:5], s[0:1]
	s_cbranch_execz .LBB90_29
; %bb.28:
	v_lshlrev_b32_e32 v1, 3, v1
	global_load_dwordx2 v[6:7], v1, s[34:35]
.LBB90_29:
	s_or_b64 exec, exec, s[4:5]
	v_or_b32_e32 v1, 0x300, v0
	v_cmp_gt_u32_e64 s[4:5], s46, v1
	s_and_saveexec_b64 s[6:7], s[4:5]
	s_cbranch_execz .LBB90_31
; %bb.30:
	v_lshlrev_b32_e32 v1, 3, v1
	global_load_dwordx2 v[8:9], v1, s[34:35]
.LBB90_31:
	;; [unrolled: 9-line block ×14, first 2 shown]
	s_or_b64 exec, exec, s[44:45]
	s_waitcnt vmcnt(0)
	v_cndmask_b32_e32 v5, 0, v5, vcc
	v_cndmask_b32_e32 v4, 0, v4, vcc
	v_lshl_add_u64 v[2:3], v[4:5], 0, v[2:3]
	v_cndmask_b32_e64 v5, 0, v7, s[0:1]
	v_cndmask_b32_e64 v4, 0, v6, s[0:1]
	v_lshl_add_u64 v[2:3], v[2:3], 0, v[4:5]
	v_cndmask_b32_e64 v5, 0, v9, s[4:5]
	v_cndmask_b32_e64 v4, 0, v8, s[4:5]
	v_lshl_add_u64 v[2:3], v[2:3], 0, v[4:5]
	v_cndmask_b32_e64 v5, 0, v11, s[6:7]
	v_cndmask_b32_e64 v4, 0, v10, s[6:7]
	v_lshl_add_u64 v[2:3], v[2:3], 0, v[4:5]
	v_cndmask_b32_e64 v5, 0, v13, s[8:9]
	v_cndmask_b32_e64 v4, 0, v12, s[8:9]
	v_lshl_add_u64 v[2:3], v[2:3], 0, v[4:5]
	v_cndmask_b32_e64 v5, 0, v15, s[10:11]
	v_cndmask_b32_e64 v4, 0, v14, s[10:11]
	v_lshl_add_u64 v[2:3], v[2:3], 0, v[4:5]
	v_cndmask_b32_e64 v5, 0, v17, s[12:13]
	v_cndmask_b32_e64 v4, 0, v16, s[12:13]
	v_lshl_add_u64 v[2:3], v[2:3], 0, v[4:5]
	v_cndmask_b32_e64 v5, 0, v19, s[14:15]
	v_cndmask_b32_e64 v4, 0, v18, s[14:15]
	v_lshl_add_u64 v[2:3], v[2:3], 0, v[4:5]
	v_cndmask_b32_e64 v5, 0, v21, s[16:17]
	v_cndmask_b32_e64 v4, 0, v20, s[16:17]
	v_lshl_add_u64 v[2:3], v[2:3], 0, v[4:5]
	v_cndmask_b32_e64 v5, 0, v23, s[18:19]
	v_cndmask_b32_e64 v4, 0, v22, s[18:19]
	v_lshl_add_u64 v[2:3], v[2:3], 0, v[4:5]
	v_cndmask_b32_e64 v5, 0, v25, s[20:21]
	v_cndmask_b32_e64 v4, 0, v24, s[20:21]
	v_lshl_add_u64 v[2:3], v[2:3], 0, v[4:5]
	v_cndmask_b32_e64 v5, 0, v27, s[22:23]
	v_cndmask_b32_e64 v4, 0, v26, s[22:23]
	v_lshl_add_u64 v[2:3], v[2:3], 0, v[4:5]
	v_cndmask_b32_e64 v5, 0, v29, s[24:25]
	v_cndmask_b32_e64 v4, 0, v28, s[24:25]
	v_mbcnt_lo_u32_b32 v1, -1, 0
	v_lshl_add_u64 v[2:3], v[2:3], 0, v[4:5]
	v_cndmask_b32_e64 v5, 0, v31, s[26:27]
	v_cndmask_b32_e64 v4, 0, v30, s[26:27]
	v_mbcnt_hi_u32_b32 v1, -1, v1
	v_lshl_add_u64 v[2:3], v[2:3], 0, v[4:5]
	v_cndmask_b32_e64 v5, 0, v33, s[28:29]
	v_cndmask_b32_e64 v4, 0, v32, s[28:29]
	v_and_b32_e32 v9, 63, v1
	v_lshl_add_u64 v[2:3], v[2:3], 0, v[4:5]
	s_min_u32 s6, s46, 0x100
	v_and_b32_e32 v4, 0xc0, v0
	v_cmp_ne_u32_e32 vcc, 63, v9
	v_sub_u32_e64 v8, s6, v4 clamp
	v_mov_b32_e32 v6, 0
	v_addc_co_u32_e32 v4, vcc, 0, v1, vcc
	v_lshlrev_b32_e32 v5, 2, v4
	ds_bpermute_b32 v4, v5, v2
	ds_bpermute_b32 v7, v5, v3
	v_add_u32_e32 v10, 1, v9
	v_mov_b32_e32 v5, v6
	v_cmp_lt_u32_e64 s[0:1], v10, v8
	s_waitcnt lgkmcnt(1)
	v_lshl_add_u64 v[4:5], v[2:3], 0, v[4:5]
	v_cmp_gt_u32_e32 vcc, 62, v9
	s_waitcnt lgkmcnt(0)
	v_lshl_add_u64 v[6:7], v[4:5], 0, v[6:7]
	v_cndmask_b32_e64 v12, v2, v4, s[0:1]
	v_cndmask_b32_e64 v4, 0, 2, vcc
	v_cndmask_b32_e64 v5, v3, v7, s[0:1]
	v_add_lshl_u32 v4, v4, v1, 2
	ds_bpermute_b32 v10, v4, v12
	ds_bpermute_b32 v11, v4, v5
	v_cndmask_b32_e64 v4, v2, v6, s[0:1]
	v_add_u32_e32 v13, 2, v9
	v_cmp_lt_u32_e32 vcc, v13, v8
	v_cmp_gt_u32_e64 s[4:5], 60, v9
	s_waitcnt lgkmcnt(0)
	v_lshl_add_u64 v[6:7], v[10:11], 0, v[4:5]
	v_cndmask_b32_e32 v5, v5, v7, vcc
	v_cndmask_b32_e64 v7, 0, 4, s[4:5]
	v_cndmask_b32_e32 v12, v12, v6, vcc
	v_add_lshl_u32 v7, v7, v1, 2
	ds_bpermute_b32 v10, v7, v12
	ds_bpermute_b32 v11, v7, v5
	v_cndmask_b32_e32 v4, v4, v6, vcc
	v_add_u32_e32 v13, 4, v9
	v_cmp_lt_u32_e32 vcc, v13, v8
	v_cmp_gt_u32_e64 s[4:5], 56, v9
	s_waitcnt lgkmcnt(0)
	v_lshl_add_u64 v[6:7], v[10:11], 0, v[4:5]
	v_cndmask_b32_e32 v5, v5, v7, vcc
	v_cndmask_b32_e64 v7, 0, 8, s[4:5]
	v_cndmask_b32_e32 v12, v12, v6, vcc
	v_add_lshl_u32 v7, v7, v1, 2
	ds_bpermute_b32 v10, v7, v12
	ds_bpermute_b32 v11, v7, v5
	v_cndmask_b32_e32 v4, v4, v6, vcc
	;; [unrolled: 12-line block ×3, first 2 shown]
	v_add_u32_e32 v13, 16, v9
	v_cmp_lt_u32_e32 vcc, v13, v8
	s_waitcnt lgkmcnt(0)
	v_lshl_add_u64 v[6:7], v[10:11], 0, v[4:5]
	v_lshlrev_b32_e32 v10, 2, v1
	v_cndmask_b32_e32 v13, v5, v7, vcc
	v_cndmask_b32_e32 v11, v12, v6, vcc
	v_or_b32_e32 v12, 0x80, v10
	ds_bpermute_b32 v11, v12, v11
	ds_bpermute_b32 v12, v12, v13
	s_and_saveexec_b64 s[4:5], s[0:1]
	s_cbranch_execz .LBB90_57
; %bb.56:
	v_add_u32_e32 v9, 32, v9
	v_cndmask_b32_e32 v3, v5, v7, vcc
	v_cndmask_b32_e32 v2, v4, v6, vcc
	v_cmp_lt_u32_e32 vcc, v9, v8
	s_waitcnt lgkmcnt(0)
	s_nop 0
	v_cndmask_b32_e32 v5, 0, v12, vcc
	v_cndmask_b32_e32 v4, 0, v11, vcc
	v_lshl_add_u64 v[2:3], v[2:3], 0, v[4:5]
.LBB90_57:
	s_or_b64 exec, exec, s[4:5]
	v_cmp_eq_u32_e32 vcc, 0, v1
	s_and_saveexec_b64 s[0:1], vcc
; %bb.58:
	v_lshrrev_b32_e32 v4, 3, v0
	v_and_b32_e32 v4, 24, v4
	ds_write_b64 v4, v[2:3] offset:160
; %bb.59:
	s_or_b64 exec, exec, s[0:1]
	v_cmp_gt_u32_e32 vcc, 4, v0
	s_waitcnt lgkmcnt(0)
	s_barrier
	s_and_saveexec_b64 s[0:1], vcc
	s_cbranch_execz .LBB90_63
; %bb.60:
	v_lshlrev_b32_e32 v2, 3, v1
	ds_read_b64 v[2:3], v2 offset:160
	v_and_b32_e32 v6, 3, v1
	v_cmp_ne_u32_e32 vcc, 3, v6
	v_mov_b32_e32 v8, 0
	s_add_i32 s6, s6, 63
	v_addc_co_u32_e32 v1, vcc, 0, v1, vcc
	v_lshlrev_b32_e32 v1, 2, v1
	s_waitcnt lgkmcnt(0)
	ds_bpermute_b32 v4, v1, v2
	ds_bpermute_b32 v9, v1, v3
	v_mov_b32_e32 v5, v8
	s_lshr_b32 s6, s6, 6
	v_add_u32_e32 v1, 1, v6
	s_waitcnt lgkmcnt(1)
	v_lshl_add_u64 v[12:13], v[2:3], 0, v[4:5]
	s_waitcnt lgkmcnt(0)
	v_lshl_add_u64 v[4:5], v[8:9], 0, v[12:13]
	v_cmp_gt_u32_e32 vcc, s6, v1
	v_or_b32_e32 v8, 8, v10
	s_nop 0
	v_cndmask_b32_e32 v7, v3, v5, vcc
	v_cndmask_b32_e32 v1, v2, v12, vcc
	ds_bpermute_b32 v1, v8, v1
	ds_bpermute_b32 v7, v8, v7
	s_and_saveexec_b64 s[4:5], vcc
	s_cbranch_execz .LBB90_62
; %bb.61:
	v_add_u32_e32 v2, 2, v6
	v_cmp_gt_u32_e32 vcc, s6, v2
	s_waitcnt lgkmcnt(0)
	s_nop 0
	v_cndmask_b32_e32 v3, 0, v7, vcc
	v_cndmask_b32_e32 v2, 0, v1, vcc
	v_lshl_add_u64 v[2:3], v[2:3], 0, v[4:5]
.LBB90_62:
	s_or_b64 exec, exec, s[4:5]
.LBB90_63:
	s_or_b64 exec, exec, s[0:1]
.LBB90_64:
	v_cmp_eq_u32_e64 s[0:1], 0, v0
	v_mov_b64_e32 v[4:5], s[2:3]
	s_and_b64 vcc, exec, s[30:31]
	s_cbranch_vccnz .LBB90_14
	s_branch .LBB90_93
.LBB90_65:
	s_mov_b64 s[4:5], -1
                                        ; implicit-def: $vgpr2_vgpr3
.LBB90_66:
	s_and_b64 vcc, exec, s[4:5]
	s_cbranch_vccz .LBB90_92
; %bb.67:
	s_sub_i32 s18, s38, s0
	v_mov_b32_e32 v2, 0
	v_cmp_gt_u32_e32 vcc, s18, v0
	v_mov_b32_e32 v3, v2
	v_mov_b32_e32 v4, v2
	;; [unrolled: 1-line block ×4, first 2 shown]
	s_waitcnt lgkmcnt(0)
	v_mov_b32_e32 v7, v2
	v_mov_b32_e32 v8, v2
	;; [unrolled: 1-line block ×11, first 2 shown]
	s_and_saveexec_b64 s[0:1], vcc
	s_cbranch_execz .LBB90_69
; %bb.68:
	v_lshlrev_b32_e32 v1, 3, v0
	global_load_dwordx2 v[4:5], v1, s[14:15]
	v_mov_b32_e32 v6, v2
	v_mov_b32_e32 v7, v2
	v_mov_b32_e32 v8, v2
	v_mov_b32_e32 v9, v2
	v_mov_b32_e32 v10, v2
	v_mov_b32_e32 v11, v2
	v_mov_b32_e32 v12, v2
	v_mov_b32_e32 v13, v2
	v_mov_b32_e32 v14, v2
	v_mov_b32_e32 v15, v2
	v_mov_b32_e32 v16, v2
	v_mov_b32_e32 v17, v2
	v_mov_b32_e32 v18, v2
	v_mov_b32_e32 v19, v2
	s_waitcnt vmcnt(0)
	v_mov_b64_e32 v[2:3], v[4:5]
	v_mov_b64_e32 v[4:5], v[6:7]
	;; [unrolled: 1-line block ×8, first 2 shown]
.LBB90_69:
	s_or_b64 exec, exec, s[0:1]
	v_or_b32_e32 v1, 0x100, v0
	v_cmp_gt_u32_e32 vcc, s18, v1
	s_and_saveexec_b64 s[0:1], vcc
	s_cbranch_execz .LBB90_71
; %bb.70:
	v_lshlrev_b32_e32 v1, 3, v0
	global_load_dwordx2 v[4:5], v1, s[14:15] offset:2048
.LBB90_71:
	s_or_b64 exec, exec, s[0:1]
	v_or_b32_e32 v1, 0x200, v0
	v_cmp_gt_u32_e64 s[0:1], s18, v1
	s_and_saveexec_b64 s[4:5], s[0:1]
	s_cbranch_execz .LBB90_73
; %bb.72:
	v_lshlrev_b32_e32 v1, 3, v1
	global_load_dwordx2 v[6:7], v1, s[14:15]
.LBB90_73:
	s_or_b64 exec, exec, s[4:5]
	v_or_b32_e32 v1, 0x300, v0
	v_cmp_gt_u32_e64 s[4:5], s18, v1
	s_and_saveexec_b64 s[6:7], s[4:5]
	s_cbranch_execz .LBB90_75
; %bb.74:
	v_lshlrev_b32_e32 v1, 3, v1
	global_load_dwordx2 v[8:9], v1, s[14:15]
.LBB90_75:
	;; [unrolled: 9-line block ×6, first 2 shown]
	s_or_b64 exec, exec, s[16:17]
	s_waitcnt vmcnt(0)
	v_cndmask_b32_e32 v5, 0, v5, vcc
	v_cndmask_b32_e32 v4, 0, v4, vcc
	v_lshl_add_u64 v[2:3], v[4:5], 0, v[2:3]
	v_cndmask_b32_e64 v5, 0, v7, s[0:1]
	v_cndmask_b32_e64 v4, 0, v6, s[0:1]
	v_lshl_add_u64 v[2:3], v[2:3], 0, v[4:5]
	v_cndmask_b32_e64 v5, 0, v9, s[4:5]
	v_cndmask_b32_e64 v4, 0, v8, s[4:5]
	;; [unrolled: 3-line block ×4, first 2 shown]
	v_mbcnt_lo_u32_b32 v1, -1, 0
	v_lshl_add_u64 v[2:3], v[2:3], 0, v[4:5]
	v_cndmask_b32_e64 v5, 0, v15, s[10:11]
	v_cndmask_b32_e64 v4, 0, v14, s[10:11]
	v_mbcnt_hi_u32_b32 v1, -1, v1
	v_lshl_add_u64 v[2:3], v[2:3], 0, v[4:5]
	v_cndmask_b32_e64 v5, 0, v17, s[12:13]
	v_cndmask_b32_e64 v4, 0, v16, s[12:13]
	v_and_b32_e32 v9, 63, v1
	v_lshl_add_u64 v[2:3], v[2:3], 0, v[4:5]
	s_min_u32 s6, s18, 0x100
	v_and_b32_e32 v4, 0xc0, v0
	v_cmp_ne_u32_e32 vcc, 63, v9
	v_sub_u32_e64 v8, s6, v4 clamp
	v_mov_b32_e32 v6, 0
	v_addc_co_u32_e32 v4, vcc, 0, v1, vcc
	v_lshlrev_b32_e32 v5, 2, v4
	ds_bpermute_b32 v4, v5, v2
	ds_bpermute_b32 v7, v5, v3
	v_add_u32_e32 v10, 1, v9
	v_mov_b32_e32 v5, v6
	v_cmp_lt_u32_e64 s[0:1], v10, v8
	s_waitcnt lgkmcnt(1)
	v_lshl_add_u64 v[4:5], v[2:3], 0, v[4:5]
	v_cmp_gt_u32_e32 vcc, 62, v9
	s_waitcnt lgkmcnt(0)
	v_lshl_add_u64 v[6:7], v[4:5], 0, v[6:7]
	v_cndmask_b32_e64 v12, v2, v4, s[0:1]
	v_cndmask_b32_e64 v4, 0, 2, vcc
	v_cndmask_b32_e64 v5, v3, v7, s[0:1]
	v_add_lshl_u32 v4, v4, v1, 2
	ds_bpermute_b32 v10, v4, v12
	ds_bpermute_b32 v11, v4, v5
	v_cndmask_b32_e64 v4, v2, v6, s[0:1]
	v_add_u32_e32 v13, 2, v9
	v_cmp_lt_u32_e32 vcc, v13, v8
	v_cmp_gt_u32_e64 s[4:5], 60, v9
	s_waitcnt lgkmcnt(0)
	v_lshl_add_u64 v[6:7], v[10:11], 0, v[4:5]
	v_cndmask_b32_e32 v5, v5, v7, vcc
	v_cndmask_b32_e64 v7, 0, 4, s[4:5]
	v_cndmask_b32_e32 v12, v12, v6, vcc
	v_add_lshl_u32 v7, v7, v1, 2
	ds_bpermute_b32 v10, v7, v12
	ds_bpermute_b32 v11, v7, v5
	v_cndmask_b32_e32 v4, v4, v6, vcc
	v_add_u32_e32 v13, 4, v9
	v_cmp_lt_u32_e32 vcc, v13, v8
	v_cmp_gt_u32_e64 s[4:5], 56, v9
	s_waitcnt lgkmcnt(0)
	v_lshl_add_u64 v[6:7], v[10:11], 0, v[4:5]
	v_cndmask_b32_e32 v5, v5, v7, vcc
	v_cndmask_b32_e64 v7, 0, 8, s[4:5]
	v_cndmask_b32_e32 v12, v12, v6, vcc
	v_add_lshl_u32 v7, v7, v1, 2
	ds_bpermute_b32 v10, v7, v12
	ds_bpermute_b32 v11, v7, v5
	v_cndmask_b32_e32 v4, v4, v6, vcc
	;; [unrolled: 12-line block ×3, first 2 shown]
	v_add_u32_e32 v13, 16, v9
	v_cmp_lt_u32_e32 vcc, v13, v8
	s_waitcnt lgkmcnt(0)
	v_lshl_add_u64 v[6:7], v[10:11], 0, v[4:5]
	v_lshlrev_b32_e32 v10, 2, v1
	v_cndmask_b32_e32 v13, v5, v7, vcc
	v_cndmask_b32_e32 v11, v12, v6, vcc
	v_or_b32_e32 v12, 0x80, v10
	ds_bpermute_b32 v11, v12, v11
	ds_bpermute_b32 v12, v12, v13
	s_and_saveexec_b64 s[4:5], s[0:1]
	s_cbranch_execz .LBB90_85
; %bb.84:
	v_add_u32_e32 v9, 32, v9
	v_cndmask_b32_e32 v3, v5, v7, vcc
	v_cndmask_b32_e32 v2, v4, v6, vcc
	v_cmp_lt_u32_e32 vcc, v9, v8
	s_waitcnt lgkmcnt(0)
	s_nop 0
	v_cndmask_b32_e32 v5, 0, v12, vcc
	v_cndmask_b32_e32 v4, 0, v11, vcc
	v_lshl_add_u64 v[2:3], v[2:3], 0, v[4:5]
.LBB90_85:
	s_or_b64 exec, exec, s[4:5]
	v_cmp_eq_u32_e32 vcc, 0, v1
	s_and_saveexec_b64 s[0:1], vcc
; %bb.86:
	v_lshrrev_b32_e32 v4, 3, v0
	v_and_b32_e32 v4, 24, v4
	ds_write_b64 v4, v[2:3] offset:160
; %bb.87:
	s_or_b64 exec, exec, s[0:1]
	v_cmp_gt_u32_e32 vcc, 4, v0
	s_waitcnt lgkmcnt(0)
	s_barrier
	s_and_saveexec_b64 s[0:1], vcc
	s_cbranch_execz .LBB90_91
; %bb.88:
	v_lshlrev_b32_e32 v2, 3, v1
	ds_read_b64 v[2:3], v2 offset:160
	v_and_b32_e32 v6, 3, v1
	v_cmp_ne_u32_e32 vcc, 3, v6
	v_mov_b32_e32 v8, 0
	s_add_i32 s6, s6, 63
	v_addc_co_u32_e32 v1, vcc, 0, v1, vcc
	v_lshlrev_b32_e32 v1, 2, v1
	s_waitcnt lgkmcnt(0)
	ds_bpermute_b32 v4, v1, v2
	ds_bpermute_b32 v9, v1, v3
	v_mov_b32_e32 v5, v8
	s_lshr_b32 s6, s6, 6
	v_add_u32_e32 v1, 1, v6
	s_waitcnt lgkmcnt(1)
	v_lshl_add_u64 v[12:13], v[2:3], 0, v[4:5]
	s_waitcnt lgkmcnt(0)
	v_lshl_add_u64 v[4:5], v[8:9], 0, v[12:13]
	v_cmp_gt_u32_e32 vcc, s6, v1
	v_or_b32_e32 v8, 8, v10
	s_nop 0
	v_cndmask_b32_e32 v7, v3, v5, vcc
	v_cndmask_b32_e32 v1, v2, v12, vcc
	ds_bpermute_b32 v1, v8, v1
	ds_bpermute_b32 v7, v8, v7
	s_and_saveexec_b64 s[4:5], vcc
	s_cbranch_execz .LBB90_90
; %bb.89:
	v_add_u32_e32 v2, 2, v6
	v_cmp_gt_u32_e32 vcc, s6, v2
	s_waitcnt lgkmcnt(0)
	s_nop 0
	v_cndmask_b32_e32 v3, 0, v7, vcc
	v_cndmask_b32_e32 v2, 0, v1, vcc
	v_lshl_add_u64 v[2:3], v[2:3], 0, v[4:5]
.LBB90_90:
	s_or_b64 exec, exec, s[4:5]
.LBB90_91:
	s_or_b64 exec, exec, s[0:1]
.LBB90_92:
	v_cmp_eq_u32_e64 s[0:1], 0, v0
	v_mov_b64_e32 v[4:5], s[2:3]
.LBB90_93:
	s_branch .LBB90_120
.LBB90_94:
	s_cmp_eq_u32 s33, 4
                                        ; implicit-def: $vgpr2_vgpr3
                                        ; implicit-def: $vgpr4_vgpr5
	s_cbranch_scc0 .LBB90_120
; %bb.95:
	s_mov_b32 s3, 0
	s_lshl_b32 s0, s2, 10
	s_mov_b32 s1, s3
	s_lshr_b64 s[4:5], s[38:39], 10
	s_lshl_b64 s[6:7], s[0:1], 3
	s_add_u32 s6, s36, s6
	s_addc_u32 s7, s37, s7
	s_cmp_lg_u64 s[4:5], s[2:3]
	s_cbranch_scc0 .LBB90_101
; %bb.96:
	v_lshlrev_b32_e32 v2, 3, v0
	v_mov_b32_e32 v3, 0
	v_lshl_add_u64 v[4:5], s[6:7], 0, v[2:3]
	v_add_co_u32_e32 v4, vcc, 0x1000, v4
	v_mov_b32_e32 v14, v3
	s_nop 0
	v_addc_co_u32_e32 v5, vcc, 0, v5, vcc
	s_waitcnt lgkmcnt(0)
	global_load_dwordx2 v[6:7], v2, s[6:7]
	global_load_dwordx2 v[8:9], v2, s[6:7] offset:2048
	global_load_dwordx2 v[10:11], v[4:5], off
	global_load_dwordx2 v[12:13], v[4:5], off offset:2048
	v_mov_b32_e32 v16, v3
	v_mov_b32_e32 v18, v3
	;; [unrolled: 1-line block ×3, first 2 shown]
	v_mbcnt_lo_u32_b32 v1, -1, 0
	v_mov_b32_e32 v22, v3
	v_mbcnt_hi_u32_b32 v1, -1, v1
	v_lshlrev_b32_e32 v4, 2, v1
	v_or_b32_e32 v5, 0xfc, v4
	v_cmp_eq_u32_e32 vcc, 0, v1
	s_waitcnt vmcnt(2)
	v_lshl_add_u64 v[6:7], v[8:9], 0, v[6:7]
	s_waitcnt vmcnt(1)
	v_lshl_add_u64 v[6:7], v[6:7], 0, v[10:11]
	;; [unrolled: 2-line block ×3, first 2 shown]
	s_nop 1
	v_mov_b32_dpp v2, v6 quad_perm:[1,0,3,2] row_mask:0xf bank_mask:0xf bound_ctrl:1
	v_mov_b32_dpp v15, v7 quad_perm:[1,0,3,2] row_mask:0xf bank_mask:0xf bound_ctrl:1
	v_lshl_add_u64 v[6:7], v[6:7], 0, v[2:3]
	v_lshl_add_u64 v[8:9], v[14:15], 0, v[6:7]
	s_nop 0
	v_mov_b32_dpp v2, v6 quad_perm:[2,3,0,1] row_mask:0xf bank_mask:0xf bound_ctrl:1
	v_mov_b32_dpp v17, v9 quad_perm:[2,3,0,1] row_mask:0xf bank_mask:0xf bound_ctrl:1
	v_lshl_add_u64 v[6:7], v[8:9], 0, v[2:3]
	v_lshl_add_u64 v[8:9], v[6:7], 0, v[16:17]
	s_nop 0
	v_mov_b32_dpp v2, v6 row_ror:4 row_mask:0xf bank_mask:0xf bound_ctrl:1
	v_mov_b32_dpp v19, v9 row_ror:4 row_mask:0xf bank_mask:0xf bound_ctrl:1
	v_lshl_add_u64 v[6:7], v[8:9], 0, v[2:3]
	v_lshl_add_u64 v[8:9], v[6:7], 0, v[18:19]
	s_nop 0
	v_mov_b32_dpp v2, v6 row_ror:8 row_mask:0xf bank_mask:0xf bound_ctrl:1
	v_mov_b32_dpp v21, v9 row_ror:8 row_mask:0xf bank_mask:0xf bound_ctrl:1
	v_lshl_add_u64 v[6:7], v[8:9], 0, v[2:3]
	v_lshl_add_u64 v[8:9], v[6:7], 0, v[20:21]
	s_nop 0
	v_mov_b32_dpp v2, v6 row_bcast:15 row_mask:0xf bank_mask:0xf bound_ctrl:1
	v_mov_b32_dpp v23, v9 row_bcast:15 row_mask:0xf bank_mask:0xf bound_ctrl:1
	v_lshl_add_u64 v[6:7], v[8:9], 0, v[2:3]
	v_lshl_add_u64 v[8:9], v[6:7], 0, v[22:23]
	s_nop 0
	v_mov_b32_dpp v2, v6 row_bcast:31 row_mask:0xf bank_mask:0xf bound_ctrl:1
	v_lshl_add_u64 v[2:3], v[8:9], 0, v[2:3]
	ds_bpermute_b32 v2, v5, v2
	s_nop 0
	v_add_u32_dpp v3, v9, v3 row_bcast:31 row_mask:0xf bank_mask:0xf bound_ctrl:1
	ds_bpermute_b32 v3, v5, v3
	s_and_saveexec_b64 s[4:5], vcc
	s_cbranch_execz .LBB90_98
; %bb.97:
	v_lshrrev_b32_e32 v5, 3, v0
	v_and_b32_e32 v5, 24, v5
	s_waitcnt lgkmcnt(0)
	ds_write_b64 v5, v[2:3] offset:96
.LBB90_98:
	s_or_b64 exec, exec, s[4:5]
	v_cmp_gt_u32_e32 vcc, 64, v0
	s_waitcnt lgkmcnt(0)
	s_barrier
	s_and_saveexec_b64 s[4:5], vcc
	s_cbranch_execz .LBB90_100
; %bb.99:
	v_and_b32_e32 v5, 3, v1
	v_lshlrev_b32_e32 v2, 3, v5
	ds_read_b64 v[2:3], v2 offset:96
	v_cmp_ne_u32_e32 vcc, 3, v5
	v_mov_b32_e32 v8, 0
	v_mov_b32_e32 v7, v8
	v_addc_co_u32_e32 v1, vcc, 0, v1, vcc
	v_lshlrev_b32_e32 v1, 2, v1
	s_waitcnt lgkmcnt(0)
	ds_bpermute_b32 v6, v1, v2
	ds_bpermute_b32 v9, v1, v3
	v_or_b32_e32 v1, 8, v4
	s_waitcnt lgkmcnt(1)
	v_lshl_add_u64 v[2:3], v[2:3], 0, v[6:7]
	s_waitcnt lgkmcnt(0)
	v_lshl_add_u64 v[4:5], v[8:9], 0, v[2:3]
	ds_bpermute_b32 v2, v1, v2
	ds_bpermute_b32 v9, v1, v5
	v_mov_b32_e32 v3, v8
	s_waitcnt lgkmcnt(1)
	v_lshl_add_u64 v[2:3], v[4:5], 0, v[2:3]
	s_waitcnt lgkmcnt(0)
	v_lshl_add_u64 v[2:3], v[2:3], 0, v[8:9]
.LBB90_100:
	s_or_b64 exec, exec, s[4:5]
	s_branch .LBB90_119
.LBB90_101:
                                        ; implicit-def: $vgpr2_vgpr3
	s_cbranch_execz .LBB90_119
; %bb.102:
	s_sub_i32 s10, s38, s0
	v_mov_b32_e32 v2, 0
	v_cmp_gt_u32_e32 vcc, s10, v0
	v_mov_b32_e32 v3, v2
	v_mov_b32_e32 v4, v2
	;; [unrolled: 1-line block ×4, first 2 shown]
	s_waitcnt lgkmcnt(0)
	v_mov_b32_e32 v7, v2
	v_mov_b32_e32 v8, v2
	;; [unrolled: 1-line block ×3, first 2 shown]
	s_and_saveexec_b64 s[0:1], vcc
	s_cbranch_execz .LBB90_104
; %bb.103:
	v_lshlrev_b32_e32 v1, 3, v0
	global_load_dwordx2 v[4:5], v1, s[6:7]
	v_mov_b32_e32 v6, v2
	v_mov_b32_e32 v7, v2
	v_mov_b32_e32 v8, v2
	v_mov_b32_e32 v9, v2
	v_mov_b32_e32 v10, v2
	v_mov_b32_e32 v11, v2
	s_waitcnt vmcnt(0)
	v_mov_b64_e32 v[2:3], v[4:5]
	v_mov_b64_e32 v[4:5], v[6:7]
	;; [unrolled: 1-line block ×4, first 2 shown]
.LBB90_104:
	s_or_b64 exec, exec, s[0:1]
	v_or_b32_e32 v1, 0x100, v0
	v_cmp_gt_u32_e32 vcc, s10, v1
	s_and_saveexec_b64 s[0:1], vcc
	s_cbranch_execz .LBB90_106
; %bb.105:
	v_lshlrev_b32_e32 v1, 3, v0
	global_load_dwordx2 v[4:5], v1, s[6:7] offset:2048
.LBB90_106:
	s_or_b64 exec, exec, s[0:1]
	v_or_b32_e32 v1, 0x200, v0
	v_cmp_gt_u32_e64 s[0:1], s10, v1
	s_and_saveexec_b64 s[4:5], s[0:1]
	s_cbranch_execz .LBB90_108
; %bb.107:
	v_lshlrev_b32_e32 v1, 3, v1
	global_load_dwordx2 v[6:7], v1, s[6:7]
.LBB90_108:
	s_or_b64 exec, exec, s[4:5]
	v_or_b32_e32 v1, 0x300, v0
	v_cmp_gt_u32_e64 s[4:5], s10, v1
	s_and_saveexec_b64 s[8:9], s[4:5]
	s_cbranch_execz .LBB90_110
; %bb.109:
	v_lshlrev_b32_e32 v1, 3, v1
	global_load_dwordx2 v[8:9], v1, s[6:7]
.LBB90_110:
	s_or_b64 exec, exec, s[8:9]
	s_waitcnt vmcnt(0)
	v_cndmask_b32_e32 v5, 0, v5, vcc
	v_cndmask_b32_e32 v4, 0, v4, vcc
	v_mbcnt_lo_u32_b32 v1, -1, 0
	v_lshl_add_u64 v[2:3], v[4:5], 0, v[2:3]
	v_cndmask_b32_e64 v5, 0, v7, s[0:1]
	v_cndmask_b32_e64 v4, 0, v6, s[0:1]
	v_mbcnt_hi_u32_b32 v1, -1, v1
	v_lshl_add_u64 v[2:3], v[2:3], 0, v[4:5]
	v_cndmask_b32_e64 v5, 0, v9, s[4:5]
	v_cndmask_b32_e64 v4, 0, v8, s[4:5]
	v_and_b32_e32 v9, 63, v1
	v_lshl_add_u64 v[2:3], v[2:3], 0, v[4:5]
	s_min_u32 s6, s10, 0x100
	v_and_b32_e32 v4, 0xc0, v0
	v_cmp_ne_u32_e32 vcc, 63, v9
	v_sub_u32_e64 v8, s6, v4 clamp
	v_mov_b32_e32 v6, 0
	v_addc_co_u32_e32 v4, vcc, 0, v1, vcc
	v_lshlrev_b32_e32 v5, 2, v4
	ds_bpermute_b32 v4, v5, v2
	ds_bpermute_b32 v7, v5, v3
	v_add_u32_e32 v10, 1, v9
	v_mov_b32_e32 v5, v6
	v_cmp_lt_u32_e64 s[0:1], v10, v8
	s_waitcnt lgkmcnt(1)
	v_lshl_add_u64 v[4:5], v[2:3], 0, v[4:5]
	v_cmp_gt_u32_e32 vcc, 62, v9
	s_waitcnt lgkmcnt(0)
	v_lshl_add_u64 v[6:7], v[6:7], 0, v[4:5]
	v_cndmask_b32_e64 v12, v2, v4, s[0:1]
	v_cndmask_b32_e64 v4, 0, 2, vcc
	v_cndmask_b32_e64 v5, v3, v7, s[0:1]
	v_add_lshl_u32 v4, v4, v1, 2
	ds_bpermute_b32 v10, v4, v12
	ds_bpermute_b32 v11, v4, v5
	v_cndmask_b32_e64 v4, v2, v6, s[0:1]
	v_add_u32_e32 v13, 2, v9
	v_cmp_lt_u32_e32 vcc, v13, v8
	v_cmp_gt_u32_e64 s[4:5], 60, v9
	s_waitcnt lgkmcnt(0)
	v_lshl_add_u64 v[6:7], v[10:11], 0, v[4:5]
	v_cndmask_b32_e32 v5, v5, v7, vcc
	v_cndmask_b32_e64 v7, 0, 4, s[4:5]
	v_cndmask_b32_e32 v12, v12, v6, vcc
	v_add_lshl_u32 v7, v7, v1, 2
	ds_bpermute_b32 v10, v7, v12
	ds_bpermute_b32 v11, v7, v5
	v_cndmask_b32_e32 v4, v4, v6, vcc
	v_add_u32_e32 v13, 4, v9
	v_cmp_lt_u32_e32 vcc, v13, v8
	v_cmp_gt_u32_e64 s[4:5], 56, v9
	s_waitcnt lgkmcnt(0)
	v_lshl_add_u64 v[6:7], v[10:11], 0, v[4:5]
	v_cndmask_b32_e32 v5, v5, v7, vcc
	v_cndmask_b32_e64 v7, 0, 8, s[4:5]
	v_cndmask_b32_e32 v12, v12, v6, vcc
	v_add_lshl_u32 v7, v7, v1, 2
	ds_bpermute_b32 v10, v7, v12
	ds_bpermute_b32 v11, v7, v5
	v_cndmask_b32_e32 v4, v4, v6, vcc
	;; [unrolled: 12-line block ×3, first 2 shown]
	v_add_u32_e32 v13, 16, v9
	v_cmp_lt_u32_e32 vcc, v13, v8
	s_waitcnt lgkmcnt(0)
	v_lshl_add_u64 v[6:7], v[10:11], 0, v[4:5]
	v_lshlrev_b32_e32 v10, 2, v1
	v_cndmask_b32_e32 v13, v5, v7, vcc
	v_cndmask_b32_e32 v11, v12, v6, vcc
	v_or_b32_e32 v12, 0x80, v10
	ds_bpermute_b32 v11, v12, v11
	ds_bpermute_b32 v12, v12, v13
	s_and_saveexec_b64 s[4:5], s[0:1]
	s_cbranch_execz .LBB90_112
; %bb.111:
	v_add_u32_e32 v9, 32, v9
	v_cndmask_b32_e32 v3, v5, v7, vcc
	v_cndmask_b32_e32 v2, v4, v6, vcc
	v_cmp_lt_u32_e32 vcc, v9, v8
	s_waitcnt lgkmcnt(0)
	s_nop 0
	v_cndmask_b32_e32 v5, 0, v12, vcc
	v_cndmask_b32_e32 v4, 0, v11, vcc
	v_lshl_add_u64 v[2:3], v[4:5], 0, v[2:3]
.LBB90_112:
	s_or_b64 exec, exec, s[4:5]
	v_cmp_eq_u32_e32 vcc, 0, v1
	s_and_saveexec_b64 s[0:1], vcc
; %bb.113:
	v_lshrrev_b32_e32 v4, 3, v0
	v_and_b32_e32 v4, 24, v4
	ds_write_b64 v4, v[2:3] offset:160
; %bb.114:
	s_or_b64 exec, exec, s[0:1]
	v_cmp_gt_u32_e32 vcc, 4, v0
	s_waitcnt lgkmcnt(0)
	s_barrier
	s_and_saveexec_b64 s[0:1], vcc
	s_cbranch_execz .LBB90_118
; %bb.115:
	v_lshlrev_b32_e32 v2, 3, v1
	ds_read_b64 v[2:3], v2 offset:160
	v_and_b32_e32 v6, 3, v1
	v_cmp_ne_u32_e32 vcc, 3, v6
	v_mov_b32_e32 v8, 0
	s_add_i32 s6, s6, 63
	v_addc_co_u32_e32 v1, vcc, 0, v1, vcc
	v_lshlrev_b32_e32 v1, 2, v1
	s_waitcnt lgkmcnt(0)
	ds_bpermute_b32 v4, v1, v2
	ds_bpermute_b32 v9, v1, v3
	v_mov_b32_e32 v5, v8
	s_lshr_b32 s6, s6, 6
	v_add_u32_e32 v1, 1, v6
	s_waitcnt lgkmcnt(1)
	v_lshl_add_u64 v[12:13], v[2:3], 0, v[4:5]
	s_waitcnt lgkmcnt(0)
	v_lshl_add_u64 v[4:5], v[8:9], 0, v[12:13]
	v_cmp_gt_u32_e32 vcc, s6, v1
	v_or_b32_e32 v8, 8, v10
	s_nop 0
	v_cndmask_b32_e32 v7, v3, v5, vcc
	v_cndmask_b32_e32 v1, v2, v12, vcc
	ds_bpermute_b32 v1, v8, v1
	ds_bpermute_b32 v7, v8, v7
	s_and_saveexec_b64 s[4:5], vcc
	s_cbranch_execz .LBB90_117
; %bb.116:
	v_add_u32_e32 v2, 2, v6
	v_cmp_gt_u32_e32 vcc, s6, v2
	s_waitcnt lgkmcnt(0)
	s_nop 0
	v_cndmask_b32_e32 v3, 0, v7, vcc
	v_cndmask_b32_e32 v2, 0, v1, vcc
	v_lshl_add_u64 v[2:3], v[2:3], 0, v[4:5]
.LBB90_117:
	s_or_b64 exec, exec, s[4:5]
.LBB90_118:
	s_or_b64 exec, exec, s[0:1]
.LBB90_119:
	v_cmp_eq_u32_e64 s[0:1], 0, v0
	v_mov_b64_e32 v[4:5], s[2:3]
.LBB90_120:
	s_branch .LBB90_166
.LBB90_121:
	s_cmp_gt_i32 s33, 1
	s_cbranch_scc0 .LBB90_129
; %bb.122:
	s_cmp_eq_u32 s33, 2
                                        ; implicit-def: $vgpr2_vgpr3
                                        ; implicit-def: $vgpr4_vgpr5
	s_cbranch_scc0 .LBB90_130
; %bb.123:
	s_mov_b32 s3, 0
	s_lshl_b32 s4, s2, 9
	s_mov_b32 s5, s3
	s_lshr_b64 s[6:7], s[38:39], 9
	s_lshl_b64 s[0:1], s[4:5], 3
	s_add_u32 s0, s36, s0
	s_addc_u32 s1, s37, s1
	s_cmp_lg_u64 s[6:7], s[2:3]
	s_cbranch_scc0 .LBB90_131
; %bb.124:
	s_waitcnt lgkmcnt(1)
	v_lshlrev_b32_e32 v1, 3, v0
	global_load_dwordx2 v[2:3], v1, s[0:1]
	s_waitcnt lgkmcnt(0)
	global_load_dwordx2 v[6:7], v1, s[0:1] offset:2048
	v_mov_b32_e32 v8, 0
	v_mov_b32_e32 v11, v8
	;; [unrolled: 1-line block ×6, first 2 shown]
	v_mbcnt_lo_u32_b32 v1, -1, 0
	v_mbcnt_hi_u32_b32 v1, -1, v1
	v_mov_b32_e32 v21, v8
	v_lshlrev_b32_e32 v4, 2, v1
	v_or_b32_e32 v5, 0xfc, v4
	v_cmp_eq_u32_e32 vcc, 0, v1
	s_waitcnt vmcnt(0)
	v_lshl_add_u64 v[2:3], v[6:7], 0, v[2:3]
	s_nop 1
	v_mov_b32_dpp v10, v2 quad_perm:[1,0,3,2] row_mask:0xf bank_mask:0xf bound_ctrl:1
	v_mov_b32_dpp v9, v3 quad_perm:[1,0,3,2] row_mask:0xf bank_mask:0xf bound_ctrl:1
	v_lshl_add_u64 v[2:3], v[2:3], 0, v[10:11]
	v_lshl_add_u64 v[6:7], v[8:9], 0, v[2:3]
	s_nop 0
	v_mov_b32_dpp v12, v2 quad_perm:[2,3,0,1] row_mask:0xf bank_mask:0xf bound_ctrl:1
	v_mov_b32_dpp v9, v7 quad_perm:[2,3,0,1] row_mask:0xf bank_mask:0xf bound_ctrl:1
	v_lshl_add_u64 v[2:3], v[6:7], 0, v[12:13]
	v_lshl_add_u64 v[6:7], v[2:3], 0, v[8:9]
	s_nop 0
	v_mov_b32_dpp v14, v2 row_ror:4 row_mask:0xf bank_mask:0xf bound_ctrl:1
	v_mov_b32_dpp v9, v7 row_ror:4 row_mask:0xf bank_mask:0xf bound_ctrl:1
	v_lshl_add_u64 v[2:3], v[6:7], 0, v[14:15]
	v_lshl_add_u64 v[6:7], v[2:3], 0, v[8:9]
	s_nop 0
	v_mov_b32_dpp v16, v2 row_ror:8 row_mask:0xf bank_mask:0xf bound_ctrl:1
	v_mov_b32_dpp v9, v7 row_ror:8 row_mask:0xf bank_mask:0xf bound_ctrl:1
	v_lshl_add_u64 v[2:3], v[6:7], 0, v[16:17]
	v_lshl_add_u64 v[6:7], v[2:3], 0, v[8:9]
	s_nop 0
	v_mov_b32_dpp v18, v2 row_bcast:15 row_mask:0xf bank_mask:0xf bound_ctrl:1
	v_mov_b32_dpp v9, v7 row_bcast:15 row_mask:0xf bank_mask:0xf bound_ctrl:1
	v_lshl_add_u64 v[2:3], v[6:7], 0, v[18:19]
	v_lshl_add_u64 v[6:7], v[2:3], 0, v[8:9]
	s_nop 0
	v_mov_b32_dpp v20, v2 row_bcast:31 row_mask:0xf bank_mask:0xf bound_ctrl:1
	v_lshl_add_u64 v[2:3], v[6:7], 0, v[20:21]
	ds_bpermute_b32 v2, v5, v2
	s_nop 0
	v_add_u32_dpp v3, v7, v3 row_bcast:31 row_mask:0xf bank_mask:0xf bound_ctrl:1
	ds_bpermute_b32 v3, v5, v3
	s_and_saveexec_b64 s[6:7], vcc
	s_cbranch_execz .LBB90_126
; %bb.125:
	v_lshrrev_b32_e32 v5, 3, v0
	v_and_b32_e32 v5, 24, v5
	s_waitcnt lgkmcnt(0)
	ds_write_b64 v5, v[2:3] offset:64
.LBB90_126:
	s_or_b64 exec, exec, s[6:7]
	v_cmp_gt_u32_e32 vcc, 64, v0
	s_waitcnt lgkmcnt(0)
	s_barrier
	s_and_saveexec_b64 s[6:7], vcc
	s_cbranch_execz .LBB90_128
; %bb.127:
	v_and_b32_e32 v5, 3, v1
	v_lshlrev_b32_e32 v2, 3, v5
	ds_read_b64 v[2:3], v2 offset:64
	v_cmp_ne_u32_e32 vcc, 3, v5
	v_mov_b32_e32 v8, 0
	v_mov_b32_e32 v7, v8
	v_addc_co_u32_e32 v1, vcc, 0, v1, vcc
	v_lshlrev_b32_e32 v1, 2, v1
	s_waitcnt lgkmcnt(0)
	ds_bpermute_b32 v6, v1, v2
	ds_bpermute_b32 v9, v1, v3
	v_or_b32_e32 v1, 8, v4
	s_waitcnt lgkmcnt(1)
	v_lshl_add_u64 v[2:3], v[2:3], 0, v[6:7]
	s_waitcnt lgkmcnt(0)
	v_lshl_add_u64 v[4:5], v[8:9], 0, v[2:3]
	ds_bpermute_b32 v2, v1, v2
	ds_bpermute_b32 v9, v1, v5
	v_mov_b32_e32 v3, v8
	s_waitcnt lgkmcnt(1)
	v_lshl_add_u64 v[2:3], v[4:5], 0, v[2:3]
	s_waitcnt lgkmcnt(0)
	v_lshl_add_u64 v[2:3], v[2:3], 0, v[8:9]
.LBB90_128:
	s_or_b64 exec, exec, s[6:7]
	s_branch .LBB90_145
.LBB90_129:
                                        ; implicit-def: $vgpr2_vgpr3
                                        ; implicit-def: $vgpr4_vgpr5
	s_cbranch_execnz .LBB90_146
	s_branch .LBB90_166
.LBB90_130:
	s_branch .LBB90_166
.LBB90_131:
                                        ; implicit-def: $vgpr2_vgpr3
	s_cbranch_execz .LBB90_145
; %bb.132:
	s_sub_i32 s6, s38, s4
	v_mov_b32_e32 v2, 0
	v_cmp_gt_u32_e32 vcc, s6, v0
	v_mov_b32_e32 v3, v2
	v_mov_b32_e32 v4, v2
	;; [unrolled: 1-line block ×3, first 2 shown]
	s_and_saveexec_b64 s[4:5], vcc
	s_cbranch_execz .LBB90_134
; %bb.133:
	s_waitcnt lgkmcnt(1)
	v_lshlrev_b32_e32 v1, 3, v0
	global_load_dwordx2 v[4:5], v1, s[0:1]
	v_mov_b32_e32 v6, v2
	s_waitcnt lgkmcnt(0)
	v_mov_b32_e32 v7, v2
	s_waitcnt vmcnt(0)
	v_mov_b64_e32 v[2:3], v[4:5]
	v_mov_b64_e32 v[4:5], v[6:7]
.LBB90_134:
	s_or_b64 exec, exec, s[4:5]
	s_waitcnt lgkmcnt(1)
	v_or_b32_e32 v1, 0x100, v0
	v_cmp_gt_u32_e32 vcc, s6, v1
	s_and_saveexec_b64 s[4:5], vcc
	s_cbranch_execz .LBB90_136
; %bb.135:
	v_lshlrev_b32_e32 v1, 3, v0
	global_load_dwordx2 v[4:5], v1, s[0:1] offset:2048
.LBB90_136:
	s_or_b64 exec, exec, s[4:5]
	v_mbcnt_lo_u32_b32 v1, -1, 0
	v_mbcnt_hi_u32_b32 v1, -1, v1
	s_waitcnt vmcnt(0)
	v_cndmask_b32_e32 v5, 0, v5, vcc
	v_cndmask_b32_e32 v4, 0, v4, vcc
	v_and_b32_e32 v9, 63, v1
	v_lshl_add_u64 v[2:3], v[4:5], 0, v[2:3]
	s_min_u32 s6, s6, 0x100
	v_and_b32_e32 v4, 0xc0, v0
	v_cmp_ne_u32_e32 vcc, 63, v9
	v_sub_u32_e64 v8, s6, v4 clamp
	v_mov_b32_e32 v6, 0
	v_addc_co_u32_e32 v4, vcc, 0, v1, vcc
	v_lshlrev_b32_e32 v5, 2, v4
	ds_bpermute_b32 v4, v5, v2
	s_waitcnt lgkmcnt(1)
	ds_bpermute_b32 v7, v5, v3
	v_add_u32_e32 v10, 1, v9
	v_mov_b32_e32 v5, v6
	v_cmp_lt_u32_e64 s[0:1], v10, v8
	s_waitcnt lgkmcnt(1)
	v_lshl_add_u64 v[4:5], v[2:3], 0, v[4:5]
	v_cmp_gt_u32_e32 vcc, 62, v9
	s_waitcnt lgkmcnt(0)
	v_lshl_add_u64 v[6:7], v[6:7], 0, v[4:5]
	v_cndmask_b32_e64 v12, v2, v4, s[0:1]
	v_cndmask_b32_e64 v4, 0, 2, vcc
	v_cndmask_b32_e64 v5, v3, v7, s[0:1]
	v_add_lshl_u32 v4, v4, v1, 2
	ds_bpermute_b32 v10, v4, v12
	ds_bpermute_b32 v11, v4, v5
	v_cndmask_b32_e64 v4, v2, v6, s[0:1]
	v_add_u32_e32 v13, 2, v9
	v_cmp_lt_u32_e32 vcc, v13, v8
	v_cmp_gt_u32_e64 s[4:5], 60, v9
	s_waitcnt lgkmcnt(0)
	v_lshl_add_u64 v[6:7], v[10:11], 0, v[4:5]
	v_cndmask_b32_e32 v5, v5, v7, vcc
	v_cndmask_b32_e64 v7, 0, 4, s[4:5]
	v_cndmask_b32_e32 v12, v12, v6, vcc
	v_add_lshl_u32 v7, v7, v1, 2
	ds_bpermute_b32 v10, v7, v12
	ds_bpermute_b32 v11, v7, v5
	v_cndmask_b32_e32 v4, v4, v6, vcc
	v_add_u32_e32 v13, 4, v9
	v_cmp_lt_u32_e32 vcc, v13, v8
	v_cmp_gt_u32_e64 s[4:5], 56, v9
	s_waitcnt lgkmcnt(0)
	v_lshl_add_u64 v[6:7], v[10:11], 0, v[4:5]
	v_cndmask_b32_e32 v5, v5, v7, vcc
	v_cndmask_b32_e64 v7, 0, 8, s[4:5]
	v_cndmask_b32_e32 v12, v12, v6, vcc
	v_add_lshl_u32 v7, v7, v1, 2
	ds_bpermute_b32 v10, v7, v12
	ds_bpermute_b32 v11, v7, v5
	v_cndmask_b32_e32 v4, v4, v6, vcc
	;; [unrolled: 12-line block ×3, first 2 shown]
	v_add_u32_e32 v13, 16, v9
	v_cmp_lt_u32_e32 vcc, v13, v8
	s_waitcnt lgkmcnt(0)
	v_lshl_add_u64 v[6:7], v[10:11], 0, v[4:5]
	v_lshlrev_b32_e32 v10, 2, v1
	v_cndmask_b32_e32 v13, v5, v7, vcc
	v_cndmask_b32_e32 v11, v12, v6, vcc
	v_or_b32_e32 v12, 0x80, v10
	ds_bpermute_b32 v11, v12, v11
	ds_bpermute_b32 v12, v12, v13
	s_and_saveexec_b64 s[4:5], s[0:1]
	s_cbranch_execz .LBB90_138
; %bb.137:
	v_add_u32_e32 v9, 32, v9
	v_cndmask_b32_e32 v3, v5, v7, vcc
	v_cndmask_b32_e32 v2, v4, v6, vcc
	v_cmp_lt_u32_e32 vcc, v9, v8
	s_waitcnt lgkmcnt(0)
	s_nop 0
	v_cndmask_b32_e32 v5, 0, v12, vcc
	v_cndmask_b32_e32 v4, 0, v11, vcc
	v_lshl_add_u64 v[2:3], v[4:5], 0, v[2:3]
.LBB90_138:
	s_or_b64 exec, exec, s[4:5]
	v_cmp_eq_u32_e32 vcc, 0, v1
	s_and_saveexec_b64 s[0:1], vcc
; %bb.139:
	v_lshrrev_b32_e32 v4, 3, v0
	v_and_b32_e32 v4, 24, v4
	ds_write_b64 v4, v[2:3] offset:160
; %bb.140:
	s_or_b64 exec, exec, s[0:1]
	v_cmp_gt_u32_e32 vcc, 4, v0
	s_waitcnt lgkmcnt(0)
	s_barrier
	s_and_saveexec_b64 s[0:1], vcc
	s_cbranch_execz .LBB90_144
; %bb.141:
	v_lshlrev_b32_e32 v2, 3, v1
	ds_read_b64 v[2:3], v2 offset:160
	v_and_b32_e32 v6, 3, v1
	v_cmp_ne_u32_e32 vcc, 3, v6
	v_mov_b32_e32 v8, 0
	s_add_i32 s6, s6, 63
	v_addc_co_u32_e32 v1, vcc, 0, v1, vcc
	v_lshlrev_b32_e32 v1, 2, v1
	s_waitcnt lgkmcnt(0)
	ds_bpermute_b32 v4, v1, v2
	ds_bpermute_b32 v9, v1, v3
	v_mov_b32_e32 v5, v8
	s_lshr_b32 s6, s6, 6
	v_add_u32_e32 v1, 1, v6
	s_waitcnt lgkmcnt(1)
	v_lshl_add_u64 v[12:13], v[2:3], 0, v[4:5]
	s_waitcnt lgkmcnt(0)
	v_lshl_add_u64 v[4:5], v[8:9], 0, v[12:13]
	v_cmp_gt_u32_e32 vcc, s6, v1
	v_or_b32_e32 v8, 8, v10
	s_nop 0
	v_cndmask_b32_e32 v7, v3, v5, vcc
	v_cndmask_b32_e32 v1, v2, v12, vcc
	ds_bpermute_b32 v1, v8, v1
	ds_bpermute_b32 v7, v8, v7
	s_and_saveexec_b64 s[4:5], vcc
	s_cbranch_execz .LBB90_143
; %bb.142:
	v_add_u32_e32 v2, 2, v6
	v_cmp_gt_u32_e32 vcc, s6, v2
	s_waitcnt lgkmcnt(0)
	s_nop 0
	v_cndmask_b32_e32 v3, 0, v7, vcc
	v_cndmask_b32_e32 v2, 0, v1, vcc
	v_lshl_add_u64 v[2:3], v[2:3], 0, v[4:5]
.LBB90_143:
	s_or_b64 exec, exec, s[4:5]
.LBB90_144:
	s_or_b64 exec, exec, s[0:1]
.LBB90_145:
	v_cmp_eq_u32_e64 s[0:1], 0, v0
	v_mov_b64_e32 v[4:5], s[2:3]
	s_branch .LBB90_166
.LBB90_146:
	s_cmp_eq_u32 s33, 1
                                        ; implicit-def: $vgpr2_vgpr3
                                        ; implicit-def: $vgpr4_vgpr5
	s_cbranch_scc0 .LBB90_166
; %bb.147:
	s_mov_b32 s1, 0
	s_lshl_b32 s0, s2, 8
	s_mov_b32 s3, s1
	s_lshr_b64 s[4:5], s[38:39], 8
	s_cmp_lg_u64 s[4:5], s[2:3]
	s_waitcnt lgkmcnt(1)
	v_mbcnt_lo_u32_b32 v1, -1, 0
	s_cbranch_scc0 .LBB90_153
; %bb.148:
	s_lshl_b64 s[4:5], s[0:1], 3
	s_add_u32 s4, s36, s4
	s_addc_u32 s5, s37, s5
	v_lshlrev_b32_e32 v2, 3, v0
	global_load_dwordx2 v[2:3], v2, s[4:5]
	v_mov_b32_e32 v6, 0
	v_mov_b32_e32 v9, v6
	;; [unrolled: 1-line block ×6, first 2 shown]
	v_mbcnt_hi_u32_b32 v4, -1, v1
	v_mov_b32_e32 v19, v6
	v_lshlrev_b32_e32 v5, 2, v4
	v_or_b32_e32 v20, 0xfc, v5
	v_cmp_eq_u32_e32 vcc, 0, v4
	s_waitcnt vmcnt(0)
	v_mov_b32_dpp v8, v2 quad_perm:[1,0,3,2] row_mask:0xf bank_mask:0xf bound_ctrl:1
	s_waitcnt lgkmcnt(0)
	v_mov_b32_dpp v7, v3 quad_perm:[1,0,3,2] row_mask:0xf bank_mask:0xf bound_ctrl:1
	v_lshl_add_u64 v[2:3], v[2:3], 0, v[8:9]
	v_lshl_add_u64 v[8:9], v[6:7], 0, v[2:3]
	s_nop 0
	v_mov_b32_dpp v10, v2 quad_perm:[2,3,0,1] row_mask:0xf bank_mask:0xf bound_ctrl:1
	v_mov_b32_dpp v7, v9 quad_perm:[2,3,0,1] row_mask:0xf bank_mask:0xf bound_ctrl:1
	v_lshl_add_u64 v[2:3], v[8:9], 0, v[10:11]
	v_lshl_add_u64 v[8:9], v[2:3], 0, v[6:7]
	s_nop 0
	v_mov_b32_dpp v12, v2 row_ror:4 row_mask:0xf bank_mask:0xf bound_ctrl:1
	v_mov_b32_dpp v7, v9 row_ror:4 row_mask:0xf bank_mask:0xf bound_ctrl:1
	v_lshl_add_u64 v[2:3], v[8:9], 0, v[12:13]
	v_lshl_add_u64 v[8:9], v[2:3], 0, v[6:7]
	s_nop 0
	v_mov_b32_dpp v14, v2 row_ror:8 row_mask:0xf bank_mask:0xf bound_ctrl:1
	v_mov_b32_dpp v7, v9 row_ror:8 row_mask:0xf bank_mask:0xf bound_ctrl:1
	v_lshl_add_u64 v[2:3], v[8:9], 0, v[14:15]
	v_lshl_add_u64 v[8:9], v[2:3], 0, v[6:7]
	s_nop 0
	v_mov_b32_dpp v16, v2 row_bcast:15 row_mask:0xf bank_mask:0xf bound_ctrl:1
	v_mov_b32_dpp v7, v9 row_bcast:15 row_mask:0xf bank_mask:0xf bound_ctrl:1
	v_lshl_add_u64 v[2:3], v[8:9], 0, v[16:17]
	v_lshl_add_u64 v[6:7], v[2:3], 0, v[6:7]
	s_nop 0
	v_mov_b32_dpp v18, v2 row_bcast:31 row_mask:0xf bank_mask:0xf bound_ctrl:1
	v_lshl_add_u64 v[2:3], v[6:7], 0, v[18:19]
	ds_bpermute_b32 v2, v20, v2
	s_nop 0
	v_add_u32_dpp v3, v7, v3 row_bcast:31 row_mask:0xf bank_mask:0xf bound_ctrl:1
	ds_bpermute_b32 v3, v20, v3
	s_and_saveexec_b64 s[4:5], vcc
	s_cbranch_execz .LBB90_150
; %bb.149:
	v_lshrrev_b32_e32 v6, 3, v0
	v_and_b32_e32 v6, 24, v6
	s_waitcnt lgkmcnt(0)
	ds_write_b64 v6, v[2:3] offset:32
.LBB90_150:
	s_or_b64 exec, exec, s[4:5]
	v_cmp_gt_u32_e32 vcc, 64, v0
	s_waitcnt lgkmcnt(0)
	s_barrier
	s_and_saveexec_b64 s[4:5], vcc
	s_cbranch_execz .LBB90_152
; %bb.151:
	v_and_b32_e32 v6, 3, v4
	v_lshlrev_b32_e32 v2, 3, v6
	ds_read_b64 v[2:3], v2 offset:32
	v_cmp_ne_u32_e32 vcc, 3, v6
	v_or_b32_e32 v8, 8, v5
	s_nop 0
	v_addc_co_u32_e32 v4, vcc, 0, v4, vcc
	v_lshlrev_b32_e32 v6, 2, v4
	s_waitcnt lgkmcnt(0)
	ds_bpermute_b32 v4, v6, v2
	ds_bpermute_b32 v7, v6, v3
	v_mov_b32_e32 v6, 0
	v_mov_b32_e32 v5, v6
	s_waitcnt lgkmcnt(1)
	v_lshl_add_u64 v[2:3], v[2:3], 0, v[4:5]
	s_waitcnt lgkmcnt(0)
	v_lshl_add_u64 v[4:5], v[6:7], 0, v[2:3]
	ds_bpermute_b32 v2, v8, v2
	ds_bpermute_b32 v7, v8, v5
	v_mov_b32_e32 v3, v6
	s_waitcnt lgkmcnt(1)
	v_lshl_add_u64 v[2:3], v[4:5], 0, v[2:3]
	s_waitcnt lgkmcnt(0)
	v_lshl_add_u64 v[2:3], v[2:3], 0, v[6:7]
.LBB90_152:
	s_or_b64 exec, exec, s[4:5]
	s_branch .LBB90_165
.LBB90_153:
                                        ; implicit-def: $vgpr2_vgpr3
	s_cbranch_execz .LBB90_165
; %bb.154:
	s_sub_i32 s6, s38, s0
	v_cmp_gt_u32_e32 vcc, s6, v0
                                        ; implicit-def: $vgpr2_vgpr3
	s_and_saveexec_b64 s[4:5], vcc
	s_cbranch_execz .LBB90_156
; %bb.155:
	s_lshl_b64 s[0:1], s[0:1], 3
	s_add_u32 s0, s36, s0
	s_addc_u32 s1, s37, s1
	v_lshlrev_b32_e32 v2, 3, v0
	global_load_dwordx2 v[2:3], v2, s[0:1]
.LBB90_156:
	s_or_b64 exec, exec, s[4:5]
	v_mbcnt_hi_u32_b32 v1, -1, v1
	v_and_b32_e32 v9, 63, v1
	s_min_u32 s6, s6, 0x100
	v_and_b32_e32 v4, 0xc0, v0
	v_cmp_ne_u32_e32 vcc, 63, v9
	v_sub_u32_e64 v8, s6, v4 clamp
	v_mov_b32_e32 v6, 0
	v_addc_co_u32_e32 v4, vcc, 0, v1, vcc
	v_lshlrev_b32_e32 v5, 2, v4
	s_waitcnt vmcnt(0)
	ds_bpermute_b32 v4, v5, v2
	s_waitcnt lgkmcnt(1)
	ds_bpermute_b32 v7, v5, v3
	v_add_u32_e32 v10, 1, v9
	v_mov_b32_e32 v5, v6
	v_cmp_lt_u32_e64 s[0:1], v10, v8
	s_waitcnt lgkmcnt(1)
	v_lshl_add_u64 v[4:5], v[2:3], 0, v[4:5]
	v_cmp_gt_u32_e32 vcc, 62, v9
	s_waitcnt lgkmcnt(0)
	v_lshl_add_u64 v[6:7], v[6:7], 0, v[4:5]
	v_cndmask_b32_e64 v12, v2, v4, s[0:1]
	v_cndmask_b32_e64 v4, 0, 2, vcc
	v_cndmask_b32_e64 v5, v3, v7, s[0:1]
	v_add_lshl_u32 v4, v4, v1, 2
	ds_bpermute_b32 v10, v4, v12
	ds_bpermute_b32 v11, v4, v5
	v_cndmask_b32_e64 v4, v2, v6, s[0:1]
	v_add_u32_e32 v13, 2, v9
	v_cmp_lt_u32_e32 vcc, v13, v8
	v_cmp_gt_u32_e64 s[4:5], 60, v9
	s_waitcnt lgkmcnt(0)
	v_lshl_add_u64 v[6:7], v[10:11], 0, v[4:5]
	v_cndmask_b32_e32 v5, v5, v7, vcc
	v_cndmask_b32_e64 v7, 0, 4, s[4:5]
	v_cndmask_b32_e32 v12, v12, v6, vcc
	v_add_lshl_u32 v7, v7, v1, 2
	ds_bpermute_b32 v10, v7, v12
	ds_bpermute_b32 v11, v7, v5
	v_cndmask_b32_e32 v4, v4, v6, vcc
	v_add_u32_e32 v13, 4, v9
	v_cmp_lt_u32_e32 vcc, v13, v8
	v_cmp_gt_u32_e64 s[4:5], 56, v9
	s_waitcnt lgkmcnt(0)
	v_lshl_add_u64 v[6:7], v[10:11], 0, v[4:5]
	v_cndmask_b32_e32 v5, v5, v7, vcc
	v_cndmask_b32_e64 v7, 0, 8, s[4:5]
	v_cndmask_b32_e32 v12, v12, v6, vcc
	v_add_lshl_u32 v7, v7, v1, 2
	ds_bpermute_b32 v10, v7, v12
	ds_bpermute_b32 v11, v7, v5
	v_cndmask_b32_e32 v4, v4, v6, vcc
	;; [unrolled: 12-line block ×3, first 2 shown]
	v_add_u32_e32 v13, 16, v9
	v_cmp_lt_u32_e32 vcc, v13, v8
	s_waitcnt lgkmcnt(0)
	v_lshl_add_u64 v[6:7], v[10:11], 0, v[4:5]
	v_lshlrev_b32_e32 v10, 2, v1
	v_cndmask_b32_e32 v13, v5, v7, vcc
	v_cndmask_b32_e32 v11, v12, v6, vcc
	v_or_b32_e32 v12, 0x80, v10
	ds_bpermute_b32 v11, v12, v11
	ds_bpermute_b32 v12, v12, v13
	s_and_saveexec_b64 s[4:5], s[0:1]
	s_cbranch_execz .LBB90_158
; %bb.157:
	v_add_u32_e32 v9, 32, v9
	v_cndmask_b32_e32 v3, v5, v7, vcc
	v_cndmask_b32_e32 v2, v4, v6, vcc
	v_cmp_lt_u32_e32 vcc, v9, v8
	s_waitcnt lgkmcnt(0)
	s_nop 0
	v_cndmask_b32_e32 v5, 0, v12, vcc
	v_cndmask_b32_e32 v4, 0, v11, vcc
	v_lshl_add_u64 v[2:3], v[4:5], 0, v[2:3]
.LBB90_158:
	s_or_b64 exec, exec, s[4:5]
	v_cmp_eq_u32_e32 vcc, 0, v1
	s_and_saveexec_b64 s[0:1], vcc
; %bb.159:
	v_lshrrev_b32_e32 v4, 3, v0
	v_and_b32_e32 v4, 24, v4
	ds_write_b64 v4, v[2:3] offset:160
; %bb.160:
	s_or_b64 exec, exec, s[0:1]
	v_cmp_gt_u32_e32 vcc, 4, v0
	s_waitcnt lgkmcnt(0)
	s_barrier
	s_and_saveexec_b64 s[0:1], vcc
	s_cbranch_execz .LBB90_164
; %bb.161:
	v_lshlrev_b32_e32 v2, 3, v1
	ds_read_b64 v[2:3], v2 offset:160
	v_and_b32_e32 v6, 3, v1
	v_cmp_ne_u32_e32 vcc, 3, v6
	v_mov_b32_e32 v8, 0
	s_add_i32 s6, s6, 63
	v_addc_co_u32_e32 v1, vcc, 0, v1, vcc
	v_lshlrev_b32_e32 v1, 2, v1
	s_waitcnt lgkmcnt(0)
	ds_bpermute_b32 v4, v1, v2
	ds_bpermute_b32 v9, v1, v3
	v_mov_b32_e32 v5, v8
	s_lshr_b32 s6, s6, 6
	v_add_u32_e32 v1, 1, v6
	s_waitcnt lgkmcnt(1)
	v_lshl_add_u64 v[12:13], v[2:3], 0, v[4:5]
	s_waitcnt lgkmcnt(0)
	v_lshl_add_u64 v[4:5], v[8:9], 0, v[12:13]
	v_cmp_gt_u32_e32 vcc, s6, v1
	v_or_b32_e32 v8, 8, v10
	s_nop 0
	v_cndmask_b32_e32 v7, v3, v5, vcc
	v_cndmask_b32_e32 v1, v2, v12, vcc
	ds_bpermute_b32 v1, v8, v1
	ds_bpermute_b32 v7, v8, v7
	s_and_saveexec_b64 s[4:5], vcc
	s_cbranch_execz .LBB90_163
; %bb.162:
	v_add_u32_e32 v2, 2, v6
	v_cmp_gt_u32_e32 vcc, s6, v2
	s_waitcnt lgkmcnt(0)
	s_nop 0
	v_cndmask_b32_e32 v3, 0, v7, vcc
	v_cndmask_b32_e32 v2, 0, v1, vcc
	v_lshl_add_u64 v[2:3], v[2:3], 0, v[4:5]
.LBB90_163:
	s_or_b64 exec, exec, s[4:5]
.LBB90_164:
	s_or_b64 exec, exec, s[0:1]
.LBB90_165:
	v_cmp_eq_u32_e64 s[0:1], 0, v0
	v_mov_b64_e32 v[4:5], s[2:3]
.LBB90_166:
	s_and_saveexec_b64 s[2:3], s[0:1]
	s_cbranch_execz .LBB90_168
; %bb.167:
	s_cmp_lg_u64 s[38:39], 0
	s_cselect_b64 vcc, -1, 0
	s_waitcnt lgkmcnt(1)
	v_lshlrev_b64 v[0:1], 3, v[4:5]
	v_cndmask_b32_e32 v3, 0, v3, vcc
	v_cndmask_b32_e32 v2, 0, v2, vcc
	v_lshl_add_u64 v[0:1], s[40:41], 0, v[0:1]
	v_lshl_add_u64 v[2:3], v[2:3], 0, s[42:43]
	global_store_dwordx2 v[0:1], v[2:3], off
.LBB90_168:
	s_endpgm
	.section	.rodata,"a",@progbits
	.p2align	6, 0x0
	.amdhsa_kernel _ZN7rocprim17ROCPRIM_400000_NS6detail17trampoline_kernelINS0_14default_configENS1_22reduce_config_selectorIlEEZNS1_11reduce_implILb1ES3_PlS7_lN6hipcub16HIPCUB_304000_NS6detail34convert_binary_result_type_wrapperINS9_3SumENS9_22TransformInputIteratorIb7NonZeroIsEPslEElEEEE10hipError_tPvRmT1_T2_T3_mT4_P12ihipStream_tbEUlT_E1_NS1_11comp_targetILNS1_3genE0ELNS1_11target_archE4294967295ELNS1_3gpuE0ELNS1_3repE0EEENS1_30default_config_static_selectorELNS0_4arch9wavefront6targetE1EEEvSM_
		.amdhsa_group_segment_fixed_size 192
		.amdhsa_private_segment_fixed_size 0
		.amdhsa_kernarg_size 48
		.amdhsa_user_sgpr_count 2
		.amdhsa_user_sgpr_dispatch_ptr 0
		.amdhsa_user_sgpr_queue_ptr 0
		.amdhsa_user_sgpr_kernarg_segment_ptr 1
		.amdhsa_user_sgpr_dispatch_id 0
		.amdhsa_user_sgpr_kernarg_preload_length 0
		.amdhsa_user_sgpr_kernarg_preload_offset 0
		.amdhsa_user_sgpr_private_segment_size 0
		.amdhsa_uses_dynamic_stack 0
		.amdhsa_enable_private_segment 0
		.amdhsa_system_sgpr_workgroup_id_x 1
		.amdhsa_system_sgpr_workgroup_id_y 0
		.amdhsa_system_sgpr_workgroup_id_z 0
		.amdhsa_system_sgpr_workgroup_info 0
		.amdhsa_system_vgpr_workitem_id 0
		.amdhsa_next_free_vgpr 48
		.amdhsa_next_free_sgpr 47
		.amdhsa_accum_offset 48
		.amdhsa_reserve_vcc 1
		.amdhsa_float_round_mode_32 0
		.amdhsa_float_round_mode_16_64 0
		.amdhsa_float_denorm_mode_32 3
		.amdhsa_float_denorm_mode_16_64 3
		.amdhsa_dx10_clamp 1
		.amdhsa_ieee_mode 1
		.amdhsa_fp16_overflow 0
		.amdhsa_tg_split 0
		.amdhsa_exception_fp_ieee_invalid_op 0
		.amdhsa_exception_fp_denorm_src 0
		.amdhsa_exception_fp_ieee_div_zero 0
		.amdhsa_exception_fp_ieee_overflow 0
		.amdhsa_exception_fp_ieee_underflow 0
		.amdhsa_exception_fp_ieee_inexact 0
		.amdhsa_exception_int_div_zero 0
	.end_amdhsa_kernel
	.section	.text._ZN7rocprim17ROCPRIM_400000_NS6detail17trampoline_kernelINS0_14default_configENS1_22reduce_config_selectorIlEEZNS1_11reduce_implILb1ES3_PlS7_lN6hipcub16HIPCUB_304000_NS6detail34convert_binary_result_type_wrapperINS9_3SumENS9_22TransformInputIteratorIb7NonZeroIsEPslEElEEEE10hipError_tPvRmT1_T2_T3_mT4_P12ihipStream_tbEUlT_E1_NS1_11comp_targetILNS1_3genE0ELNS1_11target_archE4294967295ELNS1_3gpuE0ELNS1_3repE0EEENS1_30default_config_static_selectorELNS0_4arch9wavefront6targetE1EEEvSM_,"axG",@progbits,_ZN7rocprim17ROCPRIM_400000_NS6detail17trampoline_kernelINS0_14default_configENS1_22reduce_config_selectorIlEEZNS1_11reduce_implILb1ES3_PlS7_lN6hipcub16HIPCUB_304000_NS6detail34convert_binary_result_type_wrapperINS9_3SumENS9_22TransformInputIteratorIb7NonZeroIsEPslEElEEEE10hipError_tPvRmT1_T2_T3_mT4_P12ihipStream_tbEUlT_E1_NS1_11comp_targetILNS1_3genE0ELNS1_11target_archE4294967295ELNS1_3gpuE0ELNS1_3repE0EEENS1_30default_config_static_selectorELNS0_4arch9wavefront6targetE1EEEvSM_,comdat
.Lfunc_end90:
	.size	_ZN7rocprim17ROCPRIM_400000_NS6detail17trampoline_kernelINS0_14default_configENS1_22reduce_config_selectorIlEEZNS1_11reduce_implILb1ES3_PlS7_lN6hipcub16HIPCUB_304000_NS6detail34convert_binary_result_type_wrapperINS9_3SumENS9_22TransformInputIteratorIb7NonZeroIsEPslEElEEEE10hipError_tPvRmT1_T2_T3_mT4_P12ihipStream_tbEUlT_E1_NS1_11comp_targetILNS1_3genE0ELNS1_11target_archE4294967295ELNS1_3gpuE0ELNS1_3repE0EEENS1_30default_config_static_selectorELNS0_4arch9wavefront6targetE1EEEvSM_, .Lfunc_end90-_ZN7rocprim17ROCPRIM_400000_NS6detail17trampoline_kernelINS0_14default_configENS1_22reduce_config_selectorIlEEZNS1_11reduce_implILb1ES3_PlS7_lN6hipcub16HIPCUB_304000_NS6detail34convert_binary_result_type_wrapperINS9_3SumENS9_22TransformInputIteratorIb7NonZeroIsEPslEElEEEE10hipError_tPvRmT1_T2_T3_mT4_P12ihipStream_tbEUlT_E1_NS1_11comp_targetILNS1_3genE0ELNS1_11target_archE4294967295ELNS1_3gpuE0ELNS1_3repE0EEENS1_30default_config_static_selectorELNS0_4arch9wavefront6targetE1EEEvSM_
                                        ; -- End function
	.set _ZN7rocprim17ROCPRIM_400000_NS6detail17trampoline_kernelINS0_14default_configENS1_22reduce_config_selectorIlEEZNS1_11reduce_implILb1ES3_PlS7_lN6hipcub16HIPCUB_304000_NS6detail34convert_binary_result_type_wrapperINS9_3SumENS9_22TransformInputIteratorIb7NonZeroIsEPslEElEEEE10hipError_tPvRmT1_T2_T3_mT4_P12ihipStream_tbEUlT_E1_NS1_11comp_targetILNS1_3genE0ELNS1_11target_archE4294967295ELNS1_3gpuE0ELNS1_3repE0EEENS1_30default_config_static_selectorELNS0_4arch9wavefront6targetE1EEEvSM_.num_vgpr, 48
	.set _ZN7rocprim17ROCPRIM_400000_NS6detail17trampoline_kernelINS0_14default_configENS1_22reduce_config_selectorIlEEZNS1_11reduce_implILb1ES3_PlS7_lN6hipcub16HIPCUB_304000_NS6detail34convert_binary_result_type_wrapperINS9_3SumENS9_22TransformInputIteratorIb7NonZeroIsEPslEElEEEE10hipError_tPvRmT1_T2_T3_mT4_P12ihipStream_tbEUlT_E1_NS1_11comp_targetILNS1_3genE0ELNS1_11target_archE4294967295ELNS1_3gpuE0ELNS1_3repE0EEENS1_30default_config_static_selectorELNS0_4arch9wavefront6targetE1EEEvSM_.num_agpr, 0
	.set _ZN7rocprim17ROCPRIM_400000_NS6detail17trampoline_kernelINS0_14default_configENS1_22reduce_config_selectorIlEEZNS1_11reduce_implILb1ES3_PlS7_lN6hipcub16HIPCUB_304000_NS6detail34convert_binary_result_type_wrapperINS9_3SumENS9_22TransformInputIteratorIb7NonZeroIsEPslEElEEEE10hipError_tPvRmT1_T2_T3_mT4_P12ihipStream_tbEUlT_E1_NS1_11comp_targetILNS1_3genE0ELNS1_11target_archE4294967295ELNS1_3gpuE0ELNS1_3repE0EEENS1_30default_config_static_selectorELNS0_4arch9wavefront6targetE1EEEvSM_.numbered_sgpr, 47
	.set _ZN7rocprim17ROCPRIM_400000_NS6detail17trampoline_kernelINS0_14default_configENS1_22reduce_config_selectorIlEEZNS1_11reduce_implILb1ES3_PlS7_lN6hipcub16HIPCUB_304000_NS6detail34convert_binary_result_type_wrapperINS9_3SumENS9_22TransformInputIteratorIb7NonZeroIsEPslEElEEEE10hipError_tPvRmT1_T2_T3_mT4_P12ihipStream_tbEUlT_E1_NS1_11comp_targetILNS1_3genE0ELNS1_11target_archE4294967295ELNS1_3gpuE0ELNS1_3repE0EEENS1_30default_config_static_selectorELNS0_4arch9wavefront6targetE1EEEvSM_.num_named_barrier, 0
	.set _ZN7rocprim17ROCPRIM_400000_NS6detail17trampoline_kernelINS0_14default_configENS1_22reduce_config_selectorIlEEZNS1_11reduce_implILb1ES3_PlS7_lN6hipcub16HIPCUB_304000_NS6detail34convert_binary_result_type_wrapperINS9_3SumENS9_22TransformInputIteratorIb7NonZeroIsEPslEElEEEE10hipError_tPvRmT1_T2_T3_mT4_P12ihipStream_tbEUlT_E1_NS1_11comp_targetILNS1_3genE0ELNS1_11target_archE4294967295ELNS1_3gpuE0ELNS1_3repE0EEENS1_30default_config_static_selectorELNS0_4arch9wavefront6targetE1EEEvSM_.private_seg_size, 0
	.set _ZN7rocprim17ROCPRIM_400000_NS6detail17trampoline_kernelINS0_14default_configENS1_22reduce_config_selectorIlEEZNS1_11reduce_implILb1ES3_PlS7_lN6hipcub16HIPCUB_304000_NS6detail34convert_binary_result_type_wrapperINS9_3SumENS9_22TransformInputIteratorIb7NonZeroIsEPslEElEEEE10hipError_tPvRmT1_T2_T3_mT4_P12ihipStream_tbEUlT_E1_NS1_11comp_targetILNS1_3genE0ELNS1_11target_archE4294967295ELNS1_3gpuE0ELNS1_3repE0EEENS1_30default_config_static_selectorELNS0_4arch9wavefront6targetE1EEEvSM_.uses_vcc, 1
	.set _ZN7rocprim17ROCPRIM_400000_NS6detail17trampoline_kernelINS0_14default_configENS1_22reduce_config_selectorIlEEZNS1_11reduce_implILb1ES3_PlS7_lN6hipcub16HIPCUB_304000_NS6detail34convert_binary_result_type_wrapperINS9_3SumENS9_22TransformInputIteratorIb7NonZeroIsEPslEElEEEE10hipError_tPvRmT1_T2_T3_mT4_P12ihipStream_tbEUlT_E1_NS1_11comp_targetILNS1_3genE0ELNS1_11target_archE4294967295ELNS1_3gpuE0ELNS1_3repE0EEENS1_30default_config_static_selectorELNS0_4arch9wavefront6targetE1EEEvSM_.uses_flat_scratch, 0
	.set _ZN7rocprim17ROCPRIM_400000_NS6detail17trampoline_kernelINS0_14default_configENS1_22reduce_config_selectorIlEEZNS1_11reduce_implILb1ES3_PlS7_lN6hipcub16HIPCUB_304000_NS6detail34convert_binary_result_type_wrapperINS9_3SumENS9_22TransformInputIteratorIb7NonZeroIsEPslEElEEEE10hipError_tPvRmT1_T2_T3_mT4_P12ihipStream_tbEUlT_E1_NS1_11comp_targetILNS1_3genE0ELNS1_11target_archE4294967295ELNS1_3gpuE0ELNS1_3repE0EEENS1_30default_config_static_selectorELNS0_4arch9wavefront6targetE1EEEvSM_.has_dyn_sized_stack, 0
	.set _ZN7rocprim17ROCPRIM_400000_NS6detail17trampoline_kernelINS0_14default_configENS1_22reduce_config_selectorIlEEZNS1_11reduce_implILb1ES3_PlS7_lN6hipcub16HIPCUB_304000_NS6detail34convert_binary_result_type_wrapperINS9_3SumENS9_22TransformInputIteratorIb7NonZeroIsEPslEElEEEE10hipError_tPvRmT1_T2_T3_mT4_P12ihipStream_tbEUlT_E1_NS1_11comp_targetILNS1_3genE0ELNS1_11target_archE4294967295ELNS1_3gpuE0ELNS1_3repE0EEENS1_30default_config_static_selectorELNS0_4arch9wavefront6targetE1EEEvSM_.has_recursion, 0
	.set _ZN7rocprim17ROCPRIM_400000_NS6detail17trampoline_kernelINS0_14default_configENS1_22reduce_config_selectorIlEEZNS1_11reduce_implILb1ES3_PlS7_lN6hipcub16HIPCUB_304000_NS6detail34convert_binary_result_type_wrapperINS9_3SumENS9_22TransformInputIteratorIb7NonZeroIsEPslEElEEEE10hipError_tPvRmT1_T2_T3_mT4_P12ihipStream_tbEUlT_E1_NS1_11comp_targetILNS1_3genE0ELNS1_11target_archE4294967295ELNS1_3gpuE0ELNS1_3repE0EEENS1_30default_config_static_selectorELNS0_4arch9wavefront6targetE1EEEvSM_.has_indirect_call, 0
	.section	.AMDGPU.csdata,"",@progbits
; Kernel info:
; codeLenInByte = 9732
; TotalNumSgprs: 53
; NumVgprs: 48
; NumAgprs: 0
; TotalNumVgprs: 48
; ScratchSize: 0
; MemoryBound: 0
; FloatMode: 240
; IeeeMode: 1
; LDSByteSize: 192 bytes/workgroup (compile time only)
; SGPRBlocks: 6
; VGPRBlocks: 5
; NumSGPRsForWavesPerEU: 53
; NumVGPRsForWavesPerEU: 48
; AccumOffset: 48
; Occupancy: 8
; WaveLimiterHint : 1
; COMPUTE_PGM_RSRC2:SCRATCH_EN: 0
; COMPUTE_PGM_RSRC2:USER_SGPR: 2
; COMPUTE_PGM_RSRC2:TRAP_HANDLER: 0
; COMPUTE_PGM_RSRC2:TGID_X_EN: 1
; COMPUTE_PGM_RSRC2:TGID_Y_EN: 0
; COMPUTE_PGM_RSRC2:TGID_Z_EN: 0
; COMPUTE_PGM_RSRC2:TIDIG_COMP_CNT: 0
; COMPUTE_PGM_RSRC3_GFX90A:ACCUM_OFFSET: 11
; COMPUTE_PGM_RSRC3_GFX90A:TG_SPLIT: 0
	.section	.text._ZN7rocprim17ROCPRIM_400000_NS6detail17trampoline_kernelINS0_14default_configENS1_22reduce_config_selectorIlEEZNS1_11reduce_implILb1ES3_PlS7_lN6hipcub16HIPCUB_304000_NS6detail34convert_binary_result_type_wrapperINS9_3SumENS9_22TransformInputIteratorIb7NonZeroIsEPslEElEEEE10hipError_tPvRmT1_T2_T3_mT4_P12ihipStream_tbEUlT_E1_NS1_11comp_targetILNS1_3genE5ELNS1_11target_archE942ELNS1_3gpuE9ELNS1_3repE0EEENS1_30default_config_static_selectorELNS0_4arch9wavefront6targetE1EEEvSM_,"axG",@progbits,_ZN7rocprim17ROCPRIM_400000_NS6detail17trampoline_kernelINS0_14default_configENS1_22reduce_config_selectorIlEEZNS1_11reduce_implILb1ES3_PlS7_lN6hipcub16HIPCUB_304000_NS6detail34convert_binary_result_type_wrapperINS9_3SumENS9_22TransformInputIteratorIb7NonZeroIsEPslEElEEEE10hipError_tPvRmT1_T2_T3_mT4_P12ihipStream_tbEUlT_E1_NS1_11comp_targetILNS1_3genE5ELNS1_11target_archE942ELNS1_3gpuE9ELNS1_3repE0EEENS1_30default_config_static_selectorELNS0_4arch9wavefront6targetE1EEEvSM_,comdat
	.protected	_ZN7rocprim17ROCPRIM_400000_NS6detail17trampoline_kernelINS0_14default_configENS1_22reduce_config_selectorIlEEZNS1_11reduce_implILb1ES3_PlS7_lN6hipcub16HIPCUB_304000_NS6detail34convert_binary_result_type_wrapperINS9_3SumENS9_22TransformInputIteratorIb7NonZeroIsEPslEElEEEE10hipError_tPvRmT1_T2_T3_mT4_P12ihipStream_tbEUlT_E1_NS1_11comp_targetILNS1_3genE5ELNS1_11target_archE942ELNS1_3gpuE9ELNS1_3repE0EEENS1_30default_config_static_selectorELNS0_4arch9wavefront6targetE1EEEvSM_ ; -- Begin function _ZN7rocprim17ROCPRIM_400000_NS6detail17trampoline_kernelINS0_14default_configENS1_22reduce_config_selectorIlEEZNS1_11reduce_implILb1ES3_PlS7_lN6hipcub16HIPCUB_304000_NS6detail34convert_binary_result_type_wrapperINS9_3SumENS9_22TransformInputIteratorIb7NonZeroIsEPslEElEEEE10hipError_tPvRmT1_T2_T3_mT4_P12ihipStream_tbEUlT_E1_NS1_11comp_targetILNS1_3genE5ELNS1_11target_archE942ELNS1_3gpuE9ELNS1_3repE0EEENS1_30default_config_static_selectorELNS0_4arch9wavefront6targetE1EEEvSM_
	.globl	_ZN7rocprim17ROCPRIM_400000_NS6detail17trampoline_kernelINS0_14default_configENS1_22reduce_config_selectorIlEEZNS1_11reduce_implILb1ES3_PlS7_lN6hipcub16HIPCUB_304000_NS6detail34convert_binary_result_type_wrapperINS9_3SumENS9_22TransformInputIteratorIb7NonZeroIsEPslEElEEEE10hipError_tPvRmT1_T2_T3_mT4_P12ihipStream_tbEUlT_E1_NS1_11comp_targetILNS1_3genE5ELNS1_11target_archE942ELNS1_3gpuE9ELNS1_3repE0EEENS1_30default_config_static_selectorELNS0_4arch9wavefront6targetE1EEEvSM_
	.p2align	8
	.type	_ZN7rocprim17ROCPRIM_400000_NS6detail17trampoline_kernelINS0_14default_configENS1_22reduce_config_selectorIlEEZNS1_11reduce_implILb1ES3_PlS7_lN6hipcub16HIPCUB_304000_NS6detail34convert_binary_result_type_wrapperINS9_3SumENS9_22TransformInputIteratorIb7NonZeroIsEPslEElEEEE10hipError_tPvRmT1_T2_T3_mT4_P12ihipStream_tbEUlT_E1_NS1_11comp_targetILNS1_3genE5ELNS1_11target_archE942ELNS1_3gpuE9ELNS1_3repE0EEENS1_30default_config_static_selectorELNS0_4arch9wavefront6targetE1EEEvSM_,@function
_ZN7rocprim17ROCPRIM_400000_NS6detail17trampoline_kernelINS0_14default_configENS1_22reduce_config_selectorIlEEZNS1_11reduce_implILb1ES3_PlS7_lN6hipcub16HIPCUB_304000_NS6detail34convert_binary_result_type_wrapperINS9_3SumENS9_22TransformInputIteratorIb7NonZeroIsEPslEElEEEE10hipError_tPvRmT1_T2_T3_mT4_P12ihipStream_tbEUlT_E1_NS1_11comp_targetILNS1_3genE5ELNS1_11target_archE942ELNS1_3gpuE9ELNS1_3repE0EEENS1_30default_config_static_selectorELNS0_4arch9wavefront6targetE1EEEvSM_: ; @_ZN7rocprim17ROCPRIM_400000_NS6detail17trampoline_kernelINS0_14default_configENS1_22reduce_config_selectorIlEEZNS1_11reduce_implILb1ES3_PlS7_lN6hipcub16HIPCUB_304000_NS6detail34convert_binary_result_type_wrapperINS9_3SumENS9_22TransformInputIteratorIb7NonZeroIsEPslEElEEEE10hipError_tPvRmT1_T2_T3_mT4_P12ihipStream_tbEUlT_E1_NS1_11comp_targetILNS1_3genE5ELNS1_11target_archE942ELNS1_3gpuE9ELNS1_3repE0EEENS1_30default_config_static_selectorELNS0_4arch9wavefront6targetE1EEEvSM_
; %bb.0:
	.section	.rodata,"a",@progbits
	.p2align	6, 0x0
	.amdhsa_kernel _ZN7rocprim17ROCPRIM_400000_NS6detail17trampoline_kernelINS0_14default_configENS1_22reduce_config_selectorIlEEZNS1_11reduce_implILb1ES3_PlS7_lN6hipcub16HIPCUB_304000_NS6detail34convert_binary_result_type_wrapperINS9_3SumENS9_22TransformInputIteratorIb7NonZeroIsEPslEElEEEE10hipError_tPvRmT1_T2_T3_mT4_P12ihipStream_tbEUlT_E1_NS1_11comp_targetILNS1_3genE5ELNS1_11target_archE942ELNS1_3gpuE9ELNS1_3repE0EEENS1_30default_config_static_selectorELNS0_4arch9wavefront6targetE1EEEvSM_
		.amdhsa_group_segment_fixed_size 0
		.amdhsa_private_segment_fixed_size 0
		.amdhsa_kernarg_size 48
		.amdhsa_user_sgpr_count 2
		.amdhsa_user_sgpr_dispatch_ptr 0
		.amdhsa_user_sgpr_queue_ptr 0
		.amdhsa_user_sgpr_kernarg_segment_ptr 1
		.amdhsa_user_sgpr_dispatch_id 0
		.amdhsa_user_sgpr_kernarg_preload_length 0
		.amdhsa_user_sgpr_kernarg_preload_offset 0
		.amdhsa_user_sgpr_private_segment_size 0
		.amdhsa_uses_dynamic_stack 0
		.amdhsa_enable_private_segment 0
		.amdhsa_system_sgpr_workgroup_id_x 1
		.amdhsa_system_sgpr_workgroup_id_y 0
		.amdhsa_system_sgpr_workgroup_id_z 0
		.amdhsa_system_sgpr_workgroup_info 0
		.amdhsa_system_vgpr_workitem_id 0
		.amdhsa_next_free_vgpr 1
		.amdhsa_next_free_sgpr 0
		.amdhsa_accum_offset 4
		.amdhsa_reserve_vcc 0
		.amdhsa_float_round_mode_32 0
		.amdhsa_float_round_mode_16_64 0
		.amdhsa_float_denorm_mode_32 3
		.amdhsa_float_denorm_mode_16_64 3
		.amdhsa_dx10_clamp 1
		.amdhsa_ieee_mode 1
		.amdhsa_fp16_overflow 0
		.amdhsa_tg_split 0
		.amdhsa_exception_fp_ieee_invalid_op 0
		.amdhsa_exception_fp_denorm_src 0
		.amdhsa_exception_fp_ieee_div_zero 0
		.amdhsa_exception_fp_ieee_overflow 0
		.amdhsa_exception_fp_ieee_underflow 0
		.amdhsa_exception_fp_ieee_inexact 0
		.amdhsa_exception_int_div_zero 0
	.end_amdhsa_kernel
	.section	.text._ZN7rocprim17ROCPRIM_400000_NS6detail17trampoline_kernelINS0_14default_configENS1_22reduce_config_selectorIlEEZNS1_11reduce_implILb1ES3_PlS7_lN6hipcub16HIPCUB_304000_NS6detail34convert_binary_result_type_wrapperINS9_3SumENS9_22TransformInputIteratorIb7NonZeroIsEPslEElEEEE10hipError_tPvRmT1_T2_T3_mT4_P12ihipStream_tbEUlT_E1_NS1_11comp_targetILNS1_3genE5ELNS1_11target_archE942ELNS1_3gpuE9ELNS1_3repE0EEENS1_30default_config_static_selectorELNS0_4arch9wavefront6targetE1EEEvSM_,"axG",@progbits,_ZN7rocprim17ROCPRIM_400000_NS6detail17trampoline_kernelINS0_14default_configENS1_22reduce_config_selectorIlEEZNS1_11reduce_implILb1ES3_PlS7_lN6hipcub16HIPCUB_304000_NS6detail34convert_binary_result_type_wrapperINS9_3SumENS9_22TransformInputIteratorIb7NonZeroIsEPslEElEEEE10hipError_tPvRmT1_T2_T3_mT4_P12ihipStream_tbEUlT_E1_NS1_11comp_targetILNS1_3genE5ELNS1_11target_archE942ELNS1_3gpuE9ELNS1_3repE0EEENS1_30default_config_static_selectorELNS0_4arch9wavefront6targetE1EEEvSM_,comdat
.Lfunc_end91:
	.size	_ZN7rocprim17ROCPRIM_400000_NS6detail17trampoline_kernelINS0_14default_configENS1_22reduce_config_selectorIlEEZNS1_11reduce_implILb1ES3_PlS7_lN6hipcub16HIPCUB_304000_NS6detail34convert_binary_result_type_wrapperINS9_3SumENS9_22TransformInputIteratorIb7NonZeroIsEPslEElEEEE10hipError_tPvRmT1_T2_T3_mT4_P12ihipStream_tbEUlT_E1_NS1_11comp_targetILNS1_3genE5ELNS1_11target_archE942ELNS1_3gpuE9ELNS1_3repE0EEENS1_30default_config_static_selectorELNS0_4arch9wavefront6targetE1EEEvSM_, .Lfunc_end91-_ZN7rocprim17ROCPRIM_400000_NS6detail17trampoline_kernelINS0_14default_configENS1_22reduce_config_selectorIlEEZNS1_11reduce_implILb1ES3_PlS7_lN6hipcub16HIPCUB_304000_NS6detail34convert_binary_result_type_wrapperINS9_3SumENS9_22TransformInputIteratorIb7NonZeroIsEPslEElEEEE10hipError_tPvRmT1_T2_T3_mT4_P12ihipStream_tbEUlT_E1_NS1_11comp_targetILNS1_3genE5ELNS1_11target_archE942ELNS1_3gpuE9ELNS1_3repE0EEENS1_30default_config_static_selectorELNS0_4arch9wavefront6targetE1EEEvSM_
                                        ; -- End function
	.set _ZN7rocprim17ROCPRIM_400000_NS6detail17trampoline_kernelINS0_14default_configENS1_22reduce_config_selectorIlEEZNS1_11reduce_implILb1ES3_PlS7_lN6hipcub16HIPCUB_304000_NS6detail34convert_binary_result_type_wrapperINS9_3SumENS9_22TransformInputIteratorIb7NonZeroIsEPslEElEEEE10hipError_tPvRmT1_T2_T3_mT4_P12ihipStream_tbEUlT_E1_NS1_11comp_targetILNS1_3genE5ELNS1_11target_archE942ELNS1_3gpuE9ELNS1_3repE0EEENS1_30default_config_static_selectorELNS0_4arch9wavefront6targetE1EEEvSM_.num_vgpr, 0
	.set _ZN7rocprim17ROCPRIM_400000_NS6detail17trampoline_kernelINS0_14default_configENS1_22reduce_config_selectorIlEEZNS1_11reduce_implILb1ES3_PlS7_lN6hipcub16HIPCUB_304000_NS6detail34convert_binary_result_type_wrapperINS9_3SumENS9_22TransformInputIteratorIb7NonZeroIsEPslEElEEEE10hipError_tPvRmT1_T2_T3_mT4_P12ihipStream_tbEUlT_E1_NS1_11comp_targetILNS1_3genE5ELNS1_11target_archE942ELNS1_3gpuE9ELNS1_3repE0EEENS1_30default_config_static_selectorELNS0_4arch9wavefront6targetE1EEEvSM_.num_agpr, 0
	.set _ZN7rocprim17ROCPRIM_400000_NS6detail17trampoline_kernelINS0_14default_configENS1_22reduce_config_selectorIlEEZNS1_11reduce_implILb1ES3_PlS7_lN6hipcub16HIPCUB_304000_NS6detail34convert_binary_result_type_wrapperINS9_3SumENS9_22TransformInputIteratorIb7NonZeroIsEPslEElEEEE10hipError_tPvRmT1_T2_T3_mT4_P12ihipStream_tbEUlT_E1_NS1_11comp_targetILNS1_3genE5ELNS1_11target_archE942ELNS1_3gpuE9ELNS1_3repE0EEENS1_30default_config_static_selectorELNS0_4arch9wavefront6targetE1EEEvSM_.numbered_sgpr, 0
	.set _ZN7rocprim17ROCPRIM_400000_NS6detail17trampoline_kernelINS0_14default_configENS1_22reduce_config_selectorIlEEZNS1_11reduce_implILb1ES3_PlS7_lN6hipcub16HIPCUB_304000_NS6detail34convert_binary_result_type_wrapperINS9_3SumENS9_22TransformInputIteratorIb7NonZeroIsEPslEElEEEE10hipError_tPvRmT1_T2_T3_mT4_P12ihipStream_tbEUlT_E1_NS1_11comp_targetILNS1_3genE5ELNS1_11target_archE942ELNS1_3gpuE9ELNS1_3repE0EEENS1_30default_config_static_selectorELNS0_4arch9wavefront6targetE1EEEvSM_.num_named_barrier, 0
	.set _ZN7rocprim17ROCPRIM_400000_NS6detail17trampoline_kernelINS0_14default_configENS1_22reduce_config_selectorIlEEZNS1_11reduce_implILb1ES3_PlS7_lN6hipcub16HIPCUB_304000_NS6detail34convert_binary_result_type_wrapperINS9_3SumENS9_22TransformInputIteratorIb7NonZeroIsEPslEElEEEE10hipError_tPvRmT1_T2_T3_mT4_P12ihipStream_tbEUlT_E1_NS1_11comp_targetILNS1_3genE5ELNS1_11target_archE942ELNS1_3gpuE9ELNS1_3repE0EEENS1_30default_config_static_selectorELNS0_4arch9wavefront6targetE1EEEvSM_.private_seg_size, 0
	.set _ZN7rocprim17ROCPRIM_400000_NS6detail17trampoline_kernelINS0_14default_configENS1_22reduce_config_selectorIlEEZNS1_11reduce_implILb1ES3_PlS7_lN6hipcub16HIPCUB_304000_NS6detail34convert_binary_result_type_wrapperINS9_3SumENS9_22TransformInputIteratorIb7NonZeroIsEPslEElEEEE10hipError_tPvRmT1_T2_T3_mT4_P12ihipStream_tbEUlT_E1_NS1_11comp_targetILNS1_3genE5ELNS1_11target_archE942ELNS1_3gpuE9ELNS1_3repE0EEENS1_30default_config_static_selectorELNS0_4arch9wavefront6targetE1EEEvSM_.uses_vcc, 0
	.set _ZN7rocprim17ROCPRIM_400000_NS6detail17trampoline_kernelINS0_14default_configENS1_22reduce_config_selectorIlEEZNS1_11reduce_implILb1ES3_PlS7_lN6hipcub16HIPCUB_304000_NS6detail34convert_binary_result_type_wrapperINS9_3SumENS9_22TransformInputIteratorIb7NonZeroIsEPslEElEEEE10hipError_tPvRmT1_T2_T3_mT4_P12ihipStream_tbEUlT_E1_NS1_11comp_targetILNS1_3genE5ELNS1_11target_archE942ELNS1_3gpuE9ELNS1_3repE0EEENS1_30default_config_static_selectorELNS0_4arch9wavefront6targetE1EEEvSM_.uses_flat_scratch, 0
	.set _ZN7rocprim17ROCPRIM_400000_NS6detail17trampoline_kernelINS0_14default_configENS1_22reduce_config_selectorIlEEZNS1_11reduce_implILb1ES3_PlS7_lN6hipcub16HIPCUB_304000_NS6detail34convert_binary_result_type_wrapperINS9_3SumENS9_22TransformInputIteratorIb7NonZeroIsEPslEElEEEE10hipError_tPvRmT1_T2_T3_mT4_P12ihipStream_tbEUlT_E1_NS1_11comp_targetILNS1_3genE5ELNS1_11target_archE942ELNS1_3gpuE9ELNS1_3repE0EEENS1_30default_config_static_selectorELNS0_4arch9wavefront6targetE1EEEvSM_.has_dyn_sized_stack, 0
	.set _ZN7rocprim17ROCPRIM_400000_NS6detail17trampoline_kernelINS0_14default_configENS1_22reduce_config_selectorIlEEZNS1_11reduce_implILb1ES3_PlS7_lN6hipcub16HIPCUB_304000_NS6detail34convert_binary_result_type_wrapperINS9_3SumENS9_22TransformInputIteratorIb7NonZeroIsEPslEElEEEE10hipError_tPvRmT1_T2_T3_mT4_P12ihipStream_tbEUlT_E1_NS1_11comp_targetILNS1_3genE5ELNS1_11target_archE942ELNS1_3gpuE9ELNS1_3repE0EEENS1_30default_config_static_selectorELNS0_4arch9wavefront6targetE1EEEvSM_.has_recursion, 0
	.set _ZN7rocprim17ROCPRIM_400000_NS6detail17trampoline_kernelINS0_14default_configENS1_22reduce_config_selectorIlEEZNS1_11reduce_implILb1ES3_PlS7_lN6hipcub16HIPCUB_304000_NS6detail34convert_binary_result_type_wrapperINS9_3SumENS9_22TransformInputIteratorIb7NonZeroIsEPslEElEEEE10hipError_tPvRmT1_T2_T3_mT4_P12ihipStream_tbEUlT_E1_NS1_11comp_targetILNS1_3genE5ELNS1_11target_archE942ELNS1_3gpuE9ELNS1_3repE0EEENS1_30default_config_static_selectorELNS0_4arch9wavefront6targetE1EEEvSM_.has_indirect_call, 0
	.section	.AMDGPU.csdata,"",@progbits
; Kernel info:
; codeLenInByte = 0
; TotalNumSgprs: 6
; NumVgprs: 0
; NumAgprs: 0
; TotalNumVgprs: 0
; ScratchSize: 0
; MemoryBound: 0
; FloatMode: 240
; IeeeMode: 1
; LDSByteSize: 0 bytes/workgroup (compile time only)
; SGPRBlocks: 0
; VGPRBlocks: 0
; NumSGPRsForWavesPerEU: 6
; NumVGPRsForWavesPerEU: 1
; AccumOffset: 4
; Occupancy: 8
; WaveLimiterHint : 0
; COMPUTE_PGM_RSRC2:SCRATCH_EN: 0
; COMPUTE_PGM_RSRC2:USER_SGPR: 2
; COMPUTE_PGM_RSRC2:TRAP_HANDLER: 0
; COMPUTE_PGM_RSRC2:TGID_X_EN: 1
; COMPUTE_PGM_RSRC2:TGID_Y_EN: 0
; COMPUTE_PGM_RSRC2:TGID_Z_EN: 0
; COMPUTE_PGM_RSRC2:TIDIG_COMP_CNT: 0
; COMPUTE_PGM_RSRC3_GFX90A:ACCUM_OFFSET: 0
; COMPUTE_PGM_RSRC3_GFX90A:TG_SPLIT: 0
	.section	.text._ZN7rocprim17ROCPRIM_400000_NS6detail17trampoline_kernelINS0_14default_configENS1_22reduce_config_selectorIlEEZNS1_11reduce_implILb1ES3_PlS7_lN6hipcub16HIPCUB_304000_NS6detail34convert_binary_result_type_wrapperINS9_3SumENS9_22TransformInputIteratorIb7NonZeroIsEPslEElEEEE10hipError_tPvRmT1_T2_T3_mT4_P12ihipStream_tbEUlT_E1_NS1_11comp_targetILNS1_3genE4ELNS1_11target_archE910ELNS1_3gpuE8ELNS1_3repE0EEENS1_30default_config_static_selectorELNS0_4arch9wavefront6targetE1EEEvSM_,"axG",@progbits,_ZN7rocprim17ROCPRIM_400000_NS6detail17trampoline_kernelINS0_14default_configENS1_22reduce_config_selectorIlEEZNS1_11reduce_implILb1ES3_PlS7_lN6hipcub16HIPCUB_304000_NS6detail34convert_binary_result_type_wrapperINS9_3SumENS9_22TransformInputIteratorIb7NonZeroIsEPslEElEEEE10hipError_tPvRmT1_T2_T3_mT4_P12ihipStream_tbEUlT_E1_NS1_11comp_targetILNS1_3genE4ELNS1_11target_archE910ELNS1_3gpuE8ELNS1_3repE0EEENS1_30default_config_static_selectorELNS0_4arch9wavefront6targetE1EEEvSM_,comdat
	.protected	_ZN7rocprim17ROCPRIM_400000_NS6detail17trampoline_kernelINS0_14default_configENS1_22reduce_config_selectorIlEEZNS1_11reduce_implILb1ES3_PlS7_lN6hipcub16HIPCUB_304000_NS6detail34convert_binary_result_type_wrapperINS9_3SumENS9_22TransformInputIteratorIb7NonZeroIsEPslEElEEEE10hipError_tPvRmT1_T2_T3_mT4_P12ihipStream_tbEUlT_E1_NS1_11comp_targetILNS1_3genE4ELNS1_11target_archE910ELNS1_3gpuE8ELNS1_3repE0EEENS1_30default_config_static_selectorELNS0_4arch9wavefront6targetE1EEEvSM_ ; -- Begin function _ZN7rocprim17ROCPRIM_400000_NS6detail17trampoline_kernelINS0_14default_configENS1_22reduce_config_selectorIlEEZNS1_11reduce_implILb1ES3_PlS7_lN6hipcub16HIPCUB_304000_NS6detail34convert_binary_result_type_wrapperINS9_3SumENS9_22TransformInputIteratorIb7NonZeroIsEPslEElEEEE10hipError_tPvRmT1_T2_T3_mT4_P12ihipStream_tbEUlT_E1_NS1_11comp_targetILNS1_3genE4ELNS1_11target_archE910ELNS1_3gpuE8ELNS1_3repE0EEENS1_30default_config_static_selectorELNS0_4arch9wavefront6targetE1EEEvSM_
	.globl	_ZN7rocprim17ROCPRIM_400000_NS6detail17trampoline_kernelINS0_14default_configENS1_22reduce_config_selectorIlEEZNS1_11reduce_implILb1ES3_PlS7_lN6hipcub16HIPCUB_304000_NS6detail34convert_binary_result_type_wrapperINS9_3SumENS9_22TransformInputIteratorIb7NonZeroIsEPslEElEEEE10hipError_tPvRmT1_T2_T3_mT4_P12ihipStream_tbEUlT_E1_NS1_11comp_targetILNS1_3genE4ELNS1_11target_archE910ELNS1_3gpuE8ELNS1_3repE0EEENS1_30default_config_static_selectorELNS0_4arch9wavefront6targetE1EEEvSM_
	.p2align	8
	.type	_ZN7rocprim17ROCPRIM_400000_NS6detail17trampoline_kernelINS0_14default_configENS1_22reduce_config_selectorIlEEZNS1_11reduce_implILb1ES3_PlS7_lN6hipcub16HIPCUB_304000_NS6detail34convert_binary_result_type_wrapperINS9_3SumENS9_22TransformInputIteratorIb7NonZeroIsEPslEElEEEE10hipError_tPvRmT1_T2_T3_mT4_P12ihipStream_tbEUlT_E1_NS1_11comp_targetILNS1_3genE4ELNS1_11target_archE910ELNS1_3gpuE8ELNS1_3repE0EEENS1_30default_config_static_selectorELNS0_4arch9wavefront6targetE1EEEvSM_,@function
_ZN7rocprim17ROCPRIM_400000_NS6detail17trampoline_kernelINS0_14default_configENS1_22reduce_config_selectorIlEEZNS1_11reduce_implILb1ES3_PlS7_lN6hipcub16HIPCUB_304000_NS6detail34convert_binary_result_type_wrapperINS9_3SumENS9_22TransformInputIteratorIb7NonZeroIsEPslEElEEEE10hipError_tPvRmT1_T2_T3_mT4_P12ihipStream_tbEUlT_E1_NS1_11comp_targetILNS1_3genE4ELNS1_11target_archE910ELNS1_3gpuE8ELNS1_3repE0EEENS1_30default_config_static_selectorELNS0_4arch9wavefront6targetE1EEEvSM_: ; @_ZN7rocprim17ROCPRIM_400000_NS6detail17trampoline_kernelINS0_14default_configENS1_22reduce_config_selectorIlEEZNS1_11reduce_implILb1ES3_PlS7_lN6hipcub16HIPCUB_304000_NS6detail34convert_binary_result_type_wrapperINS9_3SumENS9_22TransformInputIteratorIb7NonZeroIsEPslEElEEEE10hipError_tPvRmT1_T2_T3_mT4_P12ihipStream_tbEUlT_E1_NS1_11comp_targetILNS1_3genE4ELNS1_11target_archE910ELNS1_3gpuE8ELNS1_3repE0EEENS1_30default_config_static_selectorELNS0_4arch9wavefront6targetE1EEEvSM_
; %bb.0:
	.section	.rodata,"a",@progbits
	.p2align	6, 0x0
	.amdhsa_kernel _ZN7rocprim17ROCPRIM_400000_NS6detail17trampoline_kernelINS0_14default_configENS1_22reduce_config_selectorIlEEZNS1_11reduce_implILb1ES3_PlS7_lN6hipcub16HIPCUB_304000_NS6detail34convert_binary_result_type_wrapperINS9_3SumENS9_22TransformInputIteratorIb7NonZeroIsEPslEElEEEE10hipError_tPvRmT1_T2_T3_mT4_P12ihipStream_tbEUlT_E1_NS1_11comp_targetILNS1_3genE4ELNS1_11target_archE910ELNS1_3gpuE8ELNS1_3repE0EEENS1_30default_config_static_selectorELNS0_4arch9wavefront6targetE1EEEvSM_
		.amdhsa_group_segment_fixed_size 0
		.amdhsa_private_segment_fixed_size 0
		.amdhsa_kernarg_size 48
		.amdhsa_user_sgpr_count 2
		.amdhsa_user_sgpr_dispatch_ptr 0
		.amdhsa_user_sgpr_queue_ptr 0
		.amdhsa_user_sgpr_kernarg_segment_ptr 1
		.amdhsa_user_sgpr_dispatch_id 0
		.amdhsa_user_sgpr_kernarg_preload_length 0
		.amdhsa_user_sgpr_kernarg_preload_offset 0
		.amdhsa_user_sgpr_private_segment_size 0
		.amdhsa_uses_dynamic_stack 0
		.amdhsa_enable_private_segment 0
		.amdhsa_system_sgpr_workgroup_id_x 1
		.amdhsa_system_sgpr_workgroup_id_y 0
		.amdhsa_system_sgpr_workgroup_id_z 0
		.amdhsa_system_sgpr_workgroup_info 0
		.amdhsa_system_vgpr_workitem_id 0
		.amdhsa_next_free_vgpr 1
		.amdhsa_next_free_sgpr 0
		.amdhsa_accum_offset 4
		.amdhsa_reserve_vcc 0
		.amdhsa_float_round_mode_32 0
		.amdhsa_float_round_mode_16_64 0
		.amdhsa_float_denorm_mode_32 3
		.amdhsa_float_denorm_mode_16_64 3
		.amdhsa_dx10_clamp 1
		.amdhsa_ieee_mode 1
		.amdhsa_fp16_overflow 0
		.amdhsa_tg_split 0
		.amdhsa_exception_fp_ieee_invalid_op 0
		.amdhsa_exception_fp_denorm_src 0
		.amdhsa_exception_fp_ieee_div_zero 0
		.amdhsa_exception_fp_ieee_overflow 0
		.amdhsa_exception_fp_ieee_underflow 0
		.amdhsa_exception_fp_ieee_inexact 0
		.amdhsa_exception_int_div_zero 0
	.end_amdhsa_kernel
	.section	.text._ZN7rocprim17ROCPRIM_400000_NS6detail17trampoline_kernelINS0_14default_configENS1_22reduce_config_selectorIlEEZNS1_11reduce_implILb1ES3_PlS7_lN6hipcub16HIPCUB_304000_NS6detail34convert_binary_result_type_wrapperINS9_3SumENS9_22TransformInputIteratorIb7NonZeroIsEPslEElEEEE10hipError_tPvRmT1_T2_T3_mT4_P12ihipStream_tbEUlT_E1_NS1_11comp_targetILNS1_3genE4ELNS1_11target_archE910ELNS1_3gpuE8ELNS1_3repE0EEENS1_30default_config_static_selectorELNS0_4arch9wavefront6targetE1EEEvSM_,"axG",@progbits,_ZN7rocprim17ROCPRIM_400000_NS6detail17trampoline_kernelINS0_14default_configENS1_22reduce_config_selectorIlEEZNS1_11reduce_implILb1ES3_PlS7_lN6hipcub16HIPCUB_304000_NS6detail34convert_binary_result_type_wrapperINS9_3SumENS9_22TransformInputIteratorIb7NonZeroIsEPslEElEEEE10hipError_tPvRmT1_T2_T3_mT4_P12ihipStream_tbEUlT_E1_NS1_11comp_targetILNS1_3genE4ELNS1_11target_archE910ELNS1_3gpuE8ELNS1_3repE0EEENS1_30default_config_static_selectorELNS0_4arch9wavefront6targetE1EEEvSM_,comdat
.Lfunc_end92:
	.size	_ZN7rocprim17ROCPRIM_400000_NS6detail17trampoline_kernelINS0_14default_configENS1_22reduce_config_selectorIlEEZNS1_11reduce_implILb1ES3_PlS7_lN6hipcub16HIPCUB_304000_NS6detail34convert_binary_result_type_wrapperINS9_3SumENS9_22TransformInputIteratorIb7NonZeroIsEPslEElEEEE10hipError_tPvRmT1_T2_T3_mT4_P12ihipStream_tbEUlT_E1_NS1_11comp_targetILNS1_3genE4ELNS1_11target_archE910ELNS1_3gpuE8ELNS1_3repE0EEENS1_30default_config_static_selectorELNS0_4arch9wavefront6targetE1EEEvSM_, .Lfunc_end92-_ZN7rocprim17ROCPRIM_400000_NS6detail17trampoline_kernelINS0_14default_configENS1_22reduce_config_selectorIlEEZNS1_11reduce_implILb1ES3_PlS7_lN6hipcub16HIPCUB_304000_NS6detail34convert_binary_result_type_wrapperINS9_3SumENS9_22TransformInputIteratorIb7NonZeroIsEPslEElEEEE10hipError_tPvRmT1_T2_T3_mT4_P12ihipStream_tbEUlT_E1_NS1_11comp_targetILNS1_3genE4ELNS1_11target_archE910ELNS1_3gpuE8ELNS1_3repE0EEENS1_30default_config_static_selectorELNS0_4arch9wavefront6targetE1EEEvSM_
                                        ; -- End function
	.set _ZN7rocprim17ROCPRIM_400000_NS6detail17trampoline_kernelINS0_14default_configENS1_22reduce_config_selectorIlEEZNS1_11reduce_implILb1ES3_PlS7_lN6hipcub16HIPCUB_304000_NS6detail34convert_binary_result_type_wrapperINS9_3SumENS9_22TransformInputIteratorIb7NonZeroIsEPslEElEEEE10hipError_tPvRmT1_T2_T3_mT4_P12ihipStream_tbEUlT_E1_NS1_11comp_targetILNS1_3genE4ELNS1_11target_archE910ELNS1_3gpuE8ELNS1_3repE0EEENS1_30default_config_static_selectorELNS0_4arch9wavefront6targetE1EEEvSM_.num_vgpr, 0
	.set _ZN7rocprim17ROCPRIM_400000_NS6detail17trampoline_kernelINS0_14default_configENS1_22reduce_config_selectorIlEEZNS1_11reduce_implILb1ES3_PlS7_lN6hipcub16HIPCUB_304000_NS6detail34convert_binary_result_type_wrapperINS9_3SumENS9_22TransformInputIteratorIb7NonZeroIsEPslEElEEEE10hipError_tPvRmT1_T2_T3_mT4_P12ihipStream_tbEUlT_E1_NS1_11comp_targetILNS1_3genE4ELNS1_11target_archE910ELNS1_3gpuE8ELNS1_3repE0EEENS1_30default_config_static_selectorELNS0_4arch9wavefront6targetE1EEEvSM_.num_agpr, 0
	.set _ZN7rocprim17ROCPRIM_400000_NS6detail17trampoline_kernelINS0_14default_configENS1_22reduce_config_selectorIlEEZNS1_11reduce_implILb1ES3_PlS7_lN6hipcub16HIPCUB_304000_NS6detail34convert_binary_result_type_wrapperINS9_3SumENS9_22TransformInputIteratorIb7NonZeroIsEPslEElEEEE10hipError_tPvRmT1_T2_T3_mT4_P12ihipStream_tbEUlT_E1_NS1_11comp_targetILNS1_3genE4ELNS1_11target_archE910ELNS1_3gpuE8ELNS1_3repE0EEENS1_30default_config_static_selectorELNS0_4arch9wavefront6targetE1EEEvSM_.numbered_sgpr, 0
	.set _ZN7rocprim17ROCPRIM_400000_NS6detail17trampoline_kernelINS0_14default_configENS1_22reduce_config_selectorIlEEZNS1_11reduce_implILb1ES3_PlS7_lN6hipcub16HIPCUB_304000_NS6detail34convert_binary_result_type_wrapperINS9_3SumENS9_22TransformInputIteratorIb7NonZeroIsEPslEElEEEE10hipError_tPvRmT1_T2_T3_mT4_P12ihipStream_tbEUlT_E1_NS1_11comp_targetILNS1_3genE4ELNS1_11target_archE910ELNS1_3gpuE8ELNS1_3repE0EEENS1_30default_config_static_selectorELNS0_4arch9wavefront6targetE1EEEvSM_.num_named_barrier, 0
	.set _ZN7rocprim17ROCPRIM_400000_NS6detail17trampoline_kernelINS0_14default_configENS1_22reduce_config_selectorIlEEZNS1_11reduce_implILb1ES3_PlS7_lN6hipcub16HIPCUB_304000_NS6detail34convert_binary_result_type_wrapperINS9_3SumENS9_22TransformInputIteratorIb7NonZeroIsEPslEElEEEE10hipError_tPvRmT1_T2_T3_mT4_P12ihipStream_tbEUlT_E1_NS1_11comp_targetILNS1_3genE4ELNS1_11target_archE910ELNS1_3gpuE8ELNS1_3repE0EEENS1_30default_config_static_selectorELNS0_4arch9wavefront6targetE1EEEvSM_.private_seg_size, 0
	.set _ZN7rocprim17ROCPRIM_400000_NS6detail17trampoline_kernelINS0_14default_configENS1_22reduce_config_selectorIlEEZNS1_11reduce_implILb1ES3_PlS7_lN6hipcub16HIPCUB_304000_NS6detail34convert_binary_result_type_wrapperINS9_3SumENS9_22TransformInputIteratorIb7NonZeroIsEPslEElEEEE10hipError_tPvRmT1_T2_T3_mT4_P12ihipStream_tbEUlT_E1_NS1_11comp_targetILNS1_3genE4ELNS1_11target_archE910ELNS1_3gpuE8ELNS1_3repE0EEENS1_30default_config_static_selectorELNS0_4arch9wavefront6targetE1EEEvSM_.uses_vcc, 0
	.set _ZN7rocprim17ROCPRIM_400000_NS6detail17trampoline_kernelINS0_14default_configENS1_22reduce_config_selectorIlEEZNS1_11reduce_implILb1ES3_PlS7_lN6hipcub16HIPCUB_304000_NS6detail34convert_binary_result_type_wrapperINS9_3SumENS9_22TransformInputIteratorIb7NonZeroIsEPslEElEEEE10hipError_tPvRmT1_T2_T3_mT4_P12ihipStream_tbEUlT_E1_NS1_11comp_targetILNS1_3genE4ELNS1_11target_archE910ELNS1_3gpuE8ELNS1_3repE0EEENS1_30default_config_static_selectorELNS0_4arch9wavefront6targetE1EEEvSM_.uses_flat_scratch, 0
	.set _ZN7rocprim17ROCPRIM_400000_NS6detail17trampoline_kernelINS0_14default_configENS1_22reduce_config_selectorIlEEZNS1_11reduce_implILb1ES3_PlS7_lN6hipcub16HIPCUB_304000_NS6detail34convert_binary_result_type_wrapperINS9_3SumENS9_22TransformInputIteratorIb7NonZeroIsEPslEElEEEE10hipError_tPvRmT1_T2_T3_mT4_P12ihipStream_tbEUlT_E1_NS1_11comp_targetILNS1_3genE4ELNS1_11target_archE910ELNS1_3gpuE8ELNS1_3repE0EEENS1_30default_config_static_selectorELNS0_4arch9wavefront6targetE1EEEvSM_.has_dyn_sized_stack, 0
	.set _ZN7rocprim17ROCPRIM_400000_NS6detail17trampoline_kernelINS0_14default_configENS1_22reduce_config_selectorIlEEZNS1_11reduce_implILb1ES3_PlS7_lN6hipcub16HIPCUB_304000_NS6detail34convert_binary_result_type_wrapperINS9_3SumENS9_22TransformInputIteratorIb7NonZeroIsEPslEElEEEE10hipError_tPvRmT1_T2_T3_mT4_P12ihipStream_tbEUlT_E1_NS1_11comp_targetILNS1_3genE4ELNS1_11target_archE910ELNS1_3gpuE8ELNS1_3repE0EEENS1_30default_config_static_selectorELNS0_4arch9wavefront6targetE1EEEvSM_.has_recursion, 0
	.set _ZN7rocprim17ROCPRIM_400000_NS6detail17trampoline_kernelINS0_14default_configENS1_22reduce_config_selectorIlEEZNS1_11reduce_implILb1ES3_PlS7_lN6hipcub16HIPCUB_304000_NS6detail34convert_binary_result_type_wrapperINS9_3SumENS9_22TransformInputIteratorIb7NonZeroIsEPslEElEEEE10hipError_tPvRmT1_T2_T3_mT4_P12ihipStream_tbEUlT_E1_NS1_11comp_targetILNS1_3genE4ELNS1_11target_archE910ELNS1_3gpuE8ELNS1_3repE0EEENS1_30default_config_static_selectorELNS0_4arch9wavefront6targetE1EEEvSM_.has_indirect_call, 0
	.section	.AMDGPU.csdata,"",@progbits
; Kernel info:
; codeLenInByte = 0
; TotalNumSgprs: 6
; NumVgprs: 0
; NumAgprs: 0
; TotalNumVgprs: 0
; ScratchSize: 0
; MemoryBound: 0
; FloatMode: 240
; IeeeMode: 1
; LDSByteSize: 0 bytes/workgroup (compile time only)
; SGPRBlocks: 0
; VGPRBlocks: 0
; NumSGPRsForWavesPerEU: 6
; NumVGPRsForWavesPerEU: 1
; AccumOffset: 4
; Occupancy: 8
; WaveLimiterHint : 0
; COMPUTE_PGM_RSRC2:SCRATCH_EN: 0
; COMPUTE_PGM_RSRC2:USER_SGPR: 2
; COMPUTE_PGM_RSRC2:TRAP_HANDLER: 0
; COMPUTE_PGM_RSRC2:TGID_X_EN: 1
; COMPUTE_PGM_RSRC2:TGID_Y_EN: 0
; COMPUTE_PGM_RSRC2:TGID_Z_EN: 0
; COMPUTE_PGM_RSRC2:TIDIG_COMP_CNT: 0
; COMPUTE_PGM_RSRC3_GFX90A:ACCUM_OFFSET: 0
; COMPUTE_PGM_RSRC3_GFX90A:TG_SPLIT: 0
	.section	.text._ZN7rocprim17ROCPRIM_400000_NS6detail17trampoline_kernelINS0_14default_configENS1_22reduce_config_selectorIlEEZNS1_11reduce_implILb1ES3_PlS7_lN6hipcub16HIPCUB_304000_NS6detail34convert_binary_result_type_wrapperINS9_3SumENS9_22TransformInputIteratorIb7NonZeroIsEPslEElEEEE10hipError_tPvRmT1_T2_T3_mT4_P12ihipStream_tbEUlT_E1_NS1_11comp_targetILNS1_3genE3ELNS1_11target_archE908ELNS1_3gpuE7ELNS1_3repE0EEENS1_30default_config_static_selectorELNS0_4arch9wavefront6targetE1EEEvSM_,"axG",@progbits,_ZN7rocprim17ROCPRIM_400000_NS6detail17trampoline_kernelINS0_14default_configENS1_22reduce_config_selectorIlEEZNS1_11reduce_implILb1ES3_PlS7_lN6hipcub16HIPCUB_304000_NS6detail34convert_binary_result_type_wrapperINS9_3SumENS9_22TransformInputIteratorIb7NonZeroIsEPslEElEEEE10hipError_tPvRmT1_T2_T3_mT4_P12ihipStream_tbEUlT_E1_NS1_11comp_targetILNS1_3genE3ELNS1_11target_archE908ELNS1_3gpuE7ELNS1_3repE0EEENS1_30default_config_static_selectorELNS0_4arch9wavefront6targetE1EEEvSM_,comdat
	.protected	_ZN7rocprim17ROCPRIM_400000_NS6detail17trampoline_kernelINS0_14default_configENS1_22reduce_config_selectorIlEEZNS1_11reduce_implILb1ES3_PlS7_lN6hipcub16HIPCUB_304000_NS6detail34convert_binary_result_type_wrapperINS9_3SumENS9_22TransformInputIteratorIb7NonZeroIsEPslEElEEEE10hipError_tPvRmT1_T2_T3_mT4_P12ihipStream_tbEUlT_E1_NS1_11comp_targetILNS1_3genE3ELNS1_11target_archE908ELNS1_3gpuE7ELNS1_3repE0EEENS1_30default_config_static_selectorELNS0_4arch9wavefront6targetE1EEEvSM_ ; -- Begin function _ZN7rocprim17ROCPRIM_400000_NS6detail17trampoline_kernelINS0_14default_configENS1_22reduce_config_selectorIlEEZNS1_11reduce_implILb1ES3_PlS7_lN6hipcub16HIPCUB_304000_NS6detail34convert_binary_result_type_wrapperINS9_3SumENS9_22TransformInputIteratorIb7NonZeroIsEPslEElEEEE10hipError_tPvRmT1_T2_T3_mT4_P12ihipStream_tbEUlT_E1_NS1_11comp_targetILNS1_3genE3ELNS1_11target_archE908ELNS1_3gpuE7ELNS1_3repE0EEENS1_30default_config_static_selectorELNS0_4arch9wavefront6targetE1EEEvSM_
	.globl	_ZN7rocprim17ROCPRIM_400000_NS6detail17trampoline_kernelINS0_14default_configENS1_22reduce_config_selectorIlEEZNS1_11reduce_implILb1ES3_PlS7_lN6hipcub16HIPCUB_304000_NS6detail34convert_binary_result_type_wrapperINS9_3SumENS9_22TransformInputIteratorIb7NonZeroIsEPslEElEEEE10hipError_tPvRmT1_T2_T3_mT4_P12ihipStream_tbEUlT_E1_NS1_11comp_targetILNS1_3genE3ELNS1_11target_archE908ELNS1_3gpuE7ELNS1_3repE0EEENS1_30default_config_static_selectorELNS0_4arch9wavefront6targetE1EEEvSM_
	.p2align	8
	.type	_ZN7rocprim17ROCPRIM_400000_NS6detail17trampoline_kernelINS0_14default_configENS1_22reduce_config_selectorIlEEZNS1_11reduce_implILb1ES3_PlS7_lN6hipcub16HIPCUB_304000_NS6detail34convert_binary_result_type_wrapperINS9_3SumENS9_22TransformInputIteratorIb7NonZeroIsEPslEElEEEE10hipError_tPvRmT1_T2_T3_mT4_P12ihipStream_tbEUlT_E1_NS1_11comp_targetILNS1_3genE3ELNS1_11target_archE908ELNS1_3gpuE7ELNS1_3repE0EEENS1_30default_config_static_selectorELNS0_4arch9wavefront6targetE1EEEvSM_,@function
_ZN7rocprim17ROCPRIM_400000_NS6detail17trampoline_kernelINS0_14default_configENS1_22reduce_config_selectorIlEEZNS1_11reduce_implILb1ES3_PlS7_lN6hipcub16HIPCUB_304000_NS6detail34convert_binary_result_type_wrapperINS9_3SumENS9_22TransformInputIteratorIb7NonZeroIsEPslEElEEEE10hipError_tPvRmT1_T2_T3_mT4_P12ihipStream_tbEUlT_E1_NS1_11comp_targetILNS1_3genE3ELNS1_11target_archE908ELNS1_3gpuE7ELNS1_3repE0EEENS1_30default_config_static_selectorELNS0_4arch9wavefront6targetE1EEEvSM_: ; @_ZN7rocprim17ROCPRIM_400000_NS6detail17trampoline_kernelINS0_14default_configENS1_22reduce_config_selectorIlEEZNS1_11reduce_implILb1ES3_PlS7_lN6hipcub16HIPCUB_304000_NS6detail34convert_binary_result_type_wrapperINS9_3SumENS9_22TransformInputIteratorIb7NonZeroIsEPslEElEEEE10hipError_tPvRmT1_T2_T3_mT4_P12ihipStream_tbEUlT_E1_NS1_11comp_targetILNS1_3genE3ELNS1_11target_archE908ELNS1_3gpuE7ELNS1_3repE0EEENS1_30default_config_static_selectorELNS0_4arch9wavefront6targetE1EEEvSM_
; %bb.0:
	.section	.rodata,"a",@progbits
	.p2align	6, 0x0
	.amdhsa_kernel _ZN7rocprim17ROCPRIM_400000_NS6detail17trampoline_kernelINS0_14default_configENS1_22reduce_config_selectorIlEEZNS1_11reduce_implILb1ES3_PlS7_lN6hipcub16HIPCUB_304000_NS6detail34convert_binary_result_type_wrapperINS9_3SumENS9_22TransformInputIteratorIb7NonZeroIsEPslEElEEEE10hipError_tPvRmT1_T2_T3_mT4_P12ihipStream_tbEUlT_E1_NS1_11comp_targetILNS1_3genE3ELNS1_11target_archE908ELNS1_3gpuE7ELNS1_3repE0EEENS1_30default_config_static_selectorELNS0_4arch9wavefront6targetE1EEEvSM_
		.amdhsa_group_segment_fixed_size 0
		.amdhsa_private_segment_fixed_size 0
		.amdhsa_kernarg_size 48
		.amdhsa_user_sgpr_count 2
		.amdhsa_user_sgpr_dispatch_ptr 0
		.amdhsa_user_sgpr_queue_ptr 0
		.amdhsa_user_sgpr_kernarg_segment_ptr 1
		.amdhsa_user_sgpr_dispatch_id 0
		.amdhsa_user_sgpr_kernarg_preload_length 0
		.amdhsa_user_sgpr_kernarg_preload_offset 0
		.amdhsa_user_sgpr_private_segment_size 0
		.amdhsa_uses_dynamic_stack 0
		.amdhsa_enable_private_segment 0
		.amdhsa_system_sgpr_workgroup_id_x 1
		.amdhsa_system_sgpr_workgroup_id_y 0
		.amdhsa_system_sgpr_workgroup_id_z 0
		.amdhsa_system_sgpr_workgroup_info 0
		.amdhsa_system_vgpr_workitem_id 0
		.amdhsa_next_free_vgpr 1
		.amdhsa_next_free_sgpr 0
		.amdhsa_accum_offset 4
		.amdhsa_reserve_vcc 0
		.amdhsa_float_round_mode_32 0
		.amdhsa_float_round_mode_16_64 0
		.amdhsa_float_denorm_mode_32 3
		.amdhsa_float_denorm_mode_16_64 3
		.amdhsa_dx10_clamp 1
		.amdhsa_ieee_mode 1
		.amdhsa_fp16_overflow 0
		.amdhsa_tg_split 0
		.amdhsa_exception_fp_ieee_invalid_op 0
		.amdhsa_exception_fp_denorm_src 0
		.amdhsa_exception_fp_ieee_div_zero 0
		.amdhsa_exception_fp_ieee_overflow 0
		.amdhsa_exception_fp_ieee_underflow 0
		.amdhsa_exception_fp_ieee_inexact 0
		.amdhsa_exception_int_div_zero 0
	.end_amdhsa_kernel
	.section	.text._ZN7rocprim17ROCPRIM_400000_NS6detail17trampoline_kernelINS0_14default_configENS1_22reduce_config_selectorIlEEZNS1_11reduce_implILb1ES3_PlS7_lN6hipcub16HIPCUB_304000_NS6detail34convert_binary_result_type_wrapperINS9_3SumENS9_22TransformInputIteratorIb7NonZeroIsEPslEElEEEE10hipError_tPvRmT1_T2_T3_mT4_P12ihipStream_tbEUlT_E1_NS1_11comp_targetILNS1_3genE3ELNS1_11target_archE908ELNS1_3gpuE7ELNS1_3repE0EEENS1_30default_config_static_selectorELNS0_4arch9wavefront6targetE1EEEvSM_,"axG",@progbits,_ZN7rocprim17ROCPRIM_400000_NS6detail17trampoline_kernelINS0_14default_configENS1_22reduce_config_selectorIlEEZNS1_11reduce_implILb1ES3_PlS7_lN6hipcub16HIPCUB_304000_NS6detail34convert_binary_result_type_wrapperINS9_3SumENS9_22TransformInputIteratorIb7NonZeroIsEPslEElEEEE10hipError_tPvRmT1_T2_T3_mT4_P12ihipStream_tbEUlT_E1_NS1_11comp_targetILNS1_3genE3ELNS1_11target_archE908ELNS1_3gpuE7ELNS1_3repE0EEENS1_30default_config_static_selectorELNS0_4arch9wavefront6targetE1EEEvSM_,comdat
.Lfunc_end93:
	.size	_ZN7rocprim17ROCPRIM_400000_NS6detail17trampoline_kernelINS0_14default_configENS1_22reduce_config_selectorIlEEZNS1_11reduce_implILb1ES3_PlS7_lN6hipcub16HIPCUB_304000_NS6detail34convert_binary_result_type_wrapperINS9_3SumENS9_22TransformInputIteratorIb7NonZeroIsEPslEElEEEE10hipError_tPvRmT1_T2_T3_mT4_P12ihipStream_tbEUlT_E1_NS1_11comp_targetILNS1_3genE3ELNS1_11target_archE908ELNS1_3gpuE7ELNS1_3repE0EEENS1_30default_config_static_selectorELNS0_4arch9wavefront6targetE1EEEvSM_, .Lfunc_end93-_ZN7rocprim17ROCPRIM_400000_NS6detail17trampoline_kernelINS0_14default_configENS1_22reduce_config_selectorIlEEZNS1_11reduce_implILb1ES3_PlS7_lN6hipcub16HIPCUB_304000_NS6detail34convert_binary_result_type_wrapperINS9_3SumENS9_22TransformInputIteratorIb7NonZeroIsEPslEElEEEE10hipError_tPvRmT1_T2_T3_mT4_P12ihipStream_tbEUlT_E1_NS1_11comp_targetILNS1_3genE3ELNS1_11target_archE908ELNS1_3gpuE7ELNS1_3repE0EEENS1_30default_config_static_selectorELNS0_4arch9wavefront6targetE1EEEvSM_
                                        ; -- End function
	.set _ZN7rocprim17ROCPRIM_400000_NS6detail17trampoline_kernelINS0_14default_configENS1_22reduce_config_selectorIlEEZNS1_11reduce_implILb1ES3_PlS7_lN6hipcub16HIPCUB_304000_NS6detail34convert_binary_result_type_wrapperINS9_3SumENS9_22TransformInputIteratorIb7NonZeroIsEPslEElEEEE10hipError_tPvRmT1_T2_T3_mT4_P12ihipStream_tbEUlT_E1_NS1_11comp_targetILNS1_3genE3ELNS1_11target_archE908ELNS1_3gpuE7ELNS1_3repE0EEENS1_30default_config_static_selectorELNS0_4arch9wavefront6targetE1EEEvSM_.num_vgpr, 0
	.set _ZN7rocprim17ROCPRIM_400000_NS6detail17trampoline_kernelINS0_14default_configENS1_22reduce_config_selectorIlEEZNS1_11reduce_implILb1ES3_PlS7_lN6hipcub16HIPCUB_304000_NS6detail34convert_binary_result_type_wrapperINS9_3SumENS9_22TransformInputIteratorIb7NonZeroIsEPslEElEEEE10hipError_tPvRmT1_T2_T3_mT4_P12ihipStream_tbEUlT_E1_NS1_11comp_targetILNS1_3genE3ELNS1_11target_archE908ELNS1_3gpuE7ELNS1_3repE0EEENS1_30default_config_static_selectorELNS0_4arch9wavefront6targetE1EEEvSM_.num_agpr, 0
	.set _ZN7rocprim17ROCPRIM_400000_NS6detail17trampoline_kernelINS0_14default_configENS1_22reduce_config_selectorIlEEZNS1_11reduce_implILb1ES3_PlS7_lN6hipcub16HIPCUB_304000_NS6detail34convert_binary_result_type_wrapperINS9_3SumENS9_22TransformInputIteratorIb7NonZeroIsEPslEElEEEE10hipError_tPvRmT1_T2_T3_mT4_P12ihipStream_tbEUlT_E1_NS1_11comp_targetILNS1_3genE3ELNS1_11target_archE908ELNS1_3gpuE7ELNS1_3repE0EEENS1_30default_config_static_selectorELNS0_4arch9wavefront6targetE1EEEvSM_.numbered_sgpr, 0
	.set _ZN7rocprim17ROCPRIM_400000_NS6detail17trampoline_kernelINS0_14default_configENS1_22reduce_config_selectorIlEEZNS1_11reduce_implILb1ES3_PlS7_lN6hipcub16HIPCUB_304000_NS6detail34convert_binary_result_type_wrapperINS9_3SumENS9_22TransformInputIteratorIb7NonZeroIsEPslEElEEEE10hipError_tPvRmT1_T2_T3_mT4_P12ihipStream_tbEUlT_E1_NS1_11comp_targetILNS1_3genE3ELNS1_11target_archE908ELNS1_3gpuE7ELNS1_3repE0EEENS1_30default_config_static_selectorELNS0_4arch9wavefront6targetE1EEEvSM_.num_named_barrier, 0
	.set _ZN7rocprim17ROCPRIM_400000_NS6detail17trampoline_kernelINS0_14default_configENS1_22reduce_config_selectorIlEEZNS1_11reduce_implILb1ES3_PlS7_lN6hipcub16HIPCUB_304000_NS6detail34convert_binary_result_type_wrapperINS9_3SumENS9_22TransformInputIteratorIb7NonZeroIsEPslEElEEEE10hipError_tPvRmT1_T2_T3_mT4_P12ihipStream_tbEUlT_E1_NS1_11comp_targetILNS1_3genE3ELNS1_11target_archE908ELNS1_3gpuE7ELNS1_3repE0EEENS1_30default_config_static_selectorELNS0_4arch9wavefront6targetE1EEEvSM_.private_seg_size, 0
	.set _ZN7rocprim17ROCPRIM_400000_NS6detail17trampoline_kernelINS0_14default_configENS1_22reduce_config_selectorIlEEZNS1_11reduce_implILb1ES3_PlS7_lN6hipcub16HIPCUB_304000_NS6detail34convert_binary_result_type_wrapperINS9_3SumENS9_22TransformInputIteratorIb7NonZeroIsEPslEElEEEE10hipError_tPvRmT1_T2_T3_mT4_P12ihipStream_tbEUlT_E1_NS1_11comp_targetILNS1_3genE3ELNS1_11target_archE908ELNS1_3gpuE7ELNS1_3repE0EEENS1_30default_config_static_selectorELNS0_4arch9wavefront6targetE1EEEvSM_.uses_vcc, 0
	.set _ZN7rocprim17ROCPRIM_400000_NS6detail17trampoline_kernelINS0_14default_configENS1_22reduce_config_selectorIlEEZNS1_11reduce_implILb1ES3_PlS7_lN6hipcub16HIPCUB_304000_NS6detail34convert_binary_result_type_wrapperINS9_3SumENS9_22TransformInputIteratorIb7NonZeroIsEPslEElEEEE10hipError_tPvRmT1_T2_T3_mT4_P12ihipStream_tbEUlT_E1_NS1_11comp_targetILNS1_3genE3ELNS1_11target_archE908ELNS1_3gpuE7ELNS1_3repE0EEENS1_30default_config_static_selectorELNS0_4arch9wavefront6targetE1EEEvSM_.uses_flat_scratch, 0
	.set _ZN7rocprim17ROCPRIM_400000_NS6detail17trampoline_kernelINS0_14default_configENS1_22reduce_config_selectorIlEEZNS1_11reduce_implILb1ES3_PlS7_lN6hipcub16HIPCUB_304000_NS6detail34convert_binary_result_type_wrapperINS9_3SumENS9_22TransformInputIteratorIb7NonZeroIsEPslEElEEEE10hipError_tPvRmT1_T2_T3_mT4_P12ihipStream_tbEUlT_E1_NS1_11comp_targetILNS1_3genE3ELNS1_11target_archE908ELNS1_3gpuE7ELNS1_3repE0EEENS1_30default_config_static_selectorELNS0_4arch9wavefront6targetE1EEEvSM_.has_dyn_sized_stack, 0
	.set _ZN7rocprim17ROCPRIM_400000_NS6detail17trampoline_kernelINS0_14default_configENS1_22reduce_config_selectorIlEEZNS1_11reduce_implILb1ES3_PlS7_lN6hipcub16HIPCUB_304000_NS6detail34convert_binary_result_type_wrapperINS9_3SumENS9_22TransformInputIteratorIb7NonZeroIsEPslEElEEEE10hipError_tPvRmT1_T2_T3_mT4_P12ihipStream_tbEUlT_E1_NS1_11comp_targetILNS1_3genE3ELNS1_11target_archE908ELNS1_3gpuE7ELNS1_3repE0EEENS1_30default_config_static_selectorELNS0_4arch9wavefront6targetE1EEEvSM_.has_recursion, 0
	.set _ZN7rocprim17ROCPRIM_400000_NS6detail17trampoline_kernelINS0_14default_configENS1_22reduce_config_selectorIlEEZNS1_11reduce_implILb1ES3_PlS7_lN6hipcub16HIPCUB_304000_NS6detail34convert_binary_result_type_wrapperINS9_3SumENS9_22TransformInputIteratorIb7NonZeroIsEPslEElEEEE10hipError_tPvRmT1_T2_T3_mT4_P12ihipStream_tbEUlT_E1_NS1_11comp_targetILNS1_3genE3ELNS1_11target_archE908ELNS1_3gpuE7ELNS1_3repE0EEENS1_30default_config_static_selectorELNS0_4arch9wavefront6targetE1EEEvSM_.has_indirect_call, 0
	.section	.AMDGPU.csdata,"",@progbits
; Kernel info:
; codeLenInByte = 0
; TotalNumSgprs: 6
; NumVgprs: 0
; NumAgprs: 0
; TotalNumVgprs: 0
; ScratchSize: 0
; MemoryBound: 0
; FloatMode: 240
; IeeeMode: 1
; LDSByteSize: 0 bytes/workgroup (compile time only)
; SGPRBlocks: 0
; VGPRBlocks: 0
; NumSGPRsForWavesPerEU: 6
; NumVGPRsForWavesPerEU: 1
; AccumOffset: 4
; Occupancy: 8
; WaveLimiterHint : 0
; COMPUTE_PGM_RSRC2:SCRATCH_EN: 0
; COMPUTE_PGM_RSRC2:USER_SGPR: 2
; COMPUTE_PGM_RSRC2:TRAP_HANDLER: 0
; COMPUTE_PGM_RSRC2:TGID_X_EN: 1
; COMPUTE_PGM_RSRC2:TGID_Y_EN: 0
; COMPUTE_PGM_RSRC2:TGID_Z_EN: 0
; COMPUTE_PGM_RSRC2:TIDIG_COMP_CNT: 0
; COMPUTE_PGM_RSRC3_GFX90A:ACCUM_OFFSET: 0
; COMPUTE_PGM_RSRC3_GFX90A:TG_SPLIT: 0
	.section	.text._ZN7rocprim17ROCPRIM_400000_NS6detail17trampoline_kernelINS0_14default_configENS1_22reduce_config_selectorIlEEZNS1_11reduce_implILb1ES3_PlS7_lN6hipcub16HIPCUB_304000_NS6detail34convert_binary_result_type_wrapperINS9_3SumENS9_22TransformInputIteratorIb7NonZeroIsEPslEElEEEE10hipError_tPvRmT1_T2_T3_mT4_P12ihipStream_tbEUlT_E1_NS1_11comp_targetILNS1_3genE2ELNS1_11target_archE906ELNS1_3gpuE6ELNS1_3repE0EEENS1_30default_config_static_selectorELNS0_4arch9wavefront6targetE1EEEvSM_,"axG",@progbits,_ZN7rocprim17ROCPRIM_400000_NS6detail17trampoline_kernelINS0_14default_configENS1_22reduce_config_selectorIlEEZNS1_11reduce_implILb1ES3_PlS7_lN6hipcub16HIPCUB_304000_NS6detail34convert_binary_result_type_wrapperINS9_3SumENS9_22TransformInputIteratorIb7NonZeroIsEPslEElEEEE10hipError_tPvRmT1_T2_T3_mT4_P12ihipStream_tbEUlT_E1_NS1_11comp_targetILNS1_3genE2ELNS1_11target_archE906ELNS1_3gpuE6ELNS1_3repE0EEENS1_30default_config_static_selectorELNS0_4arch9wavefront6targetE1EEEvSM_,comdat
	.protected	_ZN7rocprim17ROCPRIM_400000_NS6detail17trampoline_kernelINS0_14default_configENS1_22reduce_config_selectorIlEEZNS1_11reduce_implILb1ES3_PlS7_lN6hipcub16HIPCUB_304000_NS6detail34convert_binary_result_type_wrapperINS9_3SumENS9_22TransformInputIteratorIb7NonZeroIsEPslEElEEEE10hipError_tPvRmT1_T2_T3_mT4_P12ihipStream_tbEUlT_E1_NS1_11comp_targetILNS1_3genE2ELNS1_11target_archE906ELNS1_3gpuE6ELNS1_3repE0EEENS1_30default_config_static_selectorELNS0_4arch9wavefront6targetE1EEEvSM_ ; -- Begin function _ZN7rocprim17ROCPRIM_400000_NS6detail17trampoline_kernelINS0_14default_configENS1_22reduce_config_selectorIlEEZNS1_11reduce_implILb1ES3_PlS7_lN6hipcub16HIPCUB_304000_NS6detail34convert_binary_result_type_wrapperINS9_3SumENS9_22TransformInputIteratorIb7NonZeroIsEPslEElEEEE10hipError_tPvRmT1_T2_T3_mT4_P12ihipStream_tbEUlT_E1_NS1_11comp_targetILNS1_3genE2ELNS1_11target_archE906ELNS1_3gpuE6ELNS1_3repE0EEENS1_30default_config_static_selectorELNS0_4arch9wavefront6targetE1EEEvSM_
	.globl	_ZN7rocprim17ROCPRIM_400000_NS6detail17trampoline_kernelINS0_14default_configENS1_22reduce_config_selectorIlEEZNS1_11reduce_implILb1ES3_PlS7_lN6hipcub16HIPCUB_304000_NS6detail34convert_binary_result_type_wrapperINS9_3SumENS9_22TransformInputIteratorIb7NonZeroIsEPslEElEEEE10hipError_tPvRmT1_T2_T3_mT4_P12ihipStream_tbEUlT_E1_NS1_11comp_targetILNS1_3genE2ELNS1_11target_archE906ELNS1_3gpuE6ELNS1_3repE0EEENS1_30default_config_static_selectorELNS0_4arch9wavefront6targetE1EEEvSM_
	.p2align	8
	.type	_ZN7rocprim17ROCPRIM_400000_NS6detail17trampoline_kernelINS0_14default_configENS1_22reduce_config_selectorIlEEZNS1_11reduce_implILb1ES3_PlS7_lN6hipcub16HIPCUB_304000_NS6detail34convert_binary_result_type_wrapperINS9_3SumENS9_22TransformInputIteratorIb7NonZeroIsEPslEElEEEE10hipError_tPvRmT1_T2_T3_mT4_P12ihipStream_tbEUlT_E1_NS1_11comp_targetILNS1_3genE2ELNS1_11target_archE906ELNS1_3gpuE6ELNS1_3repE0EEENS1_30default_config_static_selectorELNS0_4arch9wavefront6targetE1EEEvSM_,@function
_ZN7rocprim17ROCPRIM_400000_NS6detail17trampoline_kernelINS0_14default_configENS1_22reduce_config_selectorIlEEZNS1_11reduce_implILb1ES3_PlS7_lN6hipcub16HIPCUB_304000_NS6detail34convert_binary_result_type_wrapperINS9_3SumENS9_22TransformInputIteratorIb7NonZeroIsEPslEElEEEE10hipError_tPvRmT1_T2_T3_mT4_P12ihipStream_tbEUlT_E1_NS1_11comp_targetILNS1_3genE2ELNS1_11target_archE906ELNS1_3gpuE6ELNS1_3repE0EEENS1_30default_config_static_selectorELNS0_4arch9wavefront6targetE1EEEvSM_: ; @_ZN7rocprim17ROCPRIM_400000_NS6detail17trampoline_kernelINS0_14default_configENS1_22reduce_config_selectorIlEEZNS1_11reduce_implILb1ES3_PlS7_lN6hipcub16HIPCUB_304000_NS6detail34convert_binary_result_type_wrapperINS9_3SumENS9_22TransformInputIteratorIb7NonZeroIsEPslEElEEEE10hipError_tPvRmT1_T2_T3_mT4_P12ihipStream_tbEUlT_E1_NS1_11comp_targetILNS1_3genE2ELNS1_11target_archE906ELNS1_3gpuE6ELNS1_3repE0EEENS1_30default_config_static_selectorELNS0_4arch9wavefront6targetE1EEEvSM_
; %bb.0:
	.section	.rodata,"a",@progbits
	.p2align	6, 0x0
	.amdhsa_kernel _ZN7rocprim17ROCPRIM_400000_NS6detail17trampoline_kernelINS0_14default_configENS1_22reduce_config_selectorIlEEZNS1_11reduce_implILb1ES3_PlS7_lN6hipcub16HIPCUB_304000_NS6detail34convert_binary_result_type_wrapperINS9_3SumENS9_22TransformInputIteratorIb7NonZeroIsEPslEElEEEE10hipError_tPvRmT1_T2_T3_mT4_P12ihipStream_tbEUlT_E1_NS1_11comp_targetILNS1_3genE2ELNS1_11target_archE906ELNS1_3gpuE6ELNS1_3repE0EEENS1_30default_config_static_selectorELNS0_4arch9wavefront6targetE1EEEvSM_
		.amdhsa_group_segment_fixed_size 0
		.amdhsa_private_segment_fixed_size 0
		.amdhsa_kernarg_size 48
		.amdhsa_user_sgpr_count 2
		.amdhsa_user_sgpr_dispatch_ptr 0
		.amdhsa_user_sgpr_queue_ptr 0
		.amdhsa_user_sgpr_kernarg_segment_ptr 1
		.amdhsa_user_sgpr_dispatch_id 0
		.amdhsa_user_sgpr_kernarg_preload_length 0
		.amdhsa_user_sgpr_kernarg_preload_offset 0
		.amdhsa_user_sgpr_private_segment_size 0
		.amdhsa_uses_dynamic_stack 0
		.amdhsa_enable_private_segment 0
		.amdhsa_system_sgpr_workgroup_id_x 1
		.amdhsa_system_sgpr_workgroup_id_y 0
		.amdhsa_system_sgpr_workgroup_id_z 0
		.amdhsa_system_sgpr_workgroup_info 0
		.amdhsa_system_vgpr_workitem_id 0
		.amdhsa_next_free_vgpr 1
		.amdhsa_next_free_sgpr 0
		.amdhsa_accum_offset 4
		.amdhsa_reserve_vcc 0
		.amdhsa_float_round_mode_32 0
		.amdhsa_float_round_mode_16_64 0
		.amdhsa_float_denorm_mode_32 3
		.amdhsa_float_denorm_mode_16_64 3
		.amdhsa_dx10_clamp 1
		.amdhsa_ieee_mode 1
		.amdhsa_fp16_overflow 0
		.amdhsa_tg_split 0
		.amdhsa_exception_fp_ieee_invalid_op 0
		.amdhsa_exception_fp_denorm_src 0
		.amdhsa_exception_fp_ieee_div_zero 0
		.amdhsa_exception_fp_ieee_overflow 0
		.amdhsa_exception_fp_ieee_underflow 0
		.amdhsa_exception_fp_ieee_inexact 0
		.amdhsa_exception_int_div_zero 0
	.end_amdhsa_kernel
	.section	.text._ZN7rocprim17ROCPRIM_400000_NS6detail17trampoline_kernelINS0_14default_configENS1_22reduce_config_selectorIlEEZNS1_11reduce_implILb1ES3_PlS7_lN6hipcub16HIPCUB_304000_NS6detail34convert_binary_result_type_wrapperINS9_3SumENS9_22TransformInputIteratorIb7NonZeroIsEPslEElEEEE10hipError_tPvRmT1_T2_T3_mT4_P12ihipStream_tbEUlT_E1_NS1_11comp_targetILNS1_3genE2ELNS1_11target_archE906ELNS1_3gpuE6ELNS1_3repE0EEENS1_30default_config_static_selectorELNS0_4arch9wavefront6targetE1EEEvSM_,"axG",@progbits,_ZN7rocprim17ROCPRIM_400000_NS6detail17trampoline_kernelINS0_14default_configENS1_22reduce_config_selectorIlEEZNS1_11reduce_implILb1ES3_PlS7_lN6hipcub16HIPCUB_304000_NS6detail34convert_binary_result_type_wrapperINS9_3SumENS9_22TransformInputIteratorIb7NonZeroIsEPslEElEEEE10hipError_tPvRmT1_T2_T3_mT4_P12ihipStream_tbEUlT_E1_NS1_11comp_targetILNS1_3genE2ELNS1_11target_archE906ELNS1_3gpuE6ELNS1_3repE0EEENS1_30default_config_static_selectorELNS0_4arch9wavefront6targetE1EEEvSM_,comdat
.Lfunc_end94:
	.size	_ZN7rocprim17ROCPRIM_400000_NS6detail17trampoline_kernelINS0_14default_configENS1_22reduce_config_selectorIlEEZNS1_11reduce_implILb1ES3_PlS7_lN6hipcub16HIPCUB_304000_NS6detail34convert_binary_result_type_wrapperINS9_3SumENS9_22TransformInputIteratorIb7NonZeroIsEPslEElEEEE10hipError_tPvRmT1_T2_T3_mT4_P12ihipStream_tbEUlT_E1_NS1_11comp_targetILNS1_3genE2ELNS1_11target_archE906ELNS1_3gpuE6ELNS1_3repE0EEENS1_30default_config_static_selectorELNS0_4arch9wavefront6targetE1EEEvSM_, .Lfunc_end94-_ZN7rocprim17ROCPRIM_400000_NS6detail17trampoline_kernelINS0_14default_configENS1_22reduce_config_selectorIlEEZNS1_11reduce_implILb1ES3_PlS7_lN6hipcub16HIPCUB_304000_NS6detail34convert_binary_result_type_wrapperINS9_3SumENS9_22TransformInputIteratorIb7NonZeroIsEPslEElEEEE10hipError_tPvRmT1_T2_T3_mT4_P12ihipStream_tbEUlT_E1_NS1_11comp_targetILNS1_3genE2ELNS1_11target_archE906ELNS1_3gpuE6ELNS1_3repE0EEENS1_30default_config_static_selectorELNS0_4arch9wavefront6targetE1EEEvSM_
                                        ; -- End function
	.set _ZN7rocprim17ROCPRIM_400000_NS6detail17trampoline_kernelINS0_14default_configENS1_22reduce_config_selectorIlEEZNS1_11reduce_implILb1ES3_PlS7_lN6hipcub16HIPCUB_304000_NS6detail34convert_binary_result_type_wrapperINS9_3SumENS9_22TransformInputIteratorIb7NonZeroIsEPslEElEEEE10hipError_tPvRmT1_T2_T3_mT4_P12ihipStream_tbEUlT_E1_NS1_11comp_targetILNS1_3genE2ELNS1_11target_archE906ELNS1_3gpuE6ELNS1_3repE0EEENS1_30default_config_static_selectorELNS0_4arch9wavefront6targetE1EEEvSM_.num_vgpr, 0
	.set _ZN7rocprim17ROCPRIM_400000_NS6detail17trampoline_kernelINS0_14default_configENS1_22reduce_config_selectorIlEEZNS1_11reduce_implILb1ES3_PlS7_lN6hipcub16HIPCUB_304000_NS6detail34convert_binary_result_type_wrapperINS9_3SumENS9_22TransformInputIteratorIb7NonZeroIsEPslEElEEEE10hipError_tPvRmT1_T2_T3_mT4_P12ihipStream_tbEUlT_E1_NS1_11comp_targetILNS1_3genE2ELNS1_11target_archE906ELNS1_3gpuE6ELNS1_3repE0EEENS1_30default_config_static_selectorELNS0_4arch9wavefront6targetE1EEEvSM_.num_agpr, 0
	.set _ZN7rocprim17ROCPRIM_400000_NS6detail17trampoline_kernelINS0_14default_configENS1_22reduce_config_selectorIlEEZNS1_11reduce_implILb1ES3_PlS7_lN6hipcub16HIPCUB_304000_NS6detail34convert_binary_result_type_wrapperINS9_3SumENS9_22TransformInputIteratorIb7NonZeroIsEPslEElEEEE10hipError_tPvRmT1_T2_T3_mT4_P12ihipStream_tbEUlT_E1_NS1_11comp_targetILNS1_3genE2ELNS1_11target_archE906ELNS1_3gpuE6ELNS1_3repE0EEENS1_30default_config_static_selectorELNS0_4arch9wavefront6targetE1EEEvSM_.numbered_sgpr, 0
	.set _ZN7rocprim17ROCPRIM_400000_NS6detail17trampoline_kernelINS0_14default_configENS1_22reduce_config_selectorIlEEZNS1_11reduce_implILb1ES3_PlS7_lN6hipcub16HIPCUB_304000_NS6detail34convert_binary_result_type_wrapperINS9_3SumENS9_22TransformInputIteratorIb7NonZeroIsEPslEElEEEE10hipError_tPvRmT1_T2_T3_mT4_P12ihipStream_tbEUlT_E1_NS1_11comp_targetILNS1_3genE2ELNS1_11target_archE906ELNS1_3gpuE6ELNS1_3repE0EEENS1_30default_config_static_selectorELNS0_4arch9wavefront6targetE1EEEvSM_.num_named_barrier, 0
	.set _ZN7rocprim17ROCPRIM_400000_NS6detail17trampoline_kernelINS0_14default_configENS1_22reduce_config_selectorIlEEZNS1_11reduce_implILb1ES3_PlS7_lN6hipcub16HIPCUB_304000_NS6detail34convert_binary_result_type_wrapperINS9_3SumENS9_22TransformInputIteratorIb7NonZeroIsEPslEElEEEE10hipError_tPvRmT1_T2_T3_mT4_P12ihipStream_tbEUlT_E1_NS1_11comp_targetILNS1_3genE2ELNS1_11target_archE906ELNS1_3gpuE6ELNS1_3repE0EEENS1_30default_config_static_selectorELNS0_4arch9wavefront6targetE1EEEvSM_.private_seg_size, 0
	.set _ZN7rocprim17ROCPRIM_400000_NS6detail17trampoline_kernelINS0_14default_configENS1_22reduce_config_selectorIlEEZNS1_11reduce_implILb1ES3_PlS7_lN6hipcub16HIPCUB_304000_NS6detail34convert_binary_result_type_wrapperINS9_3SumENS9_22TransformInputIteratorIb7NonZeroIsEPslEElEEEE10hipError_tPvRmT1_T2_T3_mT4_P12ihipStream_tbEUlT_E1_NS1_11comp_targetILNS1_3genE2ELNS1_11target_archE906ELNS1_3gpuE6ELNS1_3repE0EEENS1_30default_config_static_selectorELNS0_4arch9wavefront6targetE1EEEvSM_.uses_vcc, 0
	.set _ZN7rocprim17ROCPRIM_400000_NS6detail17trampoline_kernelINS0_14default_configENS1_22reduce_config_selectorIlEEZNS1_11reduce_implILb1ES3_PlS7_lN6hipcub16HIPCUB_304000_NS6detail34convert_binary_result_type_wrapperINS9_3SumENS9_22TransformInputIteratorIb7NonZeroIsEPslEElEEEE10hipError_tPvRmT1_T2_T3_mT4_P12ihipStream_tbEUlT_E1_NS1_11comp_targetILNS1_3genE2ELNS1_11target_archE906ELNS1_3gpuE6ELNS1_3repE0EEENS1_30default_config_static_selectorELNS0_4arch9wavefront6targetE1EEEvSM_.uses_flat_scratch, 0
	.set _ZN7rocprim17ROCPRIM_400000_NS6detail17trampoline_kernelINS0_14default_configENS1_22reduce_config_selectorIlEEZNS1_11reduce_implILb1ES3_PlS7_lN6hipcub16HIPCUB_304000_NS6detail34convert_binary_result_type_wrapperINS9_3SumENS9_22TransformInputIteratorIb7NonZeroIsEPslEElEEEE10hipError_tPvRmT1_T2_T3_mT4_P12ihipStream_tbEUlT_E1_NS1_11comp_targetILNS1_3genE2ELNS1_11target_archE906ELNS1_3gpuE6ELNS1_3repE0EEENS1_30default_config_static_selectorELNS0_4arch9wavefront6targetE1EEEvSM_.has_dyn_sized_stack, 0
	.set _ZN7rocprim17ROCPRIM_400000_NS6detail17trampoline_kernelINS0_14default_configENS1_22reduce_config_selectorIlEEZNS1_11reduce_implILb1ES3_PlS7_lN6hipcub16HIPCUB_304000_NS6detail34convert_binary_result_type_wrapperINS9_3SumENS9_22TransformInputIteratorIb7NonZeroIsEPslEElEEEE10hipError_tPvRmT1_T2_T3_mT4_P12ihipStream_tbEUlT_E1_NS1_11comp_targetILNS1_3genE2ELNS1_11target_archE906ELNS1_3gpuE6ELNS1_3repE0EEENS1_30default_config_static_selectorELNS0_4arch9wavefront6targetE1EEEvSM_.has_recursion, 0
	.set _ZN7rocprim17ROCPRIM_400000_NS6detail17trampoline_kernelINS0_14default_configENS1_22reduce_config_selectorIlEEZNS1_11reduce_implILb1ES3_PlS7_lN6hipcub16HIPCUB_304000_NS6detail34convert_binary_result_type_wrapperINS9_3SumENS9_22TransformInputIteratorIb7NonZeroIsEPslEElEEEE10hipError_tPvRmT1_T2_T3_mT4_P12ihipStream_tbEUlT_E1_NS1_11comp_targetILNS1_3genE2ELNS1_11target_archE906ELNS1_3gpuE6ELNS1_3repE0EEENS1_30default_config_static_selectorELNS0_4arch9wavefront6targetE1EEEvSM_.has_indirect_call, 0
	.section	.AMDGPU.csdata,"",@progbits
; Kernel info:
; codeLenInByte = 0
; TotalNumSgprs: 6
; NumVgprs: 0
; NumAgprs: 0
; TotalNumVgprs: 0
; ScratchSize: 0
; MemoryBound: 0
; FloatMode: 240
; IeeeMode: 1
; LDSByteSize: 0 bytes/workgroup (compile time only)
; SGPRBlocks: 0
; VGPRBlocks: 0
; NumSGPRsForWavesPerEU: 6
; NumVGPRsForWavesPerEU: 1
; AccumOffset: 4
; Occupancy: 8
; WaveLimiterHint : 0
; COMPUTE_PGM_RSRC2:SCRATCH_EN: 0
; COMPUTE_PGM_RSRC2:USER_SGPR: 2
; COMPUTE_PGM_RSRC2:TRAP_HANDLER: 0
; COMPUTE_PGM_RSRC2:TGID_X_EN: 1
; COMPUTE_PGM_RSRC2:TGID_Y_EN: 0
; COMPUTE_PGM_RSRC2:TGID_Z_EN: 0
; COMPUTE_PGM_RSRC2:TIDIG_COMP_CNT: 0
; COMPUTE_PGM_RSRC3_GFX90A:ACCUM_OFFSET: 0
; COMPUTE_PGM_RSRC3_GFX90A:TG_SPLIT: 0
	.section	.text._ZN7rocprim17ROCPRIM_400000_NS6detail17trampoline_kernelINS0_14default_configENS1_22reduce_config_selectorIlEEZNS1_11reduce_implILb1ES3_PlS7_lN6hipcub16HIPCUB_304000_NS6detail34convert_binary_result_type_wrapperINS9_3SumENS9_22TransformInputIteratorIb7NonZeroIsEPslEElEEEE10hipError_tPvRmT1_T2_T3_mT4_P12ihipStream_tbEUlT_E1_NS1_11comp_targetILNS1_3genE10ELNS1_11target_archE1201ELNS1_3gpuE5ELNS1_3repE0EEENS1_30default_config_static_selectorELNS0_4arch9wavefront6targetE1EEEvSM_,"axG",@progbits,_ZN7rocprim17ROCPRIM_400000_NS6detail17trampoline_kernelINS0_14default_configENS1_22reduce_config_selectorIlEEZNS1_11reduce_implILb1ES3_PlS7_lN6hipcub16HIPCUB_304000_NS6detail34convert_binary_result_type_wrapperINS9_3SumENS9_22TransformInputIteratorIb7NonZeroIsEPslEElEEEE10hipError_tPvRmT1_T2_T3_mT4_P12ihipStream_tbEUlT_E1_NS1_11comp_targetILNS1_3genE10ELNS1_11target_archE1201ELNS1_3gpuE5ELNS1_3repE0EEENS1_30default_config_static_selectorELNS0_4arch9wavefront6targetE1EEEvSM_,comdat
	.protected	_ZN7rocprim17ROCPRIM_400000_NS6detail17trampoline_kernelINS0_14default_configENS1_22reduce_config_selectorIlEEZNS1_11reduce_implILb1ES3_PlS7_lN6hipcub16HIPCUB_304000_NS6detail34convert_binary_result_type_wrapperINS9_3SumENS9_22TransformInputIteratorIb7NonZeroIsEPslEElEEEE10hipError_tPvRmT1_T2_T3_mT4_P12ihipStream_tbEUlT_E1_NS1_11comp_targetILNS1_3genE10ELNS1_11target_archE1201ELNS1_3gpuE5ELNS1_3repE0EEENS1_30default_config_static_selectorELNS0_4arch9wavefront6targetE1EEEvSM_ ; -- Begin function _ZN7rocprim17ROCPRIM_400000_NS6detail17trampoline_kernelINS0_14default_configENS1_22reduce_config_selectorIlEEZNS1_11reduce_implILb1ES3_PlS7_lN6hipcub16HIPCUB_304000_NS6detail34convert_binary_result_type_wrapperINS9_3SumENS9_22TransformInputIteratorIb7NonZeroIsEPslEElEEEE10hipError_tPvRmT1_T2_T3_mT4_P12ihipStream_tbEUlT_E1_NS1_11comp_targetILNS1_3genE10ELNS1_11target_archE1201ELNS1_3gpuE5ELNS1_3repE0EEENS1_30default_config_static_selectorELNS0_4arch9wavefront6targetE1EEEvSM_
	.globl	_ZN7rocprim17ROCPRIM_400000_NS6detail17trampoline_kernelINS0_14default_configENS1_22reduce_config_selectorIlEEZNS1_11reduce_implILb1ES3_PlS7_lN6hipcub16HIPCUB_304000_NS6detail34convert_binary_result_type_wrapperINS9_3SumENS9_22TransformInputIteratorIb7NonZeroIsEPslEElEEEE10hipError_tPvRmT1_T2_T3_mT4_P12ihipStream_tbEUlT_E1_NS1_11comp_targetILNS1_3genE10ELNS1_11target_archE1201ELNS1_3gpuE5ELNS1_3repE0EEENS1_30default_config_static_selectorELNS0_4arch9wavefront6targetE1EEEvSM_
	.p2align	8
	.type	_ZN7rocprim17ROCPRIM_400000_NS6detail17trampoline_kernelINS0_14default_configENS1_22reduce_config_selectorIlEEZNS1_11reduce_implILb1ES3_PlS7_lN6hipcub16HIPCUB_304000_NS6detail34convert_binary_result_type_wrapperINS9_3SumENS9_22TransformInputIteratorIb7NonZeroIsEPslEElEEEE10hipError_tPvRmT1_T2_T3_mT4_P12ihipStream_tbEUlT_E1_NS1_11comp_targetILNS1_3genE10ELNS1_11target_archE1201ELNS1_3gpuE5ELNS1_3repE0EEENS1_30default_config_static_selectorELNS0_4arch9wavefront6targetE1EEEvSM_,@function
_ZN7rocprim17ROCPRIM_400000_NS6detail17trampoline_kernelINS0_14default_configENS1_22reduce_config_selectorIlEEZNS1_11reduce_implILb1ES3_PlS7_lN6hipcub16HIPCUB_304000_NS6detail34convert_binary_result_type_wrapperINS9_3SumENS9_22TransformInputIteratorIb7NonZeroIsEPslEElEEEE10hipError_tPvRmT1_T2_T3_mT4_P12ihipStream_tbEUlT_E1_NS1_11comp_targetILNS1_3genE10ELNS1_11target_archE1201ELNS1_3gpuE5ELNS1_3repE0EEENS1_30default_config_static_selectorELNS0_4arch9wavefront6targetE1EEEvSM_: ; @_ZN7rocprim17ROCPRIM_400000_NS6detail17trampoline_kernelINS0_14default_configENS1_22reduce_config_selectorIlEEZNS1_11reduce_implILb1ES3_PlS7_lN6hipcub16HIPCUB_304000_NS6detail34convert_binary_result_type_wrapperINS9_3SumENS9_22TransformInputIteratorIb7NonZeroIsEPslEElEEEE10hipError_tPvRmT1_T2_T3_mT4_P12ihipStream_tbEUlT_E1_NS1_11comp_targetILNS1_3genE10ELNS1_11target_archE1201ELNS1_3gpuE5ELNS1_3repE0EEENS1_30default_config_static_selectorELNS0_4arch9wavefront6targetE1EEEvSM_
; %bb.0:
	.section	.rodata,"a",@progbits
	.p2align	6, 0x0
	.amdhsa_kernel _ZN7rocprim17ROCPRIM_400000_NS6detail17trampoline_kernelINS0_14default_configENS1_22reduce_config_selectorIlEEZNS1_11reduce_implILb1ES3_PlS7_lN6hipcub16HIPCUB_304000_NS6detail34convert_binary_result_type_wrapperINS9_3SumENS9_22TransformInputIteratorIb7NonZeroIsEPslEElEEEE10hipError_tPvRmT1_T2_T3_mT4_P12ihipStream_tbEUlT_E1_NS1_11comp_targetILNS1_3genE10ELNS1_11target_archE1201ELNS1_3gpuE5ELNS1_3repE0EEENS1_30default_config_static_selectorELNS0_4arch9wavefront6targetE1EEEvSM_
		.amdhsa_group_segment_fixed_size 0
		.amdhsa_private_segment_fixed_size 0
		.amdhsa_kernarg_size 48
		.amdhsa_user_sgpr_count 2
		.amdhsa_user_sgpr_dispatch_ptr 0
		.amdhsa_user_sgpr_queue_ptr 0
		.amdhsa_user_sgpr_kernarg_segment_ptr 1
		.amdhsa_user_sgpr_dispatch_id 0
		.amdhsa_user_sgpr_kernarg_preload_length 0
		.amdhsa_user_sgpr_kernarg_preload_offset 0
		.amdhsa_user_sgpr_private_segment_size 0
		.amdhsa_uses_dynamic_stack 0
		.amdhsa_enable_private_segment 0
		.amdhsa_system_sgpr_workgroup_id_x 1
		.amdhsa_system_sgpr_workgroup_id_y 0
		.amdhsa_system_sgpr_workgroup_id_z 0
		.amdhsa_system_sgpr_workgroup_info 0
		.amdhsa_system_vgpr_workitem_id 0
		.amdhsa_next_free_vgpr 1
		.amdhsa_next_free_sgpr 0
		.amdhsa_accum_offset 4
		.amdhsa_reserve_vcc 0
		.amdhsa_float_round_mode_32 0
		.amdhsa_float_round_mode_16_64 0
		.amdhsa_float_denorm_mode_32 3
		.amdhsa_float_denorm_mode_16_64 3
		.amdhsa_dx10_clamp 1
		.amdhsa_ieee_mode 1
		.amdhsa_fp16_overflow 0
		.amdhsa_tg_split 0
		.amdhsa_exception_fp_ieee_invalid_op 0
		.amdhsa_exception_fp_denorm_src 0
		.amdhsa_exception_fp_ieee_div_zero 0
		.amdhsa_exception_fp_ieee_overflow 0
		.amdhsa_exception_fp_ieee_underflow 0
		.amdhsa_exception_fp_ieee_inexact 0
		.amdhsa_exception_int_div_zero 0
	.end_amdhsa_kernel
	.section	.text._ZN7rocprim17ROCPRIM_400000_NS6detail17trampoline_kernelINS0_14default_configENS1_22reduce_config_selectorIlEEZNS1_11reduce_implILb1ES3_PlS7_lN6hipcub16HIPCUB_304000_NS6detail34convert_binary_result_type_wrapperINS9_3SumENS9_22TransformInputIteratorIb7NonZeroIsEPslEElEEEE10hipError_tPvRmT1_T2_T3_mT4_P12ihipStream_tbEUlT_E1_NS1_11comp_targetILNS1_3genE10ELNS1_11target_archE1201ELNS1_3gpuE5ELNS1_3repE0EEENS1_30default_config_static_selectorELNS0_4arch9wavefront6targetE1EEEvSM_,"axG",@progbits,_ZN7rocprim17ROCPRIM_400000_NS6detail17trampoline_kernelINS0_14default_configENS1_22reduce_config_selectorIlEEZNS1_11reduce_implILb1ES3_PlS7_lN6hipcub16HIPCUB_304000_NS6detail34convert_binary_result_type_wrapperINS9_3SumENS9_22TransformInputIteratorIb7NonZeroIsEPslEElEEEE10hipError_tPvRmT1_T2_T3_mT4_P12ihipStream_tbEUlT_E1_NS1_11comp_targetILNS1_3genE10ELNS1_11target_archE1201ELNS1_3gpuE5ELNS1_3repE0EEENS1_30default_config_static_selectorELNS0_4arch9wavefront6targetE1EEEvSM_,comdat
.Lfunc_end95:
	.size	_ZN7rocprim17ROCPRIM_400000_NS6detail17trampoline_kernelINS0_14default_configENS1_22reduce_config_selectorIlEEZNS1_11reduce_implILb1ES3_PlS7_lN6hipcub16HIPCUB_304000_NS6detail34convert_binary_result_type_wrapperINS9_3SumENS9_22TransformInputIteratorIb7NonZeroIsEPslEElEEEE10hipError_tPvRmT1_T2_T3_mT4_P12ihipStream_tbEUlT_E1_NS1_11comp_targetILNS1_3genE10ELNS1_11target_archE1201ELNS1_3gpuE5ELNS1_3repE0EEENS1_30default_config_static_selectorELNS0_4arch9wavefront6targetE1EEEvSM_, .Lfunc_end95-_ZN7rocprim17ROCPRIM_400000_NS6detail17trampoline_kernelINS0_14default_configENS1_22reduce_config_selectorIlEEZNS1_11reduce_implILb1ES3_PlS7_lN6hipcub16HIPCUB_304000_NS6detail34convert_binary_result_type_wrapperINS9_3SumENS9_22TransformInputIteratorIb7NonZeroIsEPslEElEEEE10hipError_tPvRmT1_T2_T3_mT4_P12ihipStream_tbEUlT_E1_NS1_11comp_targetILNS1_3genE10ELNS1_11target_archE1201ELNS1_3gpuE5ELNS1_3repE0EEENS1_30default_config_static_selectorELNS0_4arch9wavefront6targetE1EEEvSM_
                                        ; -- End function
	.set _ZN7rocprim17ROCPRIM_400000_NS6detail17trampoline_kernelINS0_14default_configENS1_22reduce_config_selectorIlEEZNS1_11reduce_implILb1ES3_PlS7_lN6hipcub16HIPCUB_304000_NS6detail34convert_binary_result_type_wrapperINS9_3SumENS9_22TransformInputIteratorIb7NonZeroIsEPslEElEEEE10hipError_tPvRmT1_T2_T3_mT4_P12ihipStream_tbEUlT_E1_NS1_11comp_targetILNS1_3genE10ELNS1_11target_archE1201ELNS1_3gpuE5ELNS1_3repE0EEENS1_30default_config_static_selectorELNS0_4arch9wavefront6targetE1EEEvSM_.num_vgpr, 0
	.set _ZN7rocprim17ROCPRIM_400000_NS6detail17trampoline_kernelINS0_14default_configENS1_22reduce_config_selectorIlEEZNS1_11reduce_implILb1ES3_PlS7_lN6hipcub16HIPCUB_304000_NS6detail34convert_binary_result_type_wrapperINS9_3SumENS9_22TransformInputIteratorIb7NonZeroIsEPslEElEEEE10hipError_tPvRmT1_T2_T3_mT4_P12ihipStream_tbEUlT_E1_NS1_11comp_targetILNS1_3genE10ELNS1_11target_archE1201ELNS1_3gpuE5ELNS1_3repE0EEENS1_30default_config_static_selectorELNS0_4arch9wavefront6targetE1EEEvSM_.num_agpr, 0
	.set _ZN7rocprim17ROCPRIM_400000_NS6detail17trampoline_kernelINS0_14default_configENS1_22reduce_config_selectorIlEEZNS1_11reduce_implILb1ES3_PlS7_lN6hipcub16HIPCUB_304000_NS6detail34convert_binary_result_type_wrapperINS9_3SumENS9_22TransformInputIteratorIb7NonZeroIsEPslEElEEEE10hipError_tPvRmT1_T2_T3_mT4_P12ihipStream_tbEUlT_E1_NS1_11comp_targetILNS1_3genE10ELNS1_11target_archE1201ELNS1_3gpuE5ELNS1_3repE0EEENS1_30default_config_static_selectorELNS0_4arch9wavefront6targetE1EEEvSM_.numbered_sgpr, 0
	.set _ZN7rocprim17ROCPRIM_400000_NS6detail17trampoline_kernelINS0_14default_configENS1_22reduce_config_selectorIlEEZNS1_11reduce_implILb1ES3_PlS7_lN6hipcub16HIPCUB_304000_NS6detail34convert_binary_result_type_wrapperINS9_3SumENS9_22TransformInputIteratorIb7NonZeroIsEPslEElEEEE10hipError_tPvRmT1_T2_T3_mT4_P12ihipStream_tbEUlT_E1_NS1_11comp_targetILNS1_3genE10ELNS1_11target_archE1201ELNS1_3gpuE5ELNS1_3repE0EEENS1_30default_config_static_selectorELNS0_4arch9wavefront6targetE1EEEvSM_.num_named_barrier, 0
	.set _ZN7rocprim17ROCPRIM_400000_NS6detail17trampoline_kernelINS0_14default_configENS1_22reduce_config_selectorIlEEZNS1_11reduce_implILb1ES3_PlS7_lN6hipcub16HIPCUB_304000_NS6detail34convert_binary_result_type_wrapperINS9_3SumENS9_22TransformInputIteratorIb7NonZeroIsEPslEElEEEE10hipError_tPvRmT1_T2_T3_mT4_P12ihipStream_tbEUlT_E1_NS1_11comp_targetILNS1_3genE10ELNS1_11target_archE1201ELNS1_3gpuE5ELNS1_3repE0EEENS1_30default_config_static_selectorELNS0_4arch9wavefront6targetE1EEEvSM_.private_seg_size, 0
	.set _ZN7rocprim17ROCPRIM_400000_NS6detail17trampoline_kernelINS0_14default_configENS1_22reduce_config_selectorIlEEZNS1_11reduce_implILb1ES3_PlS7_lN6hipcub16HIPCUB_304000_NS6detail34convert_binary_result_type_wrapperINS9_3SumENS9_22TransformInputIteratorIb7NonZeroIsEPslEElEEEE10hipError_tPvRmT1_T2_T3_mT4_P12ihipStream_tbEUlT_E1_NS1_11comp_targetILNS1_3genE10ELNS1_11target_archE1201ELNS1_3gpuE5ELNS1_3repE0EEENS1_30default_config_static_selectorELNS0_4arch9wavefront6targetE1EEEvSM_.uses_vcc, 0
	.set _ZN7rocprim17ROCPRIM_400000_NS6detail17trampoline_kernelINS0_14default_configENS1_22reduce_config_selectorIlEEZNS1_11reduce_implILb1ES3_PlS7_lN6hipcub16HIPCUB_304000_NS6detail34convert_binary_result_type_wrapperINS9_3SumENS9_22TransformInputIteratorIb7NonZeroIsEPslEElEEEE10hipError_tPvRmT1_T2_T3_mT4_P12ihipStream_tbEUlT_E1_NS1_11comp_targetILNS1_3genE10ELNS1_11target_archE1201ELNS1_3gpuE5ELNS1_3repE0EEENS1_30default_config_static_selectorELNS0_4arch9wavefront6targetE1EEEvSM_.uses_flat_scratch, 0
	.set _ZN7rocprim17ROCPRIM_400000_NS6detail17trampoline_kernelINS0_14default_configENS1_22reduce_config_selectorIlEEZNS1_11reduce_implILb1ES3_PlS7_lN6hipcub16HIPCUB_304000_NS6detail34convert_binary_result_type_wrapperINS9_3SumENS9_22TransformInputIteratorIb7NonZeroIsEPslEElEEEE10hipError_tPvRmT1_T2_T3_mT4_P12ihipStream_tbEUlT_E1_NS1_11comp_targetILNS1_3genE10ELNS1_11target_archE1201ELNS1_3gpuE5ELNS1_3repE0EEENS1_30default_config_static_selectorELNS0_4arch9wavefront6targetE1EEEvSM_.has_dyn_sized_stack, 0
	.set _ZN7rocprim17ROCPRIM_400000_NS6detail17trampoline_kernelINS0_14default_configENS1_22reduce_config_selectorIlEEZNS1_11reduce_implILb1ES3_PlS7_lN6hipcub16HIPCUB_304000_NS6detail34convert_binary_result_type_wrapperINS9_3SumENS9_22TransformInputIteratorIb7NonZeroIsEPslEElEEEE10hipError_tPvRmT1_T2_T3_mT4_P12ihipStream_tbEUlT_E1_NS1_11comp_targetILNS1_3genE10ELNS1_11target_archE1201ELNS1_3gpuE5ELNS1_3repE0EEENS1_30default_config_static_selectorELNS0_4arch9wavefront6targetE1EEEvSM_.has_recursion, 0
	.set _ZN7rocprim17ROCPRIM_400000_NS6detail17trampoline_kernelINS0_14default_configENS1_22reduce_config_selectorIlEEZNS1_11reduce_implILb1ES3_PlS7_lN6hipcub16HIPCUB_304000_NS6detail34convert_binary_result_type_wrapperINS9_3SumENS9_22TransformInputIteratorIb7NonZeroIsEPslEElEEEE10hipError_tPvRmT1_T2_T3_mT4_P12ihipStream_tbEUlT_E1_NS1_11comp_targetILNS1_3genE10ELNS1_11target_archE1201ELNS1_3gpuE5ELNS1_3repE0EEENS1_30default_config_static_selectorELNS0_4arch9wavefront6targetE1EEEvSM_.has_indirect_call, 0
	.section	.AMDGPU.csdata,"",@progbits
; Kernel info:
; codeLenInByte = 0
; TotalNumSgprs: 6
; NumVgprs: 0
; NumAgprs: 0
; TotalNumVgprs: 0
; ScratchSize: 0
; MemoryBound: 0
; FloatMode: 240
; IeeeMode: 1
; LDSByteSize: 0 bytes/workgroup (compile time only)
; SGPRBlocks: 0
; VGPRBlocks: 0
; NumSGPRsForWavesPerEU: 6
; NumVGPRsForWavesPerEU: 1
; AccumOffset: 4
; Occupancy: 8
; WaveLimiterHint : 0
; COMPUTE_PGM_RSRC2:SCRATCH_EN: 0
; COMPUTE_PGM_RSRC2:USER_SGPR: 2
; COMPUTE_PGM_RSRC2:TRAP_HANDLER: 0
; COMPUTE_PGM_RSRC2:TGID_X_EN: 1
; COMPUTE_PGM_RSRC2:TGID_Y_EN: 0
; COMPUTE_PGM_RSRC2:TGID_Z_EN: 0
; COMPUTE_PGM_RSRC2:TIDIG_COMP_CNT: 0
; COMPUTE_PGM_RSRC3_GFX90A:ACCUM_OFFSET: 0
; COMPUTE_PGM_RSRC3_GFX90A:TG_SPLIT: 0
	.section	.text._ZN7rocprim17ROCPRIM_400000_NS6detail17trampoline_kernelINS0_14default_configENS1_22reduce_config_selectorIlEEZNS1_11reduce_implILb1ES3_PlS7_lN6hipcub16HIPCUB_304000_NS6detail34convert_binary_result_type_wrapperINS9_3SumENS9_22TransformInputIteratorIb7NonZeroIsEPslEElEEEE10hipError_tPvRmT1_T2_T3_mT4_P12ihipStream_tbEUlT_E1_NS1_11comp_targetILNS1_3genE10ELNS1_11target_archE1200ELNS1_3gpuE4ELNS1_3repE0EEENS1_30default_config_static_selectorELNS0_4arch9wavefront6targetE1EEEvSM_,"axG",@progbits,_ZN7rocprim17ROCPRIM_400000_NS6detail17trampoline_kernelINS0_14default_configENS1_22reduce_config_selectorIlEEZNS1_11reduce_implILb1ES3_PlS7_lN6hipcub16HIPCUB_304000_NS6detail34convert_binary_result_type_wrapperINS9_3SumENS9_22TransformInputIteratorIb7NonZeroIsEPslEElEEEE10hipError_tPvRmT1_T2_T3_mT4_P12ihipStream_tbEUlT_E1_NS1_11comp_targetILNS1_3genE10ELNS1_11target_archE1200ELNS1_3gpuE4ELNS1_3repE0EEENS1_30default_config_static_selectorELNS0_4arch9wavefront6targetE1EEEvSM_,comdat
	.protected	_ZN7rocprim17ROCPRIM_400000_NS6detail17trampoline_kernelINS0_14default_configENS1_22reduce_config_selectorIlEEZNS1_11reduce_implILb1ES3_PlS7_lN6hipcub16HIPCUB_304000_NS6detail34convert_binary_result_type_wrapperINS9_3SumENS9_22TransformInputIteratorIb7NonZeroIsEPslEElEEEE10hipError_tPvRmT1_T2_T3_mT4_P12ihipStream_tbEUlT_E1_NS1_11comp_targetILNS1_3genE10ELNS1_11target_archE1200ELNS1_3gpuE4ELNS1_3repE0EEENS1_30default_config_static_selectorELNS0_4arch9wavefront6targetE1EEEvSM_ ; -- Begin function _ZN7rocprim17ROCPRIM_400000_NS6detail17trampoline_kernelINS0_14default_configENS1_22reduce_config_selectorIlEEZNS1_11reduce_implILb1ES3_PlS7_lN6hipcub16HIPCUB_304000_NS6detail34convert_binary_result_type_wrapperINS9_3SumENS9_22TransformInputIteratorIb7NonZeroIsEPslEElEEEE10hipError_tPvRmT1_T2_T3_mT4_P12ihipStream_tbEUlT_E1_NS1_11comp_targetILNS1_3genE10ELNS1_11target_archE1200ELNS1_3gpuE4ELNS1_3repE0EEENS1_30default_config_static_selectorELNS0_4arch9wavefront6targetE1EEEvSM_
	.globl	_ZN7rocprim17ROCPRIM_400000_NS6detail17trampoline_kernelINS0_14default_configENS1_22reduce_config_selectorIlEEZNS1_11reduce_implILb1ES3_PlS7_lN6hipcub16HIPCUB_304000_NS6detail34convert_binary_result_type_wrapperINS9_3SumENS9_22TransformInputIteratorIb7NonZeroIsEPslEElEEEE10hipError_tPvRmT1_T2_T3_mT4_P12ihipStream_tbEUlT_E1_NS1_11comp_targetILNS1_3genE10ELNS1_11target_archE1200ELNS1_3gpuE4ELNS1_3repE0EEENS1_30default_config_static_selectorELNS0_4arch9wavefront6targetE1EEEvSM_
	.p2align	8
	.type	_ZN7rocprim17ROCPRIM_400000_NS6detail17trampoline_kernelINS0_14default_configENS1_22reduce_config_selectorIlEEZNS1_11reduce_implILb1ES3_PlS7_lN6hipcub16HIPCUB_304000_NS6detail34convert_binary_result_type_wrapperINS9_3SumENS9_22TransformInputIteratorIb7NonZeroIsEPslEElEEEE10hipError_tPvRmT1_T2_T3_mT4_P12ihipStream_tbEUlT_E1_NS1_11comp_targetILNS1_3genE10ELNS1_11target_archE1200ELNS1_3gpuE4ELNS1_3repE0EEENS1_30default_config_static_selectorELNS0_4arch9wavefront6targetE1EEEvSM_,@function
_ZN7rocprim17ROCPRIM_400000_NS6detail17trampoline_kernelINS0_14default_configENS1_22reduce_config_selectorIlEEZNS1_11reduce_implILb1ES3_PlS7_lN6hipcub16HIPCUB_304000_NS6detail34convert_binary_result_type_wrapperINS9_3SumENS9_22TransformInputIteratorIb7NonZeroIsEPslEElEEEE10hipError_tPvRmT1_T2_T3_mT4_P12ihipStream_tbEUlT_E1_NS1_11comp_targetILNS1_3genE10ELNS1_11target_archE1200ELNS1_3gpuE4ELNS1_3repE0EEENS1_30default_config_static_selectorELNS0_4arch9wavefront6targetE1EEEvSM_: ; @_ZN7rocprim17ROCPRIM_400000_NS6detail17trampoline_kernelINS0_14default_configENS1_22reduce_config_selectorIlEEZNS1_11reduce_implILb1ES3_PlS7_lN6hipcub16HIPCUB_304000_NS6detail34convert_binary_result_type_wrapperINS9_3SumENS9_22TransformInputIteratorIb7NonZeroIsEPslEElEEEE10hipError_tPvRmT1_T2_T3_mT4_P12ihipStream_tbEUlT_E1_NS1_11comp_targetILNS1_3genE10ELNS1_11target_archE1200ELNS1_3gpuE4ELNS1_3repE0EEENS1_30default_config_static_selectorELNS0_4arch9wavefront6targetE1EEEvSM_
; %bb.0:
	.section	.rodata,"a",@progbits
	.p2align	6, 0x0
	.amdhsa_kernel _ZN7rocprim17ROCPRIM_400000_NS6detail17trampoline_kernelINS0_14default_configENS1_22reduce_config_selectorIlEEZNS1_11reduce_implILb1ES3_PlS7_lN6hipcub16HIPCUB_304000_NS6detail34convert_binary_result_type_wrapperINS9_3SumENS9_22TransformInputIteratorIb7NonZeroIsEPslEElEEEE10hipError_tPvRmT1_T2_T3_mT4_P12ihipStream_tbEUlT_E1_NS1_11comp_targetILNS1_3genE10ELNS1_11target_archE1200ELNS1_3gpuE4ELNS1_3repE0EEENS1_30default_config_static_selectorELNS0_4arch9wavefront6targetE1EEEvSM_
		.amdhsa_group_segment_fixed_size 0
		.amdhsa_private_segment_fixed_size 0
		.amdhsa_kernarg_size 48
		.amdhsa_user_sgpr_count 2
		.amdhsa_user_sgpr_dispatch_ptr 0
		.amdhsa_user_sgpr_queue_ptr 0
		.amdhsa_user_sgpr_kernarg_segment_ptr 1
		.amdhsa_user_sgpr_dispatch_id 0
		.amdhsa_user_sgpr_kernarg_preload_length 0
		.amdhsa_user_sgpr_kernarg_preload_offset 0
		.amdhsa_user_sgpr_private_segment_size 0
		.amdhsa_uses_dynamic_stack 0
		.amdhsa_enable_private_segment 0
		.amdhsa_system_sgpr_workgroup_id_x 1
		.amdhsa_system_sgpr_workgroup_id_y 0
		.amdhsa_system_sgpr_workgroup_id_z 0
		.amdhsa_system_sgpr_workgroup_info 0
		.amdhsa_system_vgpr_workitem_id 0
		.amdhsa_next_free_vgpr 1
		.amdhsa_next_free_sgpr 0
		.amdhsa_accum_offset 4
		.amdhsa_reserve_vcc 0
		.amdhsa_float_round_mode_32 0
		.amdhsa_float_round_mode_16_64 0
		.amdhsa_float_denorm_mode_32 3
		.amdhsa_float_denorm_mode_16_64 3
		.amdhsa_dx10_clamp 1
		.amdhsa_ieee_mode 1
		.amdhsa_fp16_overflow 0
		.amdhsa_tg_split 0
		.amdhsa_exception_fp_ieee_invalid_op 0
		.amdhsa_exception_fp_denorm_src 0
		.amdhsa_exception_fp_ieee_div_zero 0
		.amdhsa_exception_fp_ieee_overflow 0
		.amdhsa_exception_fp_ieee_underflow 0
		.amdhsa_exception_fp_ieee_inexact 0
		.amdhsa_exception_int_div_zero 0
	.end_amdhsa_kernel
	.section	.text._ZN7rocprim17ROCPRIM_400000_NS6detail17trampoline_kernelINS0_14default_configENS1_22reduce_config_selectorIlEEZNS1_11reduce_implILb1ES3_PlS7_lN6hipcub16HIPCUB_304000_NS6detail34convert_binary_result_type_wrapperINS9_3SumENS9_22TransformInputIteratorIb7NonZeroIsEPslEElEEEE10hipError_tPvRmT1_T2_T3_mT4_P12ihipStream_tbEUlT_E1_NS1_11comp_targetILNS1_3genE10ELNS1_11target_archE1200ELNS1_3gpuE4ELNS1_3repE0EEENS1_30default_config_static_selectorELNS0_4arch9wavefront6targetE1EEEvSM_,"axG",@progbits,_ZN7rocprim17ROCPRIM_400000_NS6detail17trampoline_kernelINS0_14default_configENS1_22reduce_config_selectorIlEEZNS1_11reduce_implILb1ES3_PlS7_lN6hipcub16HIPCUB_304000_NS6detail34convert_binary_result_type_wrapperINS9_3SumENS9_22TransformInputIteratorIb7NonZeroIsEPslEElEEEE10hipError_tPvRmT1_T2_T3_mT4_P12ihipStream_tbEUlT_E1_NS1_11comp_targetILNS1_3genE10ELNS1_11target_archE1200ELNS1_3gpuE4ELNS1_3repE0EEENS1_30default_config_static_selectorELNS0_4arch9wavefront6targetE1EEEvSM_,comdat
.Lfunc_end96:
	.size	_ZN7rocprim17ROCPRIM_400000_NS6detail17trampoline_kernelINS0_14default_configENS1_22reduce_config_selectorIlEEZNS1_11reduce_implILb1ES3_PlS7_lN6hipcub16HIPCUB_304000_NS6detail34convert_binary_result_type_wrapperINS9_3SumENS9_22TransformInputIteratorIb7NonZeroIsEPslEElEEEE10hipError_tPvRmT1_T2_T3_mT4_P12ihipStream_tbEUlT_E1_NS1_11comp_targetILNS1_3genE10ELNS1_11target_archE1200ELNS1_3gpuE4ELNS1_3repE0EEENS1_30default_config_static_selectorELNS0_4arch9wavefront6targetE1EEEvSM_, .Lfunc_end96-_ZN7rocprim17ROCPRIM_400000_NS6detail17trampoline_kernelINS0_14default_configENS1_22reduce_config_selectorIlEEZNS1_11reduce_implILb1ES3_PlS7_lN6hipcub16HIPCUB_304000_NS6detail34convert_binary_result_type_wrapperINS9_3SumENS9_22TransformInputIteratorIb7NonZeroIsEPslEElEEEE10hipError_tPvRmT1_T2_T3_mT4_P12ihipStream_tbEUlT_E1_NS1_11comp_targetILNS1_3genE10ELNS1_11target_archE1200ELNS1_3gpuE4ELNS1_3repE0EEENS1_30default_config_static_selectorELNS0_4arch9wavefront6targetE1EEEvSM_
                                        ; -- End function
	.set _ZN7rocprim17ROCPRIM_400000_NS6detail17trampoline_kernelINS0_14default_configENS1_22reduce_config_selectorIlEEZNS1_11reduce_implILb1ES3_PlS7_lN6hipcub16HIPCUB_304000_NS6detail34convert_binary_result_type_wrapperINS9_3SumENS9_22TransformInputIteratorIb7NonZeroIsEPslEElEEEE10hipError_tPvRmT1_T2_T3_mT4_P12ihipStream_tbEUlT_E1_NS1_11comp_targetILNS1_3genE10ELNS1_11target_archE1200ELNS1_3gpuE4ELNS1_3repE0EEENS1_30default_config_static_selectorELNS0_4arch9wavefront6targetE1EEEvSM_.num_vgpr, 0
	.set _ZN7rocprim17ROCPRIM_400000_NS6detail17trampoline_kernelINS0_14default_configENS1_22reduce_config_selectorIlEEZNS1_11reduce_implILb1ES3_PlS7_lN6hipcub16HIPCUB_304000_NS6detail34convert_binary_result_type_wrapperINS9_3SumENS9_22TransformInputIteratorIb7NonZeroIsEPslEElEEEE10hipError_tPvRmT1_T2_T3_mT4_P12ihipStream_tbEUlT_E1_NS1_11comp_targetILNS1_3genE10ELNS1_11target_archE1200ELNS1_3gpuE4ELNS1_3repE0EEENS1_30default_config_static_selectorELNS0_4arch9wavefront6targetE1EEEvSM_.num_agpr, 0
	.set _ZN7rocprim17ROCPRIM_400000_NS6detail17trampoline_kernelINS0_14default_configENS1_22reduce_config_selectorIlEEZNS1_11reduce_implILb1ES3_PlS7_lN6hipcub16HIPCUB_304000_NS6detail34convert_binary_result_type_wrapperINS9_3SumENS9_22TransformInputIteratorIb7NonZeroIsEPslEElEEEE10hipError_tPvRmT1_T2_T3_mT4_P12ihipStream_tbEUlT_E1_NS1_11comp_targetILNS1_3genE10ELNS1_11target_archE1200ELNS1_3gpuE4ELNS1_3repE0EEENS1_30default_config_static_selectorELNS0_4arch9wavefront6targetE1EEEvSM_.numbered_sgpr, 0
	.set _ZN7rocprim17ROCPRIM_400000_NS6detail17trampoline_kernelINS0_14default_configENS1_22reduce_config_selectorIlEEZNS1_11reduce_implILb1ES3_PlS7_lN6hipcub16HIPCUB_304000_NS6detail34convert_binary_result_type_wrapperINS9_3SumENS9_22TransformInputIteratorIb7NonZeroIsEPslEElEEEE10hipError_tPvRmT1_T2_T3_mT4_P12ihipStream_tbEUlT_E1_NS1_11comp_targetILNS1_3genE10ELNS1_11target_archE1200ELNS1_3gpuE4ELNS1_3repE0EEENS1_30default_config_static_selectorELNS0_4arch9wavefront6targetE1EEEvSM_.num_named_barrier, 0
	.set _ZN7rocprim17ROCPRIM_400000_NS6detail17trampoline_kernelINS0_14default_configENS1_22reduce_config_selectorIlEEZNS1_11reduce_implILb1ES3_PlS7_lN6hipcub16HIPCUB_304000_NS6detail34convert_binary_result_type_wrapperINS9_3SumENS9_22TransformInputIteratorIb7NonZeroIsEPslEElEEEE10hipError_tPvRmT1_T2_T3_mT4_P12ihipStream_tbEUlT_E1_NS1_11comp_targetILNS1_3genE10ELNS1_11target_archE1200ELNS1_3gpuE4ELNS1_3repE0EEENS1_30default_config_static_selectorELNS0_4arch9wavefront6targetE1EEEvSM_.private_seg_size, 0
	.set _ZN7rocprim17ROCPRIM_400000_NS6detail17trampoline_kernelINS0_14default_configENS1_22reduce_config_selectorIlEEZNS1_11reduce_implILb1ES3_PlS7_lN6hipcub16HIPCUB_304000_NS6detail34convert_binary_result_type_wrapperINS9_3SumENS9_22TransformInputIteratorIb7NonZeroIsEPslEElEEEE10hipError_tPvRmT1_T2_T3_mT4_P12ihipStream_tbEUlT_E1_NS1_11comp_targetILNS1_3genE10ELNS1_11target_archE1200ELNS1_3gpuE4ELNS1_3repE0EEENS1_30default_config_static_selectorELNS0_4arch9wavefront6targetE1EEEvSM_.uses_vcc, 0
	.set _ZN7rocprim17ROCPRIM_400000_NS6detail17trampoline_kernelINS0_14default_configENS1_22reduce_config_selectorIlEEZNS1_11reduce_implILb1ES3_PlS7_lN6hipcub16HIPCUB_304000_NS6detail34convert_binary_result_type_wrapperINS9_3SumENS9_22TransformInputIteratorIb7NonZeroIsEPslEElEEEE10hipError_tPvRmT1_T2_T3_mT4_P12ihipStream_tbEUlT_E1_NS1_11comp_targetILNS1_3genE10ELNS1_11target_archE1200ELNS1_3gpuE4ELNS1_3repE0EEENS1_30default_config_static_selectorELNS0_4arch9wavefront6targetE1EEEvSM_.uses_flat_scratch, 0
	.set _ZN7rocprim17ROCPRIM_400000_NS6detail17trampoline_kernelINS0_14default_configENS1_22reduce_config_selectorIlEEZNS1_11reduce_implILb1ES3_PlS7_lN6hipcub16HIPCUB_304000_NS6detail34convert_binary_result_type_wrapperINS9_3SumENS9_22TransformInputIteratorIb7NonZeroIsEPslEElEEEE10hipError_tPvRmT1_T2_T3_mT4_P12ihipStream_tbEUlT_E1_NS1_11comp_targetILNS1_3genE10ELNS1_11target_archE1200ELNS1_3gpuE4ELNS1_3repE0EEENS1_30default_config_static_selectorELNS0_4arch9wavefront6targetE1EEEvSM_.has_dyn_sized_stack, 0
	.set _ZN7rocprim17ROCPRIM_400000_NS6detail17trampoline_kernelINS0_14default_configENS1_22reduce_config_selectorIlEEZNS1_11reduce_implILb1ES3_PlS7_lN6hipcub16HIPCUB_304000_NS6detail34convert_binary_result_type_wrapperINS9_3SumENS9_22TransformInputIteratorIb7NonZeroIsEPslEElEEEE10hipError_tPvRmT1_T2_T3_mT4_P12ihipStream_tbEUlT_E1_NS1_11comp_targetILNS1_3genE10ELNS1_11target_archE1200ELNS1_3gpuE4ELNS1_3repE0EEENS1_30default_config_static_selectorELNS0_4arch9wavefront6targetE1EEEvSM_.has_recursion, 0
	.set _ZN7rocprim17ROCPRIM_400000_NS6detail17trampoline_kernelINS0_14default_configENS1_22reduce_config_selectorIlEEZNS1_11reduce_implILb1ES3_PlS7_lN6hipcub16HIPCUB_304000_NS6detail34convert_binary_result_type_wrapperINS9_3SumENS9_22TransformInputIteratorIb7NonZeroIsEPslEElEEEE10hipError_tPvRmT1_T2_T3_mT4_P12ihipStream_tbEUlT_E1_NS1_11comp_targetILNS1_3genE10ELNS1_11target_archE1200ELNS1_3gpuE4ELNS1_3repE0EEENS1_30default_config_static_selectorELNS0_4arch9wavefront6targetE1EEEvSM_.has_indirect_call, 0
	.section	.AMDGPU.csdata,"",@progbits
; Kernel info:
; codeLenInByte = 0
; TotalNumSgprs: 6
; NumVgprs: 0
; NumAgprs: 0
; TotalNumVgprs: 0
; ScratchSize: 0
; MemoryBound: 0
; FloatMode: 240
; IeeeMode: 1
; LDSByteSize: 0 bytes/workgroup (compile time only)
; SGPRBlocks: 0
; VGPRBlocks: 0
; NumSGPRsForWavesPerEU: 6
; NumVGPRsForWavesPerEU: 1
; AccumOffset: 4
; Occupancy: 8
; WaveLimiterHint : 0
; COMPUTE_PGM_RSRC2:SCRATCH_EN: 0
; COMPUTE_PGM_RSRC2:USER_SGPR: 2
; COMPUTE_PGM_RSRC2:TRAP_HANDLER: 0
; COMPUTE_PGM_RSRC2:TGID_X_EN: 1
; COMPUTE_PGM_RSRC2:TGID_Y_EN: 0
; COMPUTE_PGM_RSRC2:TGID_Z_EN: 0
; COMPUTE_PGM_RSRC2:TIDIG_COMP_CNT: 0
; COMPUTE_PGM_RSRC3_GFX90A:ACCUM_OFFSET: 0
; COMPUTE_PGM_RSRC3_GFX90A:TG_SPLIT: 0
	.section	.text._ZN7rocprim17ROCPRIM_400000_NS6detail17trampoline_kernelINS0_14default_configENS1_22reduce_config_selectorIlEEZNS1_11reduce_implILb1ES3_PlS7_lN6hipcub16HIPCUB_304000_NS6detail34convert_binary_result_type_wrapperINS9_3SumENS9_22TransformInputIteratorIb7NonZeroIsEPslEElEEEE10hipError_tPvRmT1_T2_T3_mT4_P12ihipStream_tbEUlT_E1_NS1_11comp_targetILNS1_3genE9ELNS1_11target_archE1100ELNS1_3gpuE3ELNS1_3repE0EEENS1_30default_config_static_selectorELNS0_4arch9wavefront6targetE1EEEvSM_,"axG",@progbits,_ZN7rocprim17ROCPRIM_400000_NS6detail17trampoline_kernelINS0_14default_configENS1_22reduce_config_selectorIlEEZNS1_11reduce_implILb1ES3_PlS7_lN6hipcub16HIPCUB_304000_NS6detail34convert_binary_result_type_wrapperINS9_3SumENS9_22TransformInputIteratorIb7NonZeroIsEPslEElEEEE10hipError_tPvRmT1_T2_T3_mT4_P12ihipStream_tbEUlT_E1_NS1_11comp_targetILNS1_3genE9ELNS1_11target_archE1100ELNS1_3gpuE3ELNS1_3repE0EEENS1_30default_config_static_selectorELNS0_4arch9wavefront6targetE1EEEvSM_,comdat
	.protected	_ZN7rocprim17ROCPRIM_400000_NS6detail17trampoline_kernelINS0_14default_configENS1_22reduce_config_selectorIlEEZNS1_11reduce_implILb1ES3_PlS7_lN6hipcub16HIPCUB_304000_NS6detail34convert_binary_result_type_wrapperINS9_3SumENS9_22TransformInputIteratorIb7NonZeroIsEPslEElEEEE10hipError_tPvRmT1_T2_T3_mT4_P12ihipStream_tbEUlT_E1_NS1_11comp_targetILNS1_3genE9ELNS1_11target_archE1100ELNS1_3gpuE3ELNS1_3repE0EEENS1_30default_config_static_selectorELNS0_4arch9wavefront6targetE1EEEvSM_ ; -- Begin function _ZN7rocprim17ROCPRIM_400000_NS6detail17trampoline_kernelINS0_14default_configENS1_22reduce_config_selectorIlEEZNS1_11reduce_implILb1ES3_PlS7_lN6hipcub16HIPCUB_304000_NS6detail34convert_binary_result_type_wrapperINS9_3SumENS9_22TransformInputIteratorIb7NonZeroIsEPslEElEEEE10hipError_tPvRmT1_T2_T3_mT4_P12ihipStream_tbEUlT_E1_NS1_11comp_targetILNS1_3genE9ELNS1_11target_archE1100ELNS1_3gpuE3ELNS1_3repE0EEENS1_30default_config_static_selectorELNS0_4arch9wavefront6targetE1EEEvSM_
	.globl	_ZN7rocprim17ROCPRIM_400000_NS6detail17trampoline_kernelINS0_14default_configENS1_22reduce_config_selectorIlEEZNS1_11reduce_implILb1ES3_PlS7_lN6hipcub16HIPCUB_304000_NS6detail34convert_binary_result_type_wrapperINS9_3SumENS9_22TransformInputIteratorIb7NonZeroIsEPslEElEEEE10hipError_tPvRmT1_T2_T3_mT4_P12ihipStream_tbEUlT_E1_NS1_11comp_targetILNS1_3genE9ELNS1_11target_archE1100ELNS1_3gpuE3ELNS1_3repE0EEENS1_30default_config_static_selectorELNS0_4arch9wavefront6targetE1EEEvSM_
	.p2align	8
	.type	_ZN7rocprim17ROCPRIM_400000_NS6detail17trampoline_kernelINS0_14default_configENS1_22reduce_config_selectorIlEEZNS1_11reduce_implILb1ES3_PlS7_lN6hipcub16HIPCUB_304000_NS6detail34convert_binary_result_type_wrapperINS9_3SumENS9_22TransformInputIteratorIb7NonZeroIsEPslEElEEEE10hipError_tPvRmT1_T2_T3_mT4_P12ihipStream_tbEUlT_E1_NS1_11comp_targetILNS1_3genE9ELNS1_11target_archE1100ELNS1_3gpuE3ELNS1_3repE0EEENS1_30default_config_static_selectorELNS0_4arch9wavefront6targetE1EEEvSM_,@function
_ZN7rocprim17ROCPRIM_400000_NS6detail17trampoline_kernelINS0_14default_configENS1_22reduce_config_selectorIlEEZNS1_11reduce_implILb1ES3_PlS7_lN6hipcub16HIPCUB_304000_NS6detail34convert_binary_result_type_wrapperINS9_3SumENS9_22TransformInputIteratorIb7NonZeroIsEPslEElEEEE10hipError_tPvRmT1_T2_T3_mT4_P12ihipStream_tbEUlT_E1_NS1_11comp_targetILNS1_3genE9ELNS1_11target_archE1100ELNS1_3gpuE3ELNS1_3repE0EEENS1_30default_config_static_selectorELNS0_4arch9wavefront6targetE1EEEvSM_: ; @_ZN7rocprim17ROCPRIM_400000_NS6detail17trampoline_kernelINS0_14default_configENS1_22reduce_config_selectorIlEEZNS1_11reduce_implILb1ES3_PlS7_lN6hipcub16HIPCUB_304000_NS6detail34convert_binary_result_type_wrapperINS9_3SumENS9_22TransformInputIteratorIb7NonZeroIsEPslEElEEEE10hipError_tPvRmT1_T2_T3_mT4_P12ihipStream_tbEUlT_E1_NS1_11comp_targetILNS1_3genE9ELNS1_11target_archE1100ELNS1_3gpuE3ELNS1_3repE0EEENS1_30default_config_static_selectorELNS0_4arch9wavefront6targetE1EEEvSM_
; %bb.0:
	.section	.rodata,"a",@progbits
	.p2align	6, 0x0
	.amdhsa_kernel _ZN7rocprim17ROCPRIM_400000_NS6detail17trampoline_kernelINS0_14default_configENS1_22reduce_config_selectorIlEEZNS1_11reduce_implILb1ES3_PlS7_lN6hipcub16HIPCUB_304000_NS6detail34convert_binary_result_type_wrapperINS9_3SumENS9_22TransformInputIteratorIb7NonZeroIsEPslEElEEEE10hipError_tPvRmT1_T2_T3_mT4_P12ihipStream_tbEUlT_E1_NS1_11comp_targetILNS1_3genE9ELNS1_11target_archE1100ELNS1_3gpuE3ELNS1_3repE0EEENS1_30default_config_static_selectorELNS0_4arch9wavefront6targetE1EEEvSM_
		.amdhsa_group_segment_fixed_size 0
		.amdhsa_private_segment_fixed_size 0
		.amdhsa_kernarg_size 48
		.amdhsa_user_sgpr_count 2
		.amdhsa_user_sgpr_dispatch_ptr 0
		.amdhsa_user_sgpr_queue_ptr 0
		.amdhsa_user_sgpr_kernarg_segment_ptr 1
		.amdhsa_user_sgpr_dispatch_id 0
		.amdhsa_user_sgpr_kernarg_preload_length 0
		.amdhsa_user_sgpr_kernarg_preload_offset 0
		.amdhsa_user_sgpr_private_segment_size 0
		.amdhsa_uses_dynamic_stack 0
		.amdhsa_enable_private_segment 0
		.amdhsa_system_sgpr_workgroup_id_x 1
		.amdhsa_system_sgpr_workgroup_id_y 0
		.amdhsa_system_sgpr_workgroup_id_z 0
		.amdhsa_system_sgpr_workgroup_info 0
		.amdhsa_system_vgpr_workitem_id 0
		.amdhsa_next_free_vgpr 1
		.amdhsa_next_free_sgpr 0
		.amdhsa_accum_offset 4
		.amdhsa_reserve_vcc 0
		.amdhsa_float_round_mode_32 0
		.amdhsa_float_round_mode_16_64 0
		.amdhsa_float_denorm_mode_32 3
		.amdhsa_float_denorm_mode_16_64 3
		.amdhsa_dx10_clamp 1
		.amdhsa_ieee_mode 1
		.amdhsa_fp16_overflow 0
		.amdhsa_tg_split 0
		.amdhsa_exception_fp_ieee_invalid_op 0
		.amdhsa_exception_fp_denorm_src 0
		.amdhsa_exception_fp_ieee_div_zero 0
		.amdhsa_exception_fp_ieee_overflow 0
		.amdhsa_exception_fp_ieee_underflow 0
		.amdhsa_exception_fp_ieee_inexact 0
		.amdhsa_exception_int_div_zero 0
	.end_amdhsa_kernel
	.section	.text._ZN7rocprim17ROCPRIM_400000_NS6detail17trampoline_kernelINS0_14default_configENS1_22reduce_config_selectorIlEEZNS1_11reduce_implILb1ES3_PlS7_lN6hipcub16HIPCUB_304000_NS6detail34convert_binary_result_type_wrapperINS9_3SumENS9_22TransformInputIteratorIb7NonZeroIsEPslEElEEEE10hipError_tPvRmT1_T2_T3_mT4_P12ihipStream_tbEUlT_E1_NS1_11comp_targetILNS1_3genE9ELNS1_11target_archE1100ELNS1_3gpuE3ELNS1_3repE0EEENS1_30default_config_static_selectorELNS0_4arch9wavefront6targetE1EEEvSM_,"axG",@progbits,_ZN7rocprim17ROCPRIM_400000_NS6detail17trampoline_kernelINS0_14default_configENS1_22reduce_config_selectorIlEEZNS1_11reduce_implILb1ES3_PlS7_lN6hipcub16HIPCUB_304000_NS6detail34convert_binary_result_type_wrapperINS9_3SumENS9_22TransformInputIteratorIb7NonZeroIsEPslEElEEEE10hipError_tPvRmT1_T2_T3_mT4_P12ihipStream_tbEUlT_E1_NS1_11comp_targetILNS1_3genE9ELNS1_11target_archE1100ELNS1_3gpuE3ELNS1_3repE0EEENS1_30default_config_static_selectorELNS0_4arch9wavefront6targetE1EEEvSM_,comdat
.Lfunc_end97:
	.size	_ZN7rocprim17ROCPRIM_400000_NS6detail17trampoline_kernelINS0_14default_configENS1_22reduce_config_selectorIlEEZNS1_11reduce_implILb1ES3_PlS7_lN6hipcub16HIPCUB_304000_NS6detail34convert_binary_result_type_wrapperINS9_3SumENS9_22TransformInputIteratorIb7NonZeroIsEPslEElEEEE10hipError_tPvRmT1_T2_T3_mT4_P12ihipStream_tbEUlT_E1_NS1_11comp_targetILNS1_3genE9ELNS1_11target_archE1100ELNS1_3gpuE3ELNS1_3repE0EEENS1_30default_config_static_selectorELNS0_4arch9wavefront6targetE1EEEvSM_, .Lfunc_end97-_ZN7rocprim17ROCPRIM_400000_NS6detail17trampoline_kernelINS0_14default_configENS1_22reduce_config_selectorIlEEZNS1_11reduce_implILb1ES3_PlS7_lN6hipcub16HIPCUB_304000_NS6detail34convert_binary_result_type_wrapperINS9_3SumENS9_22TransformInputIteratorIb7NonZeroIsEPslEElEEEE10hipError_tPvRmT1_T2_T3_mT4_P12ihipStream_tbEUlT_E1_NS1_11comp_targetILNS1_3genE9ELNS1_11target_archE1100ELNS1_3gpuE3ELNS1_3repE0EEENS1_30default_config_static_selectorELNS0_4arch9wavefront6targetE1EEEvSM_
                                        ; -- End function
	.set _ZN7rocprim17ROCPRIM_400000_NS6detail17trampoline_kernelINS0_14default_configENS1_22reduce_config_selectorIlEEZNS1_11reduce_implILb1ES3_PlS7_lN6hipcub16HIPCUB_304000_NS6detail34convert_binary_result_type_wrapperINS9_3SumENS9_22TransformInputIteratorIb7NonZeroIsEPslEElEEEE10hipError_tPvRmT1_T2_T3_mT4_P12ihipStream_tbEUlT_E1_NS1_11comp_targetILNS1_3genE9ELNS1_11target_archE1100ELNS1_3gpuE3ELNS1_3repE0EEENS1_30default_config_static_selectorELNS0_4arch9wavefront6targetE1EEEvSM_.num_vgpr, 0
	.set _ZN7rocprim17ROCPRIM_400000_NS6detail17trampoline_kernelINS0_14default_configENS1_22reduce_config_selectorIlEEZNS1_11reduce_implILb1ES3_PlS7_lN6hipcub16HIPCUB_304000_NS6detail34convert_binary_result_type_wrapperINS9_3SumENS9_22TransformInputIteratorIb7NonZeroIsEPslEElEEEE10hipError_tPvRmT1_T2_T3_mT4_P12ihipStream_tbEUlT_E1_NS1_11comp_targetILNS1_3genE9ELNS1_11target_archE1100ELNS1_3gpuE3ELNS1_3repE0EEENS1_30default_config_static_selectorELNS0_4arch9wavefront6targetE1EEEvSM_.num_agpr, 0
	.set _ZN7rocprim17ROCPRIM_400000_NS6detail17trampoline_kernelINS0_14default_configENS1_22reduce_config_selectorIlEEZNS1_11reduce_implILb1ES3_PlS7_lN6hipcub16HIPCUB_304000_NS6detail34convert_binary_result_type_wrapperINS9_3SumENS9_22TransformInputIteratorIb7NonZeroIsEPslEElEEEE10hipError_tPvRmT1_T2_T3_mT4_P12ihipStream_tbEUlT_E1_NS1_11comp_targetILNS1_3genE9ELNS1_11target_archE1100ELNS1_3gpuE3ELNS1_3repE0EEENS1_30default_config_static_selectorELNS0_4arch9wavefront6targetE1EEEvSM_.numbered_sgpr, 0
	.set _ZN7rocprim17ROCPRIM_400000_NS6detail17trampoline_kernelINS0_14default_configENS1_22reduce_config_selectorIlEEZNS1_11reduce_implILb1ES3_PlS7_lN6hipcub16HIPCUB_304000_NS6detail34convert_binary_result_type_wrapperINS9_3SumENS9_22TransformInputIteratorIb7NonZeroIsEPslEElEEEE10hipError_tPvRmT1_T2_T3_mT4_P12ihipStream_tbEUlT_E1_NS1_11comp_targetILNS1_3genE9ELNS1_11target_archE1100ELNS1_3gpuE3ELNS1_3repE0EEENS1_30default_config_static_selectorELNS0_4arch9wavefront6targetE1EEEvSM_.num_named_barrier, 0
	.set _ZN7rocprim17ROCPRIM_400000_NS6detail17trampoline_kernelINS0_14default_configENS1_22reduce_config_selectorIlEEZNS1_11reduce_implILb1ES3_PlS7_lN6hipcub16HIPCUB_304000_NS6detail34convert_binary_result_type_wrapperINS9_3SumENS9_22TransformInputIteratorIb7NonZeroIsEPslEElEEEE10hipError_tPvRmT1_T2_T3_mT4_P12ihipStream_tbEUlT_E1_NS1_11comp_targetILNS1_3genE9ELNS1_11target_archE1100ELNS1_3gpuE3ELNS1_3repE0EEENS1_30default_config_static_selectorELNS0_4arch9wavefront6targetE1EEEvSM_.private_seg_size, 0
	.set _ZN7rocprim17ROCPRIM_400000_NS6detail17trampoline_kernelINS0_14default_configENS1_22reduce_config_selectorIlEEZNS1_11reduce_implILb1ES3_PlS7_lN6hipcub16HIPCUB_304000_NS6detail34convert_binary_result_type_wrapperINS9_3SumENS9_22TransformInputIteratorIb7NonZeroIsEPslEElEEEE10hipError_tPvRmT1_T2_T3_mT4_P12ihipStream_tbEUlT_E1_NS1_11comp_targetILNS1_3genE9ELNS1_11target_archE1100ELNS1_3gpuE3ELNS1_3repE0EEENS1_30default_config_static_selectorELNS0_4arch9wavefront6targetE1EEEvSM_.uses_vcc, 0
	.set _ZN7rocprim17ROCPRIM_400000_NS6detail17trampoline_kernelINS0_14default_configENS1_22reduce_config_selectorIlEEZNS1_11reduce_implILb1ES3_PlS7_lN6hipcub16HIPCUB_304000_NS6detail34convert_binary_result_type_wrapperINS9_3SumENS9_22TransformInputIteratorIb7NonZeroIsEPslEElEEEE10hipError_tPvRmT1_T2_T3_mT4_P12ihipStream_tbEUlT_E1_NS1_11comp_targetILNS1_3genE9ELNS1_11target_archE1100ELNS1_3gpuE3ELNS1_3repE0EEENS1_30default_config_static_selectorELNS0_4arch9wavefront6targetE1EEEvSM_.uses_flat_scratch, 0
	.set _ZN7rocprim17ROCPRIM_400000_NS6detail17trampoline_kernelINS0_14default_configENS1_22reduce_config_selectorIlEEZNS1_11reduce_implILb1ES3_PlS7_lN6hipcub16HIPCUB_304000_NS6detail34convert_binary_result_type_wrapperINS9_3SumENS9_22TransformInputIteratorIb7NonZeroIsEPslEElEEEE10hipError_tPvRmT1_T2_T3_mT4_P12ihipStream_tbEUlT_E1_NS1_11comp_targetILNS1_3genE9ELNS1_11target_archE1100ELNS1_3gpuE3ELNS1_3repE0EEENS1_30default_config_static_selectorELNS0_4arch9wavefront6targetE1EEEvSM_.has_dyn_sized_stack, 0
	.set _ZN7rocprim17ROCPRIM_400000_NS6detail17trampoline_kernelINS0_14default_configENS1_22reduce_config_selectorIlEEZNS1_11reduce_implILb1ES3_PlS7_lN6hipcub16HIPCUB_304000_NS6detail34convert_binary_result_type_wrapperINS9_3SumENS9_22TransformInputIteratorIb7NonZeroIsEPslEElEEEE10hipError_tPvRmT1_T2_T3_mT4_P12ihipStream_tbEUlT_E1_NS1_11comp_targetILNS1_3genE9ELNS1_11target_archE1100ELNS1_3gpuE3ELNS1_3repE0EEENS1_30default_config_static_selectorELNS0_4arch9wavefront6targetE1EEEvSM_.has_recursion, 0
	.set _ZN7rocprim17ROCPRIM_400000_NS6detail17trampoline_kernelINS0_14default_configENS1_22reduce_config_selectorIlEEZNS1_11reduce_implILb1ES3_PlS7_lN6hipcub16HIPCUB_304000_NS6detail34convert_binary_result_type_wrapperINS9_3SumENS9_22TransformInputIteratorIb7NonZeroIsEPslEElEEEE10hipError_tPvRmT1_T2_T3_mT4_P12ihipStream_tbEUlT_E1_NS1_11comp_targetILNS1_3genE9ELNS1_11target_archE1100ELNS1_3gpuE3ELNS1_3repE0EEENS1_30default_config_static_selectorELNS0_4arch9wavefront6targetE1EEEvSM_.has_indirect_call, 0
	.section	.AMDGPU.csdata,"",@progbits
; Kernel info:
; codeLenInByte = 0
; TotalNumSgprs: 6
; NumVgprs: 0
; NumAgprs: 0
; TotalNumVgprs: 0
; ScratchSize: 0
; MemoryBound: 0
; FloatMode: 240
; IeeeMode: 1
; LDSByteSize: 0 bytes/workgroup (compile time only)
; SGPRBlocks: 0
; VGPRBlocks: 0
; NumSGPRsForWavesPerEU: 6
; NumVGPRsForWavesPerEU: 1
; AccumOffset: 4
; Occupancy: 8
; WaveLimiterHint : 0
; COMPUTE_PGM_RSRC2:SCRATCH_EN: 0
; COMPUTE_PGM_RSRC2:USER_SGPR: 2
; COMPUTE_PGM_RSRC2:TRAP_HANDLER: 0
; COMPUTE_PGM_RSRC2:TGID_X_EN: 1
; COMPUTE_PGM_RSRC2:TGID_Y_EN: 0
; COMPUTE_PGM_RSRC2:TGID_Z_EN: 0
; COMPUTE_PGM_RSRC2:TIDIG_COMP_CNT: 0
; COMPUTE_PGM_RSRC3_GFX90A:ACCUM_OFFSET: 0
; COMPUTE_PGM_RSRC3_GFX90A:TG_SPLIT: 0
	.section	.text._ZN7rocprim17ROCPRIM_400000_NS6detail17trampoline_kernelINS0_14default_configENS1_22reduce_config_selectorIlEEZNS1_11reduce_implILb1ES3_PlS7_lN6hipcub16HIPCUB_304000_NS6detail34convert_binary_result_type_wrapperINS9_3SumENS9_22TransformInputIteratorIb7NonZeroIsEPslEElEEEE10hipError_tPvRmT1_T2_T3_mT4_P12ihipStream_tbEUlT_E1_NS1_11comp_targetILNS1_3genE8ELNS1_11target_archE1030ELNS1_3gpuE2ELNS1_3repE0EEENS1_30default_config_static_selectorELNS0_4arch9wavefront6targetE1EEEvSM_,"axG",@progbits,_ZN7rocprim17ROCPRIM_400000_NS6detail17trampoline_kernelINS0_14default_configENS1_22reduce_config_selectorIlEEZNS1_11reduce_implILb1ES3_PlS7_lN6hipcub16HIPCUB_304000_NS6detail34convert_binary_result_type_wrapperINS9_3SumENS9_22TransformInputIteratorIb7NonZeroIsEPslEElEEEE10hipError_tPvRmT1_T2_T3_mT4_P12ihipStream_tbEUlT_E1_NS1_11comp_targetILNS1_3genE8ELNS1_11target_archE1030ELNS1_3gpuE2ELNS1_3repE0EEENS1_30default_config_static_selectorELNS0_4arch9wavefront6targetE1EEEvSM_,comdat
	.protected	_ZN7rocprim17ROCPRIM_400000_NS6detail17trampoline_kernelINS0_14default_configENS1_22reduce_config_selectorIlEEZNS1_11reduce_implILb1ES3_PlS7_lN6hipcub16HIPCUB_304000_NS6detail34convert_binary_result_type_wrapperINS9_3SumENS9_22TransformInputIteratorIb7NonZeroIsEPslEElEEEE10hipError_tPvRmT1_T2_T3_mT4_P12ihipStream_tbEUlT_E1_NS1_11comp_targetILNS1_3genE8ELNS1_11target_archE1030ELNS1_3gpuE2ELNS1_3repE0EEENS1_30default_config_static_selectorELNS0_4arch9wavefront6targetE1EEEvSM_ ; -- Begin function _ZN7rocprim17ROCPRIM_400000_NS6detail17trampoline_kernelINS0_14default_configENS1_22reduce_config_selectorIlEEZNS1_11reduce_implILb1ES3_PlS7_lN6hipcub16HIPCUB_304000_NS6detail34convert_binary_result_type_wrapperINS9_3SumENS9_22TransformInputIteratorIb7NonZeroIsEPslEElEEEE10hipError_tPvRmT1_T2_T3_mT4_P12ihipStream_tbEUlT_E1_NS1_11comp_targetILNS1_3genE8ELNS1_11target_archE1030ELNS1_3gpuE2ELNS1_3repE0EEENS1_30default_config_static_selectorELNS0_4arch9wavefront6targetE1EEEvSM_
	.globl	_ZN7rocprim17ROCPRIM_400000_NS6detail17trampoline_kernelINS0_14default_configENS1_22reduce_config_selectorIlEEZNS1_11reduce_implILb1ES3_PlS7_lN6hipcub16HIPCUB_304000_NS6detail34convert_binary_result_type_wrapperINS9_3SumENS9_22TransformInputIteratorIb7NonZeroIsEPslEElEEEE10hipError_tPvRmT1_T2_T3_mT4_P12ihipStream_tbEUlT_E1_NS1_11comp_targetILNS1_3genE8ELNS1_11target_archE1030ELNS1_3gpuE2ELNS1_3repE0EEENS1_30default_config_static_selectorELNS0_4arch9wavefront6targetE1EEEvSM_
	.p2align	8
	.type	_ZN7rocprim17ROCPRIM_400000_NS6detail17trampoline_kernelINS0_14default_configENS1_22reduce_config_selectorIlEEZNS1_11reduce_implILb1ES3_PlS7_lN6hipcub16HIPCUB_304000_NS6detail34convert_binary_result_type_wrapperINS9_3SumENS9_22TransformInputIteratorIb7NonZeroIsEPslEElEEEE10hipError_tPvRmT1_T2_T3_mT4_P12ihipStream_tbEUlT_E1_NS1_11comp_targetILNS1_3genE8ELNS1_11target_archE1030ELNS1_3gpuE2ELNS1_3repE0EEENS1_30default_config_static_selectorELNS0_4arch9wavefront6targetE1EEEvSM_,@function
_ZN7rocprim17ROCPRIM_400000_NS6detail17trampoline_kernelINS0_14default_configENS1_22reduce_config_selectorIlEEZNS1_11reduce_implILb1ES3_PlS7_lN6hipcub16HIPCUB_304000_NS6detail34convert_binary_result_type_wrapperINS9_3SumENS9_22TransformInputIteratorIb7NonZeroIsEPslEElEEEE10hipError_tPvRmT1_T2_T3_mT4_P12ihipStream_tbEUlT_E1_NS1_11comp_targetILNS1_3genE8ELNS1_11target_archE1030ELNS1_3gpuE2ELNS1_3repE0EEENS1_30default_config_static_selectorELNS0_4arch9wavefront6targetE1EEEvSM_: ; @_ZN7rocprim17ROCPRIM_400000_NS6detail17trampoline_kernelINS0_14default_configENS1_22reduce_config_selectorIlEEZNS1_11reduce_implILb1ES3_PlS7_lN6hipcub16HIPCUB_304000_NS6detail34convert_binary_result_type_wrapperINS9_3SumENS9_22TransformInputIteratorIb7NonZeroIsEPslEElEEEE10hipError_tPvRmT1_T2_T3_mT4_P12ihipStream_tbEUlT_E1_NS1_11comp_targetILNS1_3genE8ELNS1_11target_archE1030ELNS1_3gpuE2ELNS1_3repE0EEENS1_30default_config_static_selectorELNS0_4arch9wavefront6targetE1EEEvSM_
; %bb.0:
	.section	.rodata,"a",@progbits
	.p2align	6, 0x0
	.amdhsa_kernel _ZN7rocprim17ROCPRIM_400000_NS6detail17trampoline_kernelINS0_14default_configENS1_22reduce_config_selectorIlEEZNS1_11reduce_implILb1ES3_PlS7_lN6hipcub16HIPCUB_304000_NS6detail34convert_binary_result_type_wrapperINS9_3SumENS9_22TransformInputIteratorIb7NonZeroIsEPslEElEEEE10hipError_tPvRmT1_T2_T3_mT4_P12ihipStream_tbEUlT_E1_NS1_11comp_targetILNS1_3genE8ELNS1_11target_archE1030ELNS1_3gpuE2ELNS1_3repE0EEENS1_30default_config_static_selectorELNS0_4arch9wavefront6targetE1EEEvSM_
		.amdhsa_group_segment_fixed_size 0
		.amdhsa_private_segment_fixed_size 0
		.amdhsa_kernarg_size 48
		.amdhsa_user_sgpr_count 2
		.amdhsa_user_sgpr_dispatch_ptr 0
		.amdhsa_user_sgpr_queue_ptr 0
		.amdhsa_user_sgpr_kernarg_segment_ptr 1
		.amdhsa_user_sgpr_dispatch_id 0
		.amdhsa_user_sgpr_kernarg_preload_length 0
		.amdhsa_user_sgpr_kernarg_preload_offset 0
		.amdhsa_user_sgpr_private_segment_size 0
		.amdhsa_uses_dynamic_stack 0
		.amdhsa_enable_private_segment 0
		.amdhsa_system_sgpr_workgroup_id_x 1
		.amdhsa_system_sgpr_workgroup_id_y 0
		.amdhsa_system_sgpr_workgroup_id_z 0
		.amdhsa_system_sgpr_workgroup_info 0
		.amdhsa_system_vgpr_workitem_id 0
		.amdhsa_next_free_vgpr 1
		.amdhsa_next_free_sgpr 0
		.amdhsa_accum_offset 4
		.amdhsa_reserve_vcc 0
		.amdhsa_float_round_mode_32 0
		.amdhsa_float_round_mode_16_64 0
		.amdhsa_float_denorm_mode_32 3
		.amdhsa_float_denorm_mode_16_64 3
		.amdhsa_dx10_clamp 1
		.amdhsa_ieee_mode 1
		.amdhsa_fp16_overflow 0
		.amdhsa_tg_split 0
		.amdhsa_exception_fp_ieee_invalid_op 0
		.amdhsa_exception_fp_denorm_src 0
		.amdhsa_exception_fp_ieee_div_zero 0
		.amdhsa_exception_fp_ieee_overflow 0
		.amdhsa_exception_fp_ieee_underflow 0
		.amdhsa_exception_fp_ieee_inexact 0
		.amdhsa_exception_int_div_zero 0
	.end_amdhsa_kernel
	.section	.text._ZN7rocprim17ROCPRIM_400000_NS6detail17trampoline_kernelINS0_14default_configENS1_22reduce_config_selectorIlEEZNS1_11reduce_implILb1ES3_PlS7_lN6hipcub16HIPCUB_304000_NS6detail34convert_binary_result_type_wrapperINS9_3SumENS9_22TransformInputIteratorIb7NonZeroIsEPslEElEEEE10hipError_tPvRmT1_T2_T3_mT4_P12ihipStream_tbEUlT_E1_NS1_11comp_targetILNS1_3genE8ELNS1_11target_archE1030ELNS1_3gpuE2ELNS1_3repE0EEENS1_30default_config_static_selectorELNS0_4arch9wavefront6targetE1EEEvSM_,"axG",@progbits,_ZN7rocprim17ROCPRIM_400000_NS6detail17trampoline_kernelINS0_14default_configENS1_22reduce_config_selectorIlEEZNS1_11reduce_implILb1ES3_PlS7_lN6hipcub16HIPCUB_304000_NS6detail34convert_binary_result_type_wrapperINS9_3SumENS9_22TransformInputIteratorIb7NonZeroIsEPslEElEEEE10hipError_tPvRmT1_T2_T3_mT4_P12ihipStream_tbEUlT_E1_NS1_11comp_targetILNS1_3genE8ELNS1_11target_archE1030ELNS1_3gpuE2ELNS1_3repE0EEENS1_30default_config_static_selectorELNS0_4arch9wavefront6targetE1EEEvSM_,comdat
.Lfunc_end98:
	.size	_ZN7rocprim17ROCPRIM_400000_NS6detail17trampoline_kernelINS0_14default_configENS1_22reduce_config_selectorIlEEZNS1_11reduce_implILb1ES3_PlS7_lN6hipcub16HIPCUB_304000_NS6detail34convert_binary_result_type_wrapperINS9_3SumENS9_22TransformInputIteratorIb7NonZeroIsEPslEElEEEE10hipError_tPvRmT1_T2_T3_mT4_P12ihipStream_tbEUlT_E1_NS1_11comp_targetILNS1_3genE8ELNS1_11target_archE1030ELNS1_3gpuE2ELNS1_3repE0EEENS1_30default_config_static_selectorELNS0_4arch9wavefront6targetE1EEEvSM_, .Lfunc_end98-_ZN7rocprim17ROCPRIM_400000_NS6detail17trampoline_kernelINS0_14default_configENS1_22reduce_config_selectorIlEEZNS1_11reduce_implILb1ES3_PlS7_lN6hipcub16HIPCUB_304000_NS6detail34convert_binary_result_type_wrapperINS9_3SumENS9_22TransformInputIteratorIb7NonZeroIsEPslEElEEEE10hipError_tPvRmT1_T2_T3_mT4_P12ihipStream_tbEUlT_E1_NS1_11comp_targetILNS1_3genE8ELNS1_11target_archE1030ELNS1_3gpuE2ELNS1_3repE0EEENS1_30default_config_static_selectorELNS0_4arch9wavefront6targetE1EEEvSM_
                                        ; -- End function
	.set _ZN7rocprim17ROCPRIM_400000_NS6detail17trampoline_kernelINS0_14default_configENS1_22reduce_config_selectorIlEEZNS1_11reduce_implILb1ES3_PlS7_lN6hipcub16HIPCUB_304000_NS6detail34convert_binary_result_type_wrapperINS9_3SumENS9_22TransformInputIteratorIb7NonZeroIsEPslEElEEEE10hipError_tPvRmT1_T2_T3_mT4_P12ihipStream_tbEUlT_E1_NS1_11comp_targetILNS1_3genE8ELNS1_11target_archE1030ELNS1_3gpuE2ELNS1_3repE0EEENS1_30default_config_static_selectorELNS0_4arch9wavefront6targetE1EEEvSM_.num_vgpr, 0
	.set _ZN7rocprim17ROCPRIM_400000_NS6detail17trampoline_kernelINS0_14default_configENS1_22reduce_config_selectorIlEEZNS1_11reduce_implILb1ES3_PlS7_lN6hipcub16HIPCUB_304000_NS6detail34convert_binary_result_type_wrapperINS9_3SumENS9_22TransformInputIteratorIb7NonZeroIsEPslEElEEEE10hipError_tPvRmT1_T2_T3_mT4_P12ihipStream_tbEUlT_E1_NS1_11comp_targetILNS1_3genE8ELNS1_11target_archE1030ELNS1_3gpuE2ELNS1_3repE0EEENS1_30default_config_static_selectorELNS0_4arch9wavefront6targetE1EEEvSM_.num_agpr, 0
	.set _ZN7rocprim17ROCPRIM_400000_NS6detail17trampoline_kernelINS0_14default_configENS1_22reduce_config_selectorIlEEZNS1_11reduce_implILb1ES3_PlS7_lN6hipcub16HIPCUB_304000_NS6detail34convert_binary_result_type_wrapperINS9_3SumENS9_22TransformInputIteratorIb7NonZeroIsEPslEElEEEE10hipError_tPvRmT1_T2_T3_mT4_P12ihipStream_tbEUlT_E1_NS1_11comp_targetILNS1_3genE8ELNS1_11target_archE1030ELNS1_3gpuE2ELNS1_3repE0EEENS1_30default_config_static_selectorELNS0_4arch9wavefront6targetE1EEEvSM_.numbered_sgpr, 0
	.set _ZN7rocprim17ROCPRIM_400000_NS6detail17trampoline_kernelINS0_14default_configENS1_22reduce_config_selectorIlEEZNS1_11reduce_implILb1ES3_PlS7_lN6hipcub16HIPCUB_304000_NS6detail34convert_binary_result_type_wrapperINS9_3SumENS9_22TransformInputIteratorIb7NonZeroIsEPslEElEEEE10hipError_tPvRmT1_T2_T3_mT4_P12ihipStream_tbEUlT_E1_NS1_11comp_targetILNS1_3genE8ELNS1_11target_archE1030ELNS1_3gpuE2ELNS1_3repE0EEENS1_30default_config_static_selectorELNS0_4arch9wavefront6targetE1EEEvSM_.num_named_barrier, 0
	.set _ZN7rocprim17ROCPRIM_400000_NS6detail17trampoline_kernelINS0_14default_configENS1_22reduce_config_selectorIlEEZNS1_11reduce_implILb1ES3_PlS7_lN6hipcub16HIPCUB_304000_NS6detail34convert_binary_result_type_wrapperINS9_3SumENS9_22TransformInputIteratorIb7NonZeroIsEPslEElEEEE10hipError_tPvRmT1_T2_T3_mT4_P12ihipStream_tbEUlT_E1_NS1_11comp_targetILNS1_3genE8ELNS1_11target_archE1030ELNS1_3gpuE2ELNS1_3repE0EEENS1_30default_config_static_selectorELNS0_4arch9wavefront6targetE1EEEvSM_.private_seg_size, 0
	.set _ZN7rocprim17ROCPRIM_400000_NS6detail17trampoline_kernelINS0_14default_configENS1_22reduce_config_selectorIlEEZNS1_11reduce_implILb1ES3_PlS7_lN6hipcub16HIPCUB_304000_NS6detail34convert_binary_result_type_wrapperINS9_3SumENS9_22TransformInputIteratorIb7NonZeroIsEPslEElEEEE10hipError_tPvRmT1_T2_T3_mT4_P12ihipStream_tbEUlT_E1_NS1_11comp_targetILNS1_3genE8ELNS1_11target_archE1030ELNS1_3gpuE2ELNS1_3repE0EEENS1_30default_config_static_selectorELNS0_4arch9wavefront6targetE1EEEvSM_.uses_vcc, 0
	.set _ZN7rocprim17ROCPRIM_400000_NS6detail17trampoline_kernelINS0_14default_configENS1_22reduce_config_selectorIlEEZNS1_11reduce_implILb1ES3_PlS7_lN6hipcub16HIPCUB_304000_NS6detail34convert_binary_result_type_wrapperINS9_3SumENS9_22TransformInputIteratorIb7NonZeroIsEPslEElEEEE10hipError_tPvRmT1_T2_T3_mT4_P12ihipStream_tbEUlT_E1_NS1_11comp_targetILNS1_3genE8ELNS1_11target_archE1030ELNS1_3gpuE2ELNS1_3repE0EEENS1_30default_config_static_selectorELNS0_4arch9wavefront6targetE1EEEvSM_.uses_flat_scratch, 0
	.set _ZN7rocprim17ROCPRIM_400000_NS6detail17trampoline_kernelINS0_14default_configENS1_22reduce_config_selectorIlEEZNS1_11reduce_implILb1ES3_PlS7_lN6hipcub16HIPCUB_304000_NS6detail34convert_binary_result_type_wrapperINS9_3SumENS9_22TransformInputIteratorIb7NonZeroIsEPslEElEEEE10hipError_tPvRmT1_T2_T3_mT4_P12ihipStream_tbEUlT_E1_NS1_11comp_targetILNS1_3genE8ELNS1_11target_archE1030ELNS1_3gpuE2ELNS1_3repE0EEENS1_30default_config_static_selectorELNS0_4arch9wavefront6targetE1EEEvSM_.has_dyn_sized_stack, 0
	.set _ZN7rocprim17ROCPRIM_400000_NS6detail17trampoline_kernelINS0_14default_configENS1_22reduce_config_selectorIlEEZNS1_11reduce_implILb1ES3_PlS7_lN6hipcub16HIPCUB_304000_NS6detail34convert_binary_result_type_wrapperINS9_3SumENS9_22TransformInputIteratorIb7NonZeroIsEPslEElEEEE10hipError_tPvRmT1_T2_T3_mT4_P12ihipStream_tbEUlT_E1_NS1_11comp_targetILNS1_3genE8ELNS1_11target_archE1030ELNS1_3gpuE2ELNS1_3repE0EEENS1_30default_config_static_selectorELNS0_4arch9wavefront6targetE1EEEvSM_.has_recursion, 0
	.set _ZN7rocprim17ROCPRIM_400000_NS6detail17trampoline_kernelINS0_14default_configENS1_22reduce_config_selectorIlEEZNS1_11reduce_implILb1ES3_PlS7_lN6hipcub16HIPCUB_304000_NS6detail34convert_binary_result_type_wrapperINS9_3SumENS9_22TransformInputIteratorIb7NonZeroIsEPslEElEEEE10hipError_tPvRmT1_T2_T3_mT4_P12ihipStream_tbEUlT_E1_NS1_11comp_targetILNS1_3genE8ELNS1_11target_archE1030ELNS1_3gpuE2ELNS1_3repE0EEENS1_30default_config_static_selectorELNS0_4arch9wavefront6targetE1EEEvSM_.has_indirect_call, 0
	.section	.AMDGPU.csdata,"",@progbits
; Kernel info:
; codeLenInByte = 0
; TotalNumSgprs: 6
; NumVgprs: 0
; NumAgprs: 0
; TotalNumVgprs: 0
; ScratchSize: 0
; MemoryBound: 0
; FloatMode: 240
; IeeeMode: 1
; LDSByteSize: 0 bytes/workgroup (compile time only)
; SGPRBlocks: 0
; VGPRBlocks: 0
; NumSGPRsForWavesPerEU: 6
; NumVGPRsForWavesPerEU: 1
; AccumOffset: 4
; Occupancy: 8
; WaveLimiterHint : 0
; COMPUTE_PGM_RSRC2:SCRATCH_EN: 0
; COMPUTE_PGM_RSRC2:USER_SGPR: 2
; COMPUTE_PGM_RSRC2:TRAP_HANDLER: 0
; COMPUTE_PGM_RSRC2:TGID_X_EN: 1
; COMPUTE_PGM_RSRC2:TGID_Y_EN: 0
; COMPUTE_PGM_RSRC2:TGID_Z_EN: 0
; COMPUTE_PGM_RSRC2:TIDIG_COMP_CNT: 0
; COMPUTE_PGM_RSRC3_GFX90A:ACCUM_OFFSET: 0
; COMPUTE_PGM_RSRC3_GFX90A:TG_SPLIT: 0
	.section	.text._ZN7rocprim17ROCPRIM_400000_NS6detail17trampoline_kernelINS0_14default_configENS1_22reduce_config_selectorIbEEZNS1_11reduce_implILb1ES3_N6hipcub16HIPCUB_304000_NS22TransformInputIteratorIb7NonZeroIsEPslEEPllNS8_6detail34convert_binary_result_type_wrapperINS8_3SumESD_lEEEE10hipError_tPvRmT1_T2_T3_mT4_P12ihipStream_tbEUlT_E0_NS1_11comp_targetILNS1_3genE0ELNS1_11target_archE4294967295ELNS1_3gpuE0ELNS1_3repE0EEENS1_30default_config_static_selectorELNS0_4arch9wavefront6targetE1EEEvSM_,"axG",@progbits,_ZN7rocprim17ROCPRIM_400000_NS6detail17trampoline_kernelINS0_14default_configENS1_22reduce_config_selectorIbEEZNS1_11reduce_implILb1ES3_N6hipcub16HIPCUB_304000_NS22TransformInputIteratorIb7NonZeroIsEPslEEPllNS8_6detail34convert_binary_result_type_wrapperINS8_3SumESD_lEEEE10hipError_tPvRmT1_T2_T3_mT4_P12ihipStream_tbEUlT_E0_NS1_11comp_targetILNS1_3genE0ELNS1_11target_archE4294967295ELNS1_3gpuE0ELNS1_3repE0EEENS1_30default_config_static_selectorELNS0_4arch9wavefront6targetE1EEEvSM_,comdat
	.protected	_ZN7rocprim17ROCPRIM_400000_NS6detail17trampoline_kernelINS0_14default_configENS1_22reduce_config_selectorIbEEZNS1_11reduce_implILb1ES3_N6hipcub16HIPCUB_304000_NS22TransformInputIteratorIb7NonZeroIsEPslEEPllNS8_6detail34convert_binary_result_type_wrapperINS8_3SumESD_lEEEE10hipError_tPvRmT1_T2_T3_mT4_P12ihipStream_tbEUlT_E0_NS1_11comp_targetILNS1_3genE0ELNS1_11target_archE4294967295ELNS1_3gpuE0ELNS1_3repE0EEENS1_30default_config_static_selectorELNS0_4arch9wavefront6targetE1EEEvSM_ ; -- Begin function _ZN7rocprim17ROCPRIM_400000_NS6detail17trampoline_kernelINS0_14default_configENS1_22reduce_config_selectorIbEEZNS1_11reduce_implILb1ES3_N6hipcub16HIPCUB_304000_NS22TransformInputIteratorIb7NonZeroIsEPslEEPllNS8_6detail34convert_binary_result_type_wrapperINS8_3SumESD_lEEEE10hipError_tPvRmT1_T2_T3_mT4_P12ihipStream_tbEUlT_E0_NS1_11comp_targetILNS1_3genE0ELNS1_11target_archE4294967295ELNS1_3gpuE0ELNS1_3repE0EEENS1_30default_config_static_selectorELNS0_4arch9wavefront6targetE1EEEvSM_
	.globl	_ZN7rocprim17ROCPRIM_400000_NS6detail17trampoline_kernelINS0_14default_configENS1_22reduce_config_selectorIbEEZNS1_11reduce_implILb1ES3_N6hipcub16HIPCUB_304000_NS22TransformInputIteratorIb7NonZeroIsEPslEEPllNS8_6detail34convert_binary_result_type_wrapperINS8_3SumESD_lEEEE10hipError_tPvRmT1_T2_T3_mT4_P12ihipStream_tbEUlT_E0_NS1_11comp_targetILNS1_3genE0ELNS1_11target_archE4294967295ELNS1_3gpuE0ELNS1_3repE0EEENS1_30default_config_static_selectorELNS0_4arch9wavefront6targetE1EEEvSM_
	.p2align	8
	.type	_ZN7rocprim17ROCPRIM_400000_NS6detail17trampoline_kernelINS0_14default_configENS1_22reduce_config_selectorIbEEZNS1_11reduce_implILb1ES3_N6hipcub16HIPCUB_304000_NS22TransformInputIteratorIb7NonZeroIsEPslEEPllNS8_6detail34convert_binary_result_type_wrapperINS8_3SumESD_lEEEE10hipError_tPvRmT1_T2_T3_mT4_P12ihipStream_tbEUlT_E0_NS1_11comp_targetILNS1_3genE0ELNS1_11target_archE4294967295ELNS1_3gpuE0ELNS1_3repE0EEENS1_30default_config_static_selectorELNS0_4arch9wavefront6targetE1EEEvSM_,@function
_ZN7rocprim17ROCPRIM_400000_NS6detail17trampoline_kernelINS0_14default_configENS1_22reduce_config_selectorIbEEZNS1_11reduce_implILb1ES3_N6hipcub16HIPCUB_304000_NS22TransformInputIteratorIb7NonZeroIsEPslEEPllNS8_6detail34convert_binary_result_type_wrapperINS8_3SumESD_lEEEE10hipError_tPvRmT1_T2_T3_mT4_P12ihipStream_tbEUlT_E0_NS1_11comp_targetILNS1_3genE0ELNS1_11target_archE4294967295ELNS1_3gpuE0ELNS1_3repE0EEENS1_30default_config_static_selectorELNS0_4arch9wavefront6targetE1EEEvSM_: ; @_ZN7rocprim17ROCPRIM_400000_NS6detail17trampoline_kernelINS0_14default_configENS1_22reduce_config_selectorIbEEZNS1_11reduce_implILb1ES3_N6hipcub16HIPCUB_304000_NS22TransformInputIteratorIb7NonZeroIsEPslEEPllNS8_6detail34convert_binary_result_type_wrapperINS8_3SumESD_lEEEE10hipError_tPvRmT1_T2_T3_mT4_P12ihipStream_tbEUlT_E0_NS1_11comp_targetILNS1_3genE0ELNS1_11target_archE4294967295ELNS1_3gpuE0ELNS1_3repE0EEENS1_30default_config_static_selectorELNS0_4arch9wavefront6targetE1EEEvSM_
; %bb.0:
	s_load_dwordx8 s[36:43], s[0:1], 0x10
	s_load_dwordx2 s[4:5], s[0:1], 0x0
	s_load_dwordx4 s[44:47], s[0:1], 0x30
	s_mov_b32 s3, 0
	v_lshlrev_b32_e32 v34, 1, v0
	s_waitcnt lgkmcnt(0)
	s_lshl_b64 s[0:1], s[36:37], 1
	s_add_u32 s8, s4, s0
	s_addc_u32 s9, s5, s1
	s_lshl_b32 s0, s2, 12
	s_mov_b32 s1, s3
	s_lshr_b64 s[4:5], s[38:39], 12
	s_lshl_b64 s[6:7], s[0:1], 1
	s_add_u32 s30, s8, s6
	s_addc_u32 s31, s9, s7
	s_cmp_lg_u64 s[4:5], s[2:3]
	v_mbcnt_lo_u32_b32 v1, -1, 0
	s_cbranch_scc0 .LBB99_6
; %bb.1:
	global_load_ushort v5, v34, s[30:31] offset:1536
	global_load_ushort v6, v34, s[30:31] offset:2048
	;; [unrolled: 1-line block ×4, first 2 shown]
	global_load_ushort v14, v34, s[30:31]
	global_load_ushort v12, v34, s[30:31] offset:3584
	global_load_ushort v16, v34, s[30:31] offset:512
	;; [unrolled: 1-line block ×3, first 2 shown]
	v_mov_b32_e32 v35, 0
	s_movk_i32 s1, 0x1000
	v_lshl_add_u64 v[2:3], s[30:31], 0, v[34:35]
	v_add_co_u32_e32 v2, vcc, s1, v2
	v_mov_b32_e32 v31, v35
	s_nop 0
	v_addc_co_u32_e32 v3, vcc, 0, v3, vcc
	global_load_ushort v20, v[2:3], off
	global_load_ushort v22, v[2:3], off offset:512
	global_load_ushort v24, v[2:3], off offset:1024
	;; [unrolled: 1-line block ×7, first 2 shown]
	v_mov_b32_e32 v3, s3
	v_mov_b32_e32 v7, s3
	;; [unrolled: 1-line block ×14, first 2 shown]
	v_mov_b32_dpp v33, v35 quad_perm:[1,0,3,2] row_mask:0xf bank_mask:0xf bound_ctrl:1
	v_mov_b32_e32 v32, v35
	v_mov_b32_e32 v41, v35
	;; [unrolled: 1-line block ×5, first 2 shown]
	v_mbcnt_hi_u32_b32 v4, -1, v1
	s_waitcnt vmcnt(15)
	v_cmp_ne_u16_e32 vcc, 0, v5
	s_nop 1
	v_cndmask_b32_e64 v2, 0, 1, vcc
	s_waitcnt vmcnt(14)
	v_cmp_ne_u16_e32 vcc, 0, v6
	s_nop 1
	v_cndmask_b32_e64 v6, 0, 1, vcc
	s_waitcnt vmcnt(13)
	v_cmp_ne_u16_e32 vcc, 0, v8
	s_nop 1
	v_cndmask_b32_e64 v8, 0, 1, vcc
	s_waitcnt vmcnt(12)
	v_cmp_ne_u16_e32 vcc, 0, v10
	s_nop 1
	v_cndmask_b32_e64 v10, 0, 1, vcc
	s_waitcnt vmcnt(10)
	v_cmp_ne_u16_e32 vcc, 0, v12
	s_nop 1
	v_cndmask_b32_e64 v12, 0, 1, vcc
	s_waitcnt vmcnt(9)
	v_cmp_ne_u16_e32 vcc, 0, v16
	s_nop 1
	v_cndmask_b32_e64 v5, 0, 1, vcc
	v_cmp_ne_u16_e32 vcc, 0, v14
	s_nop 1
	v_cndmask_b32_e64 v14, 0, 1, vcc
	s_waitcnt vmcnt(8)
	v_cmp_ne_u16_e32 vcc, 0, v18
	s_nop 1
	v_addc_co_u32_e32 v30, vcc, v5, v14, vcc
	v_lshl_add_u64 v[2:3], v[30:31], 0, v[2:3]
	v_lshl_add_u64 v[2:3], v[2:3], 0, v[6:7]
	v_lshl_add_u64 v[2:3], v[2:3], 0, v[8:9]
	s_waitcnt vmcnt(7)
	v_cmp_ne_u16_e32 vcc, 0, v20
	v_lshl_add_u64 v[2:3], v[2:3], 0, v[10:11]
	v_lshl_add_u64 v[2:3], v[2:3], 0, v[12:13]
	v_cndmask_b32_e64 v14, 0, 1, vcc
	s_waitcnt vmcnt(6)
	v_cmp_ne_u16_e32 vcc, 0, v22
	v_lshl_add_u64 v[2:3], v[2:3], 0, v[14:15]
	v_mov_b32_e32 v8, v35
	v_cndmask_b32_e64 v16, 0, 1, vcc
	s_waitcnt vmcnt(5)
	v_cmp_ne_u16_e32 vcc, 0, v24
	v_lshl_add_u64 v[2:3], v[2:3], 0, v[16:17]
	v_lshlrev_b32_e32 v5, 2, v4
	v_cndmask_b32_e64 v18, 0, 1, vcc
	s_waitcnt vmcnt(4)
	v_cmp_ne_u16_e32 vcc, 0, v26
	v_lshl_add_u64 v[2:3], v[2:3], 0, v[18:19]
	s_nop 0
	v_cndmask_b32_e64 v20, 0, 1, vcc
	s_waitcnt vmcnt(3)
	v_cmp_ne_u16_e32 vcc, 0, v28
	v_lshl_add_u64 v[2:3], v[2:3], 0, v[20:21]
	s_nop 0
	;; [unrolled: 5-line block ×5, first 2 shown]
	v_cndmask_b32_e64 v28, 0, 1, vcc
	v_lshl_add_u64 v[2:3], v[2:3], 0, v[28:29]
	v_cmp_eq_u32_e32 vcc, 0, v4
	s_nop 0
	v_mov_b32_dpp v36, v2 quad_perm:[1,0,3,2] row_mask:0xf bank_mask:0xf bound_ctrl:1
	v_lshl_add_u64 v[2:3], v[2:3], 0, v[36:37]
	v_lshl_add_u64 v[6:7], v[32:33], 0, v[2:3]
	s_nop 0
	v_mov_b32_dpp v40, v2 quad_perm:[2,3,0,1] row_mask:0xf bank_mask:0xf bound_ctrl:1
	v_mov_b32_dpp v39, v7 quad_perm:[2,3,0,1] row_mask:0xf bank_mask:0xf bound_ctrl:1
	v_lshl_add_u64 v[2:3], v[6:7], 0, v[40:41]
	v_lshl_add_u64 v[6:7], v[2:3], 0, v[38:39]
	s_nop 0
	v_mov_b32_dpp v44, v2 row_ror:4 row_mask:0xf bank_mask:0xf bound_ctrl:1
	v_mov_b32_dpp v43, v7 row_ror:4 row_mask:0xf bank_mask:0xf bound_ctrl:1
	v_lshl_add_u64 v[2:3], v[6:7], 0, v[44:45]
	v_lshl_add_u64 v[6:7], v[2:3], 0, v[42:43]
	v_mov_b32_e32 v3, v35
	v_mov_b32_dpp v2, v2 row_ror:8 row_mask:0xf bank_mask:0xf bound_ctrl:1
	v_mov_b32_dpp v9, v7 row_ror:8 row_mask:0xf bank_mask:0xf bound_ctrl:1
	v_lshl_add_u64 v[2:3], v[6:7], 0, v[2:3]
	v_lshl_add_u64 v[6:7], v[2:3], 0, v[8:9]
	v_mov_b32_e32 v3, v35
	v_mov_b32_dpp v2, v2 row_bcast:15 row_mask:0xf bank_mask:0xf bound_ctrl:1
	v_mov_b32_dpp v9, v7 row_bcast:15 row_mask:0xf bank_mask:0xf bound_ctrl:1
	v_lshl_add_u64 v[2:3], v[6:7], 0, v[2:3]
	v_lshl_add_u64 v[6:7], v[2:3], 0, v[8:9]
	v_mov_b32_e32 v3, v35
	v_mov_b32_dpp v2, v2 row_bcast:31 row_mask:0xf bank_mask:0xf bound_ctrl:1
	v_lshl_add_u64 v[2:3], v[6:7], 0, v[2:3]
	v_or_b32_e32 v6, 0xfc, v5
	ds_bpermute_b32 v2, v6, v2
	v_add_u32_dpp v3, v7, v3 row_bcast:31 row_mask:0xf bank_mask:0xf bound_ctrl:1
	ds_bpermute_b32 v3, v6, v3
	s_and_saveexec_b64 s[4:5], vcc
	s_cbranch_execz .LBB99_3
; %bb.2:
	v_lshrrev_b32_e32 v6, 3, v0
	v_and_b32_e32 v6, 24, v6
	s_waitcnt lgkmcnt(0)
	ds_write_b64 v6, v[2:3]
.LBB99_3:
	s_or_b64 exec, exec, s[4:5]
	v_cmp_gt_u32_e32 vcc, 64, v0
	s_waitcnt lgkmcnt(0)
	s_barrier
	s_and_saveexec_b64 s[4:5], vcc
	s_cbranch_execz .LBB99_5
; %bb.4:
	v_and_b32_e32 v6, 3, v4
	v_lshlrev_b32_e32 v2, 3, v6
	ds_read_b64 v[2:3], v2
	v_cmp_ne_u32_e32 vcc, 3, v6
	v_or_b32_e32 v8, 8, v5
	s_nop 0
	v_addc_co_u32_e32 v4, vcc, 0, v4, vcc
	v_lshlrev_b32_e32 v6, 2, v4
	s_waitcnt lgkmcnt(0)
	ds_bpermute_b32 v4, v6, v2
	ds_bpermute_b32 v7, v6, v3
	v_mov_b32_e32 v6, 0
	v_mov_b32_e32 v5, v6
	s_waitcnt lgkmcnt(1)
	v_lshl_add_u64 v[2:3], v[2:3], 0, v[4:5]
	s_waitcnt lgkmcnt(0)
	v_lshl_add_u64 v[4:5], v[6:7], 0, v[2:3]
	ds_bpermute_b32 v2, v8, v2
	ds_bpermute_b32 v7, v8, v5
	v_mov_b32_e32 v3, v6
	s_waitcnt lgkmcnt(1)
	v_lshl_add_u64 v[2:3], v[4:5], 0, v[2:3]
	s_waitcnt lgkmcnt(0)
	v_lshl_add_u64 v[2:3], v[2:3], 0, v[6:7]
.LBB99_5:
	s_or_b64 exec, exec, s[4:5]
	s_branch .LBB99_48
.LBB99_6:
                                        ; implicit-def: $vgpr2_vgpr3
	s_cbranch_execz .LBB99_48
; %bb.7:
	s_sub_i32 s33, s38, s0
	v_mov_b32_e32 v2, 0
	v_cmp_gt_u32_e32 vcc, s33, v0
	v_mov_b32_e32 v3, v2
	v_mov_b32_e32 v4, v2
	v_mov_b32_e32 v5, v2
	v_mov_b32_e32 v6, v2
	v_mov_b32_e32 v7, v2
	v_mov_b32_e32 v8, v2
	v_mov_b32_e32 v9, v2
	v_mov_b32_e32 v10, v2
	v_mov_b32_e32 v11, v2
	v_mov_b32_e32 v12, v2
	v_mov_b32_e32 v13, v2
	v_mov_b32_e32 v14, v2
	v_mov_b32_e32 v15, v2
	v_mov_b32_e32 v16, v2
	v_mov_b32_e32 v17, v2
	v_mov_b32_e32 v18, v2
	v_mov_b32_e32 v19, v2
	v_mov_b32_e32 v20, v2
	v_mov_b32_e32 v21, v2
	v_mov_b32_e32 v22, v2
	v_mov_b32_e32 v23, v2
	v_mov_b32_e32 v24, v2
	v_mov_b32_e32 v25, v2
	v_mov_b32_e32 v26, v2
	v_mov_b32_e32 v27, v2
	v_mov_b32_e32 v28, v2
	v_mov_b32_e32 v29, v2
	v_mov_b32_e32 v30, v2
	v_mov_b32_e32 v31, v2
	v_mov_b32_e32 v32, v2
	v_mov_b32_e32 v33, v2
	s_and_saveexec_b64 s[0:1], vcc
	s_cbranch_execz .LBB99_9
; %bb.8:
	global_load_ushort v35, v34, s[30:31]
	v_mov_b32_e32 v3, v2
	v_mov_b32_e32 v4, v2
	;; [unrolled: 1-line block ×31, first 2 shown]
	s_waitcnt vmcnt(0)
	v_cmp_ne_u16_e32 vcc, 0, v35
	s_nop 1
	v_cndmask_b32_e64 v2, 0, 1, vcc
.LBB99_9:
	s_or_b64 exec, exec, s[0:1]
	v_or_b32_e32 v35, 0x100, v0
	v_cmp_gt_u32_e32 vcc, s33, v35
	s_and_saveexec_b64 s[4:5], vcc
	s_cbranch_execz .LBB99_11
; %bb.10:
	global_load_ushort v4, v34, s[30:31] offset:512
	s_mov_b32 s6, 0
	v_mov_b32_e32 v5, s6
	s_waitcnt vmcnt(0)
	v_cmp_ne_u16_e64 s[0:1], 0, v4
	s_nop 1
	v_cndmask_b32_e64 v4, 0, 1, s[0:1]
.LBB99_11:
	s_or_b64 exec, exec, s[4:5]
	v_or_b32_e32 v35, 0x200, v0
	v_cmp_gt_u32_e64 s[0:1], s33, v35
	s_and_saveexec_b64 s[6:7], s[0:1]
	s_cbranch_execz .LBB99_13
; %bb.12:
	global_load_ushort v6, v34, s[30:31] offset:1024
	s_mov_b32 s8, 0
	v_mov_b32_e32 v7, s8
	s_waitcnt vmcnt(0)
	v_cmp_ne_u16_e64 s[4:5], 0, v6
	s_nop 1
	v_cndmask_b32_e64 v6, 0, 1, s[4:5]
.LBB99_13:
	s_or_b64 exec, exec, s[6:7]
	v_or_b32_e32 v35, 0x300, v0
	v_cmp_gt_u32_e64 s[4:5], s33, v35
	s_and_saveexec_b64 s[8:9], s[4:5]
	s_cbranch_execz .LBB99_15
; %bb.14:
	global_load_ushort v8, v34, s[30:31] offset:1536
	s_mov_b32 s10, 0
	v_mov_b32_e32 v9, s10
	s_waitcnt vmcnt(0)
	v_cmp_ne_u16_e64 s[6:7], 0, v8
	s_nop 1
	v_cndmask_b32_e64 v8, 0, 1, s[6:7]
.LBB99_15:
	s_or_b64 exec, exec, s[8:9]
	v_or_b32_e32 v35, 0x400, v0
	v_cmp_gt_u32_e64 s[6:7], s33, v35
	s_and_saveexec_b64 s[10:11], s[6:7]
	s_cbranch_execz .LBB99_17
; %bb.16:
	global_load_ushort v10, v34, s[30:31] offset:2048
	s_mov_b32 s12, 0
	v_mov_b32_e32 v11, s12
	s_waitcnt vmcnt(0)
	v_cmp_ne_u16_e64 s[8:9], 0, v10
	s_nop 1
	v_cndmask_b32_e64 v10, 0, 1, s[8:9]
.LBB99_17:
	s_or_b64 exec, exec, s[10:11]
	v_or_b32_e32 v35, 0x500, v0
	v_cmp_gt_u32_e64 s[8:9], s33, v35
	s_and_saveexec_b64 s[12:13], s[8:9]
	s_cbranch_execz .LBB99_19
; %bb.18:
	global_load_ushort v12, v34, s[30:31] offset:2560
	s_mov_b32 s14, 0
	v_mov_b32_e32 v13, s14
	s_waitcnt vmcnt(0)
	v_cmp_ne_u16_e64 s[10:11], 0, v12
	s_nop 1
	v_cndmask_b32_e64 v12, 0, 1, s[10:11]
.LBB99_19:
	s_or_b64 exec, exec, s[12:13]
	v_or_b32_e32 v35, 0x600, v0
	v_cmp_gt_u32_e64 s[10:11], s33, v35
	s_and_saveexec_b64 s[14:15], s[10:11]
	s_cbranch_execz .LBB99_21
; %bb.20:
	global_load_ushort v14, v34, s[30:31] offset:3072
	s_mov_b32 s16, 0
	v_mov_b32_e32 v15, s16
	s_waitcnt vmcnt(0)
	v_cmp_ne_u16_e64 s[12:13], 0, v14
	s_nop 1
	v_cndmask_b32_e64 v14, 0, 1, s[12:13]
.LBB99_21:
	s_or_b64 exec, exec, s[14:15]
	v_or_b32_e32 v35, 0x700, v0
	v_cmp_gt_u32_e64 s[12:13], s33, v35
	s_and_saveexec_b64 s[16:17], s[12:13]
	s_cbranch_execz .LBB99_23
; %bb.22:
	global_load_ushort v16, v34, s[30:31] offset:3584
	s_mov_b32 s18, 0
	v_mov_b32_e32 v17, s18
	s_waitcnt vmcnt(0)
	v_cmp_ne_u16_e64 s[14:15], 0, v16
	s_nop 1
	v_cndmask_b32_e64 v16, 0, 1, s[14:15]
.LBB99_23:
	s_or_b64 exec, exec, s[16:17]
	v_or_b32_e32 v34, 0x800, v0
	v_cmp_gt_u32_e64 s[14:15], s33, v34
	s_and_saveexec_b64 s[18:19], s[14:15]
	s_cbranch_execz .LBB99_25
; %bb.24:
	v_lshlrev_b32_e32 v18, 1, v34
	global_load_ushort v18, v18, s[30:31]
	s_mov_b32 s20, 0
	v_mov_b32_e32 v19, s20
	s_waitcnt vmcnt(0)
	v_cmp_ne_u16_e64 s[16:17], 0, v18
	s_nop 1
	v_cndmask_b32_e64 v18, 0, 1, s[16:17]
.LBB99_25:
	s_or_b64 exec, exec, s[18:19]
	v_or_b32_e32 v34, 0x900, v0
	v_cmp_gt_u32_e64 s[16:17], s33, v34
	s_and_saveexec_b64 s[20:21], s[16:17]
	s_cbranch_execz .LBB99_27
; %bb.26:
	v_lshlrev_b32_e32 v20, 1, v34
	global_load_ushort v20, v20, s[30:31]
	s_mov_b32 s22, 0
	v_mov_b32_e32 v21, s22
	s_waitcnt vmcnt(0)
	v_cmp_ne_u16_e64 s[18:19], 0, v20
	s_nop 1
	v_cndmask_b32_e64 v20, 0, 1, s[18:19]
.LBB99_27:
	s_or_b64 exec, exec, s[20:21]
	v_or_b32_e32 v34, 0xa00, v0
	v_cmp_gt_u32_e64 s[18:19], s33, v34
	s_and_saveexec_b64 s[22:23], s[18:19]
	;; [unrolled: 15-line block ×7, first 2 shown]
	s_cbranch_execz .LBB99_39
; %bb.38:
	v_lshlrev_b32_e32 v32, 1, v34
	global_load_ushort v32, v32, s[30:31]
	s_mov_b32 s36, 0
	v_mov_b32_e32 v33, s36
	s_waitcnt vmcnt(0)
	v_cmp_ne_u16_e64 s[30:31], 0, v32
	s_nop 1
	v_cndmask_b32_e64 v32, 0, 1, s[30:31]
.LBB99_39:
	s_or_b64 exec, exec, s[34:35]
	v_cndmask_b32_e32 v5, 0, v5, vcc
	v_cndmask_b32_e32 v4, 0, v4, vcc
	v_lshl_add_u64 v[2:3], v[4:5], 0, v[2:3]
	v_cndmask_b32_e64 v5, 0, v7, s[0:1]
	v_cndmask_b32_e64 v4, 0, v6, s[0:1]
	v_lshl_add_u64 v[2:3], v[2:3], 0, v[4:5]
	v_cndmask_b32_e64 v5, 0, v9, s[4:5]
	v_cndmask_b32_e64 v4, 0, v8, s[4:5]
	;; [unrolled: 3-line block ×13, first 2 shown]
	v_mbcnt_hi_u32_b32 v1, -1, v1
	v_lshl_add_u64 v[2:3], v[2:3], 0, v[4:5]
	v_cndmask_b32_e64 v5, 0, v33, s[28:29]
	v_cndmask_b32_e64 v4, 0, v32, s[28:29]
	v_and_b32_e32 v9, 63, v1
	v_lshl_add_u64 v[2:3], v[2:3], 0, v[4:5]
	s_min_u32 s6, s33, 0x100
	v_and_b32_e32 v4, 0xc0, v0
	v_cmp_ne_u32_e32 vcc, 63, v9
	v_sub_u32_e64 v8, s6, v4 clamp
	v_mov_b32_e32 v6, 0
	v_addc_co_u32_e32 v4, vcc, 0, v1, vcc
	v_lshlrev_b32_e32 v5, 2, v4
	ds_bpermute_b32 v4, v5, v2
	ds_bpermute_b32 v7, v5, v3
	v_add_u32_e32 v10, 1, v9
	v_mov_b32_e32 v5, v6
	v_cmp_lt_u32_e64 s[0:1], v10, v8
	s_waitcnt lgkmcnt(1)
	v_lshl_add_u64 v[4:5], v[2:3], 0, v[4:5]
	v_cmp_gt_u32_e32 vcc, 62, v9
	s_waitcnt lgkmcnt(0)
	v_lshl_add_u64 v[6:7], v[4:5], 0, v[6:7]
	v_cndmask_b32_e64 v12, v2, v4, s[0:1]
	v_cndmask_b32_e64 v4, 0, 2, vcc
	v_cndmask_b32_e64 v5, v3, v7, s[0:1]
	v_add_lshl_u32 v4, v4, v1, 2
	ds_bpermute_b32 v10, v4, v12
	ds_bpermute_b32 v11, v4, v5
	v_cndmask_b32_e64 v4, v2, v6, s[0:1]
	v_add_u32_e32 v13, 2, v9
	v_cmp_lt_u32_e32 vcc, v13, v8
	v_cmp_gt_u32_e64 s[4:5], 60, v9
	s_waitcnt lgkmcnt(0)
	v_lshl_add_u64 v[6:7], v[10:11], 0, v[4:5]
	v_cndmask_b32_e32 v5, v5, v7, vcc
	v_cndmask_b32_e64 v7, 0, 4, s[4:5]
	v_cndmask_b32_e32 v12, v12, v6, vcc
	v_add_lshl_u32 v7, v7, v1, 2
	ds_bpermute_b32 v10, v7, v12
	ds_bpermute_b32 v11, v7, v5
	v_cndmask_b32_e32 v4, v4, v6, vcc
	v_add_u32_e32 v13, 4, v9
	v_cmp_lt_u32_e32 vcc, v13, v8
	v_cmp_gt_u32_e64 s[4:5], 56, v9
	s_waitcnt lgkmcnt(0)
	v_lshl_add_u64 v[6:7], v[10:11], 0, v[4:5]
	v_cndmask_b32_e32 v5, v5, v7, vcc
	v_cndmask_b32_e64 v7, 0, 8, s[4:5]
	v_cndmask_b32_e32 v12, v12, v6, vcc
	v_add_lshl_u32 v7, v7, v1, 2
	ds_bpermute_b32 v10, v7, v12
	ds_bpermute_b32 v11, v7, v5
	v_cndmask_b32_e32 v4, v4, v6, vcc
	;; [unrolled: 12-line block ×3, first 2 shown]
	v_add_u32_e32 v13, 16, v9
	v_cmp_lt_u32_e32 vcc, v13, v8
	s_waitcnt lgkmcnt(0)
	v_lshl_add_u64 v[6:7], v[10:11], 0, v[4:5]
	v_lshlrev_b32_e32 v10, 2, v1
	v_cndmask_b32_e32 v13, v5, v7, vcc
	v_cndmask_b32_e32 v11, v12, v6, vcc
	v_or_b32_e32 v12, 0x80, v10
	ds_bpermute_b32 v11, v12, v11
	ds_bpermute_b32 v12, v12, v13
	s_and_saveexec_b64 s[4:5], s[0:1]
	s_cbranch_execz .LBB99_41
; %bb.40:
	v_add_u32_e32 v9, 32, v9
	v_cndmask_b32_e32 v3, v5, v7, vcc
	v_cndmask_b32_e32 v2, v4, v6, vcc
	v_cmp_lt_u32_e32 vcc, v9, v8
	s_waitcnt lgkmcnt(0)
	s_nop 0
	v_cndmask_b32_e32 v5, 0, v12, vcc
	v_cndmask_b32_e32 v4, 0, v11, vcc
	v_lshl_add_u64 v[2:3], v[2:3], 0, v[4:5]
.LBB99_41:
	s_or_b64 exec, exec, s[4:5]
	v_cmp_eq_u32_e32 vcc, 0, v1
	s_and_saveexec_b64 s[0:1], vcc
; %bb.42:
	v_lshrrev_b32_e32 v4, 3, v0
	v_and_b32_e32 v4, 24, v4
	ds_write_b64 v4, v[2:3] offset:32
; %bb.43:
	s_or_b64 exec, exec, s[0:1]
	v_cmp_gt_u32_e32 vcc, 4, v0
	s_waitcnt lgkmcnt(0)
	s_barrier
	s_and_saveexec_b64 s[0:1], vcc
	s_cbranch_execz .LBB99_47
; %bb.44:
	v_lshlrev_b32_e32 v2, 3, v1
	ds_read_b64 v[2:3], v2 offset:32
	v_and_b32_e32 v6, 3, v1
	v_cmp_ne_u32_e32 vcc, 3, v6
	v_mov_b32_e32 v8, 0
	s_add_i32 s6, s6, 63
	v_addc_co_u32_e32 v1, vcc, 0, v1, vcc
	v_lshlrev_b32_e32 v1, 2, v1
	s_waitcnt lgkmcnt(0)
	ds_bpermute_b32 v4, v1, v2
	ds_bpermute_b32 v9, v1, v3
	v_mov_b32_e32 v5, v8
	s_lshr_b32 s6, s6, 6
	v_add_u32_e32 v1, 1, v6
	s_waitcnt lgkmcnt(1)
	v_lshl_add_u64 v[12:13], v[2:3], 0, v[4:5]
	s_waitcnt lgkmcnt(0)
	v_lshl_add_u64 v[4:5], v[8:9], 0, v[12:13]
	v_cmp_gt_u32_e32 vcc, s6, v1
	v_or_b32_e32 v8, 8, v10
	s_nop 0
	v_cndmask_b32_e32 v7, v3, v5, vcc
	v_cndmask_b32_e32 v1, v2, v12, vcc
	ds_bpermute_b32 v1, v8, v1
	ds_bpermute_b32 v7, v8, v7
	s_and_saveexec_b64 s[4:5], vcc
	s_cbranch_execz .LBB99_46
; %bb.45:
	v_add_u32_e32 v2, 2, v6
	v_cmp_gt_u32_e32 vcc, s6, v2
	s_waitcnt lgkmcnt(0)
	s_nop 0
	v_cndmask_b32_e32 v3, 0, v7, vcc
	v_cndmask_b32_e32 v2, 0, v1, vcc
	v_lshl_add_u64 v[2:3], v[2:3], 0, v[4:5]
.LBB99_46:
	s_or_b64 exec, exec, s[4:5]
.LBB99_47:
	s_or_b64 exec, exec, s[0:1]
.LBB99_48:
	v_cmp_eq_u32_e32 vcc, 0, v0
	s_and_saveexec_b64 s[0:1], vcc
	s_cbranch_execnz .LBB99_50
; %bb.49:
	s_endpgm
.LBB99_50:
	s_mul_i32 s0, s44, s43
	s_mul_hi_u32 s1, s44, s42
	s_add_i32 s0, s1, s0
	s_mul_i32 s1, s45, s42
	s_add_i32 s1, s0, s1
	s_mul_i32 s0, s44, s42
	s_lshl_b64 s[0:1], s[0:1], 3
	s_add_u32 s4, s40, s0
	s_addc_u32 s5, s41, s1
	s_cmp_eq_u64 s[38:39], 0
	v_mov_b32_e32 v0, s47
	s_cselect_b64 vcc, -1, 0
	s_lshl_b64 s[0:1], s[2:3], 3
	s_waitcnt lgkmcnt(1)
	v_cndmask_b32_e32 v1, v3, v0, vcc
	v_mov_b32_e32 v0, s46
	s_add_u32 s0, s4, s0
	v_cndmask_b32_e32 v0, v2, v0, vcc
	s_addc_u32 s1, s5, s1
	v_mov_b32_e32 v2, 0
	global_store_dwordx2 v2, v[0:1], s[0:1]
	s_endpgm
	.section	.rodata,"a",@progbits
	.p2align	6, 0x0
	.amdhsa_kernel _ZN7rocprim17ROCPRIM_400000_NS6detail17trampoline_kernelINS0_14default_configENS1_22reduce_config_selectorIbEEZNS1_11reduce_implILb1ES3_N6hipcub16HIPCUB_304000_NS22TransformInputIteratorIb7NonZeroIsEPslEEPllNS8_6detail34convert_binary_result_type_wrapperINS8_3SumESD_lEEEE10hipError_tPvRmT1_T2_T3_mT4_P12ihipStream_tbEUlT_E0_NS1_11comp_targetILNS1_3genE0ELNS1_11target_archE4294967295ELNS1_3gpuE0ELNS1_3repE0EEENS1_30default_config_static_selectorELNS0_4arch9wavefront6targetE1EEEvSM_
		.amdhsa_group_segment_fixed_size 64
		.amdhsa_private_segment_fixed_size 0
		.amdhsa_kernarg_size 72
		.amdhsa_user_sgpr_count 2
		.amdhsa_user_sgpr_dispatch_ptr 0
		.amdhsa_user_sgpr_queue_ptr 0
		.amdhsa_user_sgpr_kernarg_segment_ptr 1
		.amdhsa_user_sgpr_dispatch_id 0
		.amdhsa_user_sgpr_kernarg_preload_length 0
		.amdhsa_user_sgpr_kernarg_preload_offset 0
		.amdhsa_user_sgpr_private_segment_size 0
		.amdhsa_uses_dynamic_stack 0
		.amdhsa_enable_private_segment 0
		.amdhsa_system_sgpr_workgroup_id_x 1
		.amdhsa_system_sgpr_workgroup_id_y 0
		.amdhsa_system_sgpr_workgroup_id_z 0
		.amdhsa_system_sgpr_workgroup_info 0
		.amdhsa_system_vgpr_workitem_id 0
		.amdhsa_next_free_vgpr 46
		.amdhsa_next_free_sgpr 48
		.amdhsa_accum_offset 48
		.amdhsa_reserve_vcc 1
		.amdhsa_float_round_mode_32 0
		.amdhsa_float_round_mode_16_64 0
		.amdhsa_float_denorm_mode_32 3
		.amdhsa_float_denorm_mode_16_64 3
		.amdhsa_dx10_clamp 1
		.amdhsa_ieee_mode 1
		.amdhsa_fp16_overflow 0
		.amdhsa_tg_split 0
		.amdhsa_exception_fp_ieee_invalid_op 0
		.amdhsa_exception_fp_denorm_src 0
		.amdhsa_exception_fp_ieee_div_zero 0
		.amdhsa_exception_fp_ieee_overflow 0
		.amdhsa_exception_fp_ieee_underflow 0
		.amdhsa_exception_fp_ieee_inexact 0
		.amdhsa_exception_int_div_zero 0
	.end_amdhsa_kernel
	.section	.text._ZN7rocprim17ROCPRIM_400000_NS6detail17trampoline_kernelINS0_14default_configENS1_22reduce_config_selectorIbEEZNS1_11reduce_implILb1ES3_N6hipcub16HIPCUB_304000_NS22TransformInputIteratorIb7NonZeroIsEPslEEPllNS8_6detail34convert_binary_result_type_wrapperINS8_3SumESD_lEEEE10hipError_tPvRmT1_T2_T3_mT4_P12ihipStream_tbEUlT_E0_NS1_11comp_targetILNS1_3genE0ELNS1_11target_archE4294967295ELNS1_3gpuE0ELNS1_3repE0EEENS1_30default_config_static_selectorELNS0_4arch9wavefront6targetE1EEEvSM_,"axG",@progbits,_ZN7rocprim17ROCPRIM_400000_NS6detail17trampoline_kernelINS0_14default_configENS1_22reduce_config_selectorIbEEZNS1_11reduce_implILb1ES3_N6hipcub16HIPCUB_304000_NS22TransformInputIteratorIb7NonZeroIsEPslEEPllNS8_6detail34convert_binary_result_type_wrapperINS8_3SumESD_lEEEE10hipError_tPvRmT1_T2_T3_mT4_P12ihipStream_tbEUlT_E0_NS1_11comp_targetILNS1_3genE0ELNS1_11target_archE4294967295ELNS1_3gpuE0ELNS1_3repE0EEENS1_30default_config_static_selectorELNS0_4arch9wavefront6targetE1EEEvSM_,comdat
.Lfunc_end99:
	.size	_ZN7rocprim17ROCPRIM_400000_NS6detail17trampoline_kernelINS0_14default_configENS1_22reduce_config_selectorIbEEZNS1_11reduce_implILb1ES3_N6hipcub16HIPCUB_304000_NS22TransformInputIteratorIb7NonZeroIsEPslEEPllNS8_6detail34convert_binary_result_type_wrapperINS8_3SumESD_lEEEE10hipError_tPvRmT1_T2_T3_mT4_P12ihipStream_tbEUlT_E0_NS1_11comp_targetILNS1_3genE0ELNS1_11target_archE4294967295ELNS1_3gpuE0ELNS1_3repE0EEENS1_30default_config_static_selectorELNS0_4arch9wavefront6targetE1EEEvSM_, .Lfunc_end99-_ZN7rocprim17ROCPRIM_400000_NS6detail17trampoline_kernelINS0_14default_configENS1_22reduce_config_selectorIbEEZNS1_11reduce_implILb1ES3_N6hipcub16HIPCUB_304000_NS22TransformInputIteratorIb7NonZeroIsEPslEEPllNS8_6detail34convert_binary_result_type_wrapperINS8_3SumESD_lEEEE10hipError_tPvRmT1_T2_T3_mT4_P12ihipStream_tbEUlT_E0_NS1_11comp_targetILNS1_3genE0ELNS1_11target_archE4294967295ELNS1_3gpuE0ELNS1_3repE0EEENS1_30default_config_static_selectorELNS0_4arch9wavefront6targetE1EEEvSM_
                                        ; -- End function
	.set _ZN7rocprim17ROCPRIM_400000_NS6detail17trampoline_kernelINS0_14default_configENS1_22reduce_config_selectorIbEEZNS1_11reduce_implILb1ES3_N6hipcub16HIPCUB_304000_NS22TransformInputIteratorIb7NonZeroIsEPslEEPllNS8_6detail34convert_binary_result_type_wrapperINS8_3SumESD_lEEEE10hipError_tPvRmT1_T2_T3_mT4_P12ihipStream_tbEUlT_E0_NS1_11comp_targetILNS1_3genE0ELNS1_11target_archE4294967295ELNS1_3gpuE0ELNS1_3repE0EEENS1_30default_config_static_selectorELNS0_4arch9wavefront6targetE1EEEvSM_.num_vgpr, 46
	.set _ZN7rocprim17ROCPRIM_400000_NS6detail17trampoline_kernelINS0_14default_configENS1_22reduce_config_selectorIbEEZNS1_11reduce_implILb1ES3_N6hipcub16HIPCUB_304000_NS22TransformInputIteratorIb7NonZeroIsEPslEEPllNS8_6detail34convert_binary_result_type_wrapperINS8_3SumESD_lEEEE10hipError_tPvRmT1_T2_T3_mT4_P12ihipStream_tbEUlT_E0_NS1_11comp_targetILNS1_3genE0ELNS1_11target_archE4294967295ELNS1_3gpuE0ELNS1_3repE0EEENS1_30default_config_static_selectorELNS0_4arch9wavefront6targetE1EEEvSM_.num_agpr, 0
	.set _ZN7rocprim17ROCPRIM_400000_NS6detail17trampoline_kernelINS0_14default_configENS1_22reduce_config_selectorIbEEZNS1_11reduce_implILb1ES3_N6hipcub16HIPCUB_304000_NS22TransformInputIteratorIb7NonZeroIsEPslEEPllNS8_6detail34convert_binary_result_type_wrapperINS8_3SumESD_lEEEE10hipError_tPvRmT1_T2_T3_mT4_P12ihipStream_tbEUlT_E0_NS1_11comp_targetILNS1_3genE0ELNS1_11target_archE4294967295ELNS1_3gpuE0ELNS1_3repE0EEENS1_30default_config_static_selectorELNS0_4arch9wavefront6targetE1EEEvSM_.numbered_sgpr, 48
	.set _ZN7rocprim17ROCPRIM_400000_NS6detail17trampoline_kernelINS0_14default_configENS1_22reduce_config_selectorIbEEZNS1_11reduce_implILb1ES3_N6hipcub16HIPCUB_304000_NS22TransformInputIteratorIb7NonZeroIsEPslEEPllNS8_6detail34convert_binary_result_type_wrapperINS8_3SumESD_lEEEE10hipError_tPvRmT1_T2_T3_mT4_P12ihipStream_tbEUlT_E0_NS1_11comp_targetILNS1_3genE0ELNS1_11target_archE4294967295ELNS1_3gpuE0ELNS1_3repE0EEENS1_30default_config_static_selectorELNS0_4arch9wavefront6targetE1EEEvSM_.num_named_barrier, 0
	.set _ZN7rocprim17ROCPRIM_400000_NS6detail17trampoline_kernelINS0_14default_configENS1_22reduce_config_selectorIbEEZNS1_11reduce_implILb1ES3_N6hipcub16HIPCUB_304000_NS22TransformInputIteratorIb7NonZeroIsEPslEEPllNS8_6detail34convert_binary_result_type_wrapperINS8_3SumESD_lEEEE10hipError_tPvRmT1_T2_T3_mT4_P12ihipStream_tbEUlT_E0_NS1_11comp_targetILNS1_3genE0ELNS1_11target_archE4294967295ELNS1_3gpuE0ELNS1_3repE0EEENS1_30default_config_static_selectorELNS0_4arch9wavefront6targetE1EEEvSM_.private_seg_size, 0
	.set _ZN7rocprim17ROCPRIM_400000_NS6detail17trampoline_kernelINS0_14default_configENS1_22reduce_config_selectorIbEEZNS1_11reduce_implILb1ES3_N6hipcub16HIPCUB_304000_NS22TransformInputIteratorIb7NonZeroIsEPslEEPllNS8_6detail34convert_binary_result_type_wrapperINS8_3SumESD_lEEEE10hipError_tPvRmT1_T2_T3_mT4_P12ihipStream_tbEUlT_E0_NS1_11comp_targetILNS1_3genE0ELNS1_11target_archE4294967295ELNS1_3gpuE0ELNS1_3repE0EEENS1_30default_config_static_selectorELNS0_4arch9wavefront6targetE1EEEvSM_.uses_vcc, 1
	.set _ZN7rocprim17ROCPRIM_400000_NS6detail17trampoline_kernelINS0_14default_configENS1_22reduce_config_selectorIbEEZNS1_11reduce_implILb1ES3_N6hipcub16HIPCUB_304000_NS22TransformInputIteratorIb7NonZeroIsEPslEEPllNS8_6detail34convert_binary_result_type_wrapperINS8_3SumESD_lEEEE10hipError_tPvRmT1_T2_T3_mT4_P12ihipStream_tbEUlT_E0_NS1_11comp_targetILNS1_3genE0ELNS1_11target_archE4294967295ELNS1_3gpuE0ELNS1_3repE0EEENS1_30default_config_static_selectorELNS0_4arch9wavefront6targetE1EEEvSM_.uses_flat_scratch, 0
	.set _ZN7rocprim17ROCPRIM_400000_NS6detail17trampoline_kernelINS0_14default_configENS1_22reduce_config_selectorIbEEZNS1_11reduce_implILb1ES3_N6hipcub16HIPCUB_304000_NS22TransformInputIteratorIb7NonZeroIsEPslEEPllNS8_6detail34convert_binary_result_type_wrapperINS8_3SumESD_lEEEE10hipError_tPvRmT1_T2_T3_mT4_P12ihipStream_tbEUlT_E0_NS1_11comp_targetILNS1_3genE0ELNS1_11target_archE4294967295ELNS1_3gpuE0ELNS1_3repE0EEENS1_30default_config_static_selectorELNS0_4arch9wavefront6targetE1EEEvSM_.has_dyn_sized_stack, 0
	.set _ZN7rocprim17ROCPRIM_400000_NS6detail17trampoline_kernelINS0_14default_configENS1_22reduce_config_selectorIbEEZNS1_11reduce_implILb1ES3_N6hipcub16HIPCUB_304000_NS22TransformInputIteratorIb7NonZeroIsEPslEEPllNS8_6detail34convert_binary_result_type_wrapperINS8_3SumESD_lEEEE10hipError_tPvRmT1_T2_T3_mT4_P12ihipStream_tbEUlT_E0_NS1_11comp_targetILNS1_3genE0ELNS1_11target_archE4294967295ELNS1_3gpuE0ELNS1_3repE0EEENS1_30default_config_static_selectorELNS0_4arch9wavefront6targetE1EEEvSM_.has_recursion, 0
	.set _ZN7rocprim17ROCPRIM_400000_NS6detail17trampoline_kernelINS0_14default_configENS1_22reduce_config_selectorIbEEZNS1_11reduce_implILb1ES3_N6hipcub16HIPCUB_304000_NS22TransformInputIteratorIb7NonZeroIsEPslEEPllNS8_6detail34convert_binary_result_type_wrapperINS8_3SumESD_lEEEE10hipError_tPvRmT1_T2_T3_mT4_P12ihipStream_tbEUlT_E0_NS1_11comp_targetILNS1_3genE0ELNS1_11target_archE4294967295ELNS1_3gpuE0ELNS1_3repE0EEENS1_30default_config_static_selectorELNS0_4arch9wavefront6targetE1EEEvSM_.has_indirect_call, 0
	.section	.AMDGPU.csdata,"",@progbits
; Kernel info:
; codeLenInByte = 3700
; TotalNumSgprs: 54
; NumVgprs: 46
; NumAgprs: 0
; TotalNumVgprs: 46
; ScratchSize: 0
; MemoryBound: 0
; FloatMode: 240
; IeeeMode: 1
; LDSByteSize: 64 bytes/workgroup (compile time only)
; SGPRBlocks: 6
; VGPRBlocks: 5
; NumSGPRsForWavesPerEU: 54
; NumVGPRsForWavesPerEU: 46
; AccumOffset: 48
; Occupancy: 8
; WaveLimiterHint : 1
; COMPUTE_PGM_RSRC2:SCRATCH_EN: 0
; COMPUTE_PGM_RSRC2:USER_SGPR: 2
; COMPUTE_PGM_RSRC2:TRAP_HANDLER: 0
; COMPUTE_PGM_RSRC2:TGID_X_EN: 1
; COMPUTE_PGM_RSRC2:TGID_Y_EN: 0
; COMPUTE_PGM_RSRC2:TGID_Z_EN: 0
; COMPUTE_PGM_RSRC2:TIDIG_COMP_CNT: 0
; COMPUTE_PGM_RSRC3_GFX90A:ACCUM_OFFSET: 11
; COMPUTE_PGM_RSRC3_GFX90A:TG_SPLIT: 0
	.section	.text._ZN7rocprim17ROCPRIM_400000_NS6detail17trampoline_kernelINS0_14default_configENS1_22reduce_config_selectorIbEEZNS1_11reduce_implILb1ES3_N6hipcub16HIPCUB_304000_NS22TransformInputIteratorIb7NonZeroIsEPslEEPllNS8_6detail34convert_binary_result_type_wrapperINS8_3SumESD_lEEEE10hipError_tPvRmT1_T2_T3_mT4_P12ihipStream_tbEUlT_E0_NS1_11comp_targetILNS1_3genE5ELNS1_11target_archE942ELNS1_3gpuE9ELNS1_3repE0EEENS1_30default_config_static_selectorELNS0_4arch9wavefront6targetE1EEEvSM_,"axG",@progbits,_ZN7rocprim17ROCPRIM_400000_NS6detail17trampoline_kernelINS0_14default_configENS1_22reduce_config_selectorIbEEZNS1_11reduce_implILb1ES3_N6hipcub16HIPCUB_304000_NS22TransformInputIteratorIb7NonZeroIsEPslEEPllNS8_6detail34convert_binary_result_type_wrapperINS8_3SumESD_lEEEE10hipError_tPvRmT1_T2_T3_mT4_P12ihipStream_tbEUlT_E0_NS1_11comp_targetILNS1_3genE5ELNS1_11target_archE942ELNS1_3gpuE9ELNS1_3repE0EEENS1_30default_config_static_selectorELNS0_4arch9wavefront6targetE1EEEvSM_,comdat
	.protected	_ZN7rocprim17ROCPRIM_400000_NS6detail17trampoline_kernelINS0_14default_configENS1_22reduce_config_selectorIbEEZNS1_11reduce_implILb1ES3_N6hipcub16HIPCUB_304000_NS22TransformInputIteratorIb7NonZeroIsEPslEEPllNS8_6detail34convert_binary_result_type_wrapperINS8_3SumESD_lEEEE10hipError_tPvRmT1_T2_T3_mT4_P12ihipStream_tbEUlT_E0_NS1_11comp_targetILNS1_3genE5ELNS1_11target_archE942ELNS1_3gpuE9ELNS1_3repE0EEENS1_30default_config_static_selectorELNS0_4arch9wavefront6targetE1EEEvSM_ ; -- Begin function _ZN7rocprim17ROCPRIM_400000_NS6detail17trampoline_kernelINS0_14default_configENS1_22reduce_config_selectorIbEEZNS1_11reduce_implILb1ES3_N6hipcub16HIPCUB_304000_NS22TransformInputIteratorIb7NonZeroIsEPslEEPllNS8_6detail34convert_binary_result_type_wrapperINS8_3SumESD_lEEEE10hipError_tPvRmT1_T2_T3_mT4_P12ihipStream_tbEUlT_E0_NS1_11comp_targetILNS1_3genE5ELNS1_11target_archE942ELNS1_3gpuE9ELNS1_3repE0EEENS1_30default_config_static_selectorELNS0_4arch9wavefront6targetE1EEEvSM_
	.globl	_ZN7rocprim17ROCPRIM_400000_NS6detail17trampoline_kernelINS0_14default_configENS1_22reduce_config_selectorIbEEZNS1_11reduce_implILb1ES3_N6hipcub16HIPCUB_304000_NS22TransformInputIteratorIb7NonZeroIsEPslEEPllNS8_6detail34convert_binary_result_type_wrapperINS8_3SumESD_lEEEE10hipError_tPvRmT1_T2_T3_mT4_P12ihipStream_tbEUlT_E0_NS1_11comp_targetILNS1_3genE5ELNS1_11target_archE942ELNS1_3gpuE9ELNS1_3repE0EEENS1_30default_config_static_selectorELNS0_4arch9wavefront6targetE1EEEvSM_
	.p2align	8
	.type	_ZN7rocprim17ROCPRIM_400000_NS6detail17trampoline_kernelINS0_14default_configENS1_22reduce_config_selectorIbEEZNS1_11reduce_implILb1ES3_N6hipcub16HIPCUB_304000_NS22TransformInputIteratorIb7NonZeroIsEPslEEPllNS8_6detail34convert_binary_result_type_wrapperINS8_3SumESD_lEEEE10hipError_tPvRmT1_T2_T3_mT4_P12ihipStream_tbEUlT_E0_NS1_11comp_targetILNS1_3genE5ELNS1_11target_archE942ELNS1_3gpuE9ELNS1_3repE0EEENS1_30default_config_static_selectorELNS0_4arch9wavefront6targetE1EEEvSM_,@function
_ZN7rocprim17ROCPRIM_400000_NS6detail17trampoline_kernelINS0_14default_configENS1_22reduce_config_selectorIbEEZNS1_11reduce_implILb1ES3_N6hipcub16HIPCUB_304000_NS22TransformInputIteratorIb7NonZeroIsEPslEEPllNS8_6detail34convert_binary_result_type_wrapperINS8_3SumESD_lEEEE10hipError_tPvRmT1_T2_T3_mT4_P12ihipStream_tbEUlT_E0_NS1_11comp_targetILNS1_3genE5ELNS1_11target_archE942ELNS1_3gpuE9ELNS1_3repE0EEENS1_30default_config_static_selectorELNS0_4arch9wavefront6targetE1EEEvSM_: ; @_ZN7rocprim17ROCPRIM_400000_NS6detail17trampoline_kernelINS0_14default_configENS1_22reduce_config_selectorIbEEZNS1_11reduce_implILb1ES3_N6hipcub16HIPCUB_304000_NS22TransformInputIteratorIb7NonZeroIsEPslEEPllNS8_6detail34convert_binary_result_type_wrapperINS8_3SumESD_lEEEE10hipError_tPvRmT1_T2_T3_mT4_P12ihipStream_tbEUlT_E0_NS1_11comp_targetILNS1_3genE5ELNS1_11target_archE942ELNS1_3gpuE9ELNS1_3repE0EEENS1_30default_config_static_selectorELNS0_4arch9wavefront6targetE1EEEvSM_
; %bb.0:
	.section	.rodata,"a",@progbits
	.p2align	6, 0x0
	.amdhsa_kernel _ZN7rocprim17ROCPRIM_400000_NS6detail17trampoline_kernelINS0_14default_configENS1_22reduce_config_selectorIbEEZNS1_11reduce_implILb1ES3_N6hipcub16HIPCUB_304000_NS22TransformInputIteratorIb7NonZeroIsEPslEEPllNS8_6detail34convert_binary_result_type_wrapperINS8_3SumESD_lEEEE10hipError_tPvRmT1_T2_T3_mT4_P12ihipStream_tbEUlT_E0_NS1_11comp_targetILNS1_3genE5ELNS1_11target_archE942ELNS1_3gpuE9ELNS1_3repE0EEENS1_30default_config_static_selectorELNS0_4arch9wavefront6targetE1EEEvSM_
		.amdhsa_group_segment_fixed_size 0
		.amdhsa_private_segment_fixed_size 0
		.amdhsa_kernarg_size 72
		.amdhsa_user_sgpr_count 2
		.amdhsa_user_sgpr_dispatch_ptr 0
		.amdhsa_user_sgpr_queue_ptr 0
		.amdhsa_user_sgpr_kernarg_segment_ptr 1
		.amdhsa_user_sgpr_dispatch_id 0
		.amdhsa_user_sgpr_kernarg_preload_length 0
		.amdhsa_user_sgpr_kernarg_preload_offset 0
		.amdhsa_user_sgpr_private_segment_size 0
		.amdhsa_uses_dynamic_stack 0
		.amdhsa_enable_private_segment 0
		.amdhsa_system_sgpr_workgroup_id_x 1
		.amdhsa_system_sgpr_workgroup_id_y 0
		.amdhsa_system_sgpr_workgroup_id_z 0
		.amdhsa_system_sgpr_workgroup_info 0
		.amdhsa_system_vgpr_workitem_id 0
		.amdhsa_next_free_vgpr 1
		.amdhsa_next_free_sgpr 0
		.amdhsa_accum_offset 4
		.amdhsa_reserve_vcc 0
		.amdhsa_float_round_mode_32 0
		.amdhsa_float_round_mode_16_64 0
		.amdhsa_float_denorm_mode_32 3
		.amdhsa_float_denorm_mode_16_64 3
		.amdhsa_dx10_clamp 1
		.amdhsa_ieee_mode 1
		.amdhsa_fp16_overflow 0
		.amdhsa_tg_split 0
		.amdhsa_exception_fp_ieee_invalid_op 0
		.amdhsa_exception_fp_denorm_src 0
		.amdhsa_exception_fp_ieee_div_zero 0
		.amdhsa_exception_fp_ieee_overflow 0
		.amdhsa_exception_fp_ieee_underflow 0
		.amdhsa_exception_fp_ieee_inexact 0
		.amdhsa_exception_int_div_zero 0
	.end_amdhsa_kernel
	.section	.text._ZN7rocprim17ROCPRIM_400000_NS6detail17trampoline_kernelINS0_14default_configENS1_22reduce_config_selectorIbEEZNS1_11reduce_implILb1ES3_N6hipcub16HIPCUB_304000_NS22TransformInputIteratorIb7NonZeroIsEPslEEPllNS8_6detail34convert_binary_result_type_wrapperINS8_3SumESD_lEEEE10hipError_tPvRmT1_T2_T3_mT4_P12ihipStream_tbEUlT_E0_NS1_11comp_targetILNS1_3genE5ELNS1_11target_archE942ELNS1_3gpuE9ELNS1_3repE0EEENS1_30default_config_static_selectorELNS0_4arch9wavefront6targetE1EEEvSM_,"axG",@progbits,_ZN7rocprim17ROCPRIM_400000_NS6detail17trampoline_kernelINS0_14default_configENS1_22reduce_config_selectorIbEEZNS1_11reduce_implILb1ES3_N6hipcub16HIPCUB_304000_NS22TransformInputIteratorIb7NonZeroIsEPslEEPllNS8_6detail34convert_binary_result_type_wrapperINS8_3SumESD_lEEEE10hipError_tPvRmT1_T2_T3_mT4_P12ihipStream_tbEUlT_E0_NS1_11comp_targetILNS1_3genE5ELNS1_11target_archE942ELNS1_3gpuE9ELNS1_3repE0EEENS1_30default_config_static_selectorELNS0_4arch9wavefront6targetE1EEEvSM_,comdat
.Lfunc_end100:
	.size	_ZN7rocprim17ROCPRIM_400000_NS6detail17trampoline_kernelINS0_14default_configENS1_22reduce_config_selectorIbEEZNS1_11reduce_implILb1ES3_N6hipcub16HIPCUB_304000_NS22TransformInputIteratorIb7NonZeroIsEPslEEPllNS8_6detail34convert_binary_result_type_wrapperINS8_3SumESD_lEEEE10hipError_tPvRmT1_T2_T3_mT4_P12ihipStream_tbEUlT_E0_NS1_11comp_targetILNS1_3genE5ELNS1_11target_archE942ELNS1_3gpuE9ELNS1_3repE0EEENS1_30default_config_static_selectorELNS0_4arch9wavefront6targetE1EEEvSM_, .Lfunc_end100-_ZN7rocprim17ROCPRIM_400000_NS6detail17trampoline_kernelINS0_14default_configENS1_22reduce_config_selectorIbEEZNS1_11reduce_implILb1ES3_N6hipcub16HIPCUB_304000_NS22TransformInputIteratorIb7NonZeroIsEPslEEPllNS8_6detail34convert_binary_result_type_wrapperINS8_3SumESD_lEEEE10hipError_tPvRmT1_T2_T3_mT4_P12ihipStream_tbEUlT_E0_NS1_11comp_targetILNS1_3genE5ELNS1_11target_archE942ELNS1_3gpuE9ELNS1_3repE0EEENS1_30default_config_static_selectorELNS0_4arch9wavefront6targetE1EEEvSM_
                                        ; -- End function
	.set _ZN7rocprim17ROCPRIM_400000_NS6detail17trampoline_kernelINS0_14default_configENS1_22reduce_config_selectorIbEEZNS1_11reduce_implILb1ES3_N6hipcub16HIPCUB_304000_NS22TransformInputIteratorIb7NonZeroIsEPslEEPllNS8_6detail34convert_binary_result_type_wrapperINS8_3SumESD_lEEEE10hipError_tPvRmT1_T2_T3_mT4_P12ihipStream_tbEUlT_E0_NS1_11comp_targetILNS1_3genE5ELNS1_11target_archE942ELNS1_3gpuE9ELNS1_3repE0EEENS1_30default_config_static_selectorELNS0_4arch9wavefront6targetE1EEEvSM_.num_vgpr, 0
	.set _ZN7rocprim17ROCPRIM_400000_NS6detail17trampoline_kernelINS0_14default_configENS1_22reduce_config_selectorIbEEZNS1_11reduce_implILb1ES3_N6hipcub16HIPCUB_304000_NS22TransformInputIteratorIb7NonZeroIsEPslEEPllNS8_6detail34convert_binary_result_type_wrapperINS8_3SumESD_lEEEE10hipError_tPvRmT1_T2_T3_mT4_P12ihipStream_tbEUlT_E0_NS1_11comp_targetILNS1_3genE5ELNS1_11target_archE942ELNS1_3gpuE9ELNS1_3repE0EEENS1_30default_config_static_selectorELNS0_4arch9wavefront6targetE1EEEvSM_.num_agpr, 0
	.set _ZN7rocprim17ROCPRIM_400000_NS6detail17trampoline_kernelINS0_14default_configENS1_22reduce_config_selectorIbEEZNS1_11reduce_implILb1ES3_N6hipcub16HIPCUB_304000_NS22TransformInputIteratorIb7NonZeroIsEPslEEPllNS8_6detail34convert_binary_result_type_wrapperINS8_3SumESD_lEEEE10hipError_tPvRmT1_T2_T3_mT4_P12ihipStream_tbEUlT_E0_NS1_11comp_targetILNS1_3genE5ELNS1_11target_archE942ELNS1_3gpuE9ELNS1_3repE0EEENS1_30default_config_static_selectorELNS0_4arch9wavefront6targetE1EEEvSM_.numbered_sgpr, 0
	.set _ZN7rocprim17ROCPRIM_400000_NS6detail17trampoline_kernelINS0_14default_configENS1_22reduce_config_selectorIbEEZNS1_11reduce_implILb1ES3_N6hipcub16HIPCUB_304000_NS22TransformInputIteratorIb7NonZeroIsEPslEEPllNS8_6detail34convert_binary_result_type_wrapperINS8_3SumESD_lEEEE10hipError_tPvRmT1_T2_T3_mT4_P12ihipStream_tbEUlT_E0_NS1_11comp_targetILNS1_3genE5ELNS1_11target_archE942ELNS1_3gpuE9ELNS1_3repE0EEENS1_30default_config_static_selectorELNS0_4arch9wavefront6targetE1EEEvSM_.num_named_barrier, 0
	.set _ZN7rocprim17ROCPRIM_400000_NS6detail17trampoline_kernelINS0_14default_configENS1_22reduce_config_selectorIbEEZNS1_11reduce_implILb1ES3_N6hipcub16HIPCUB_304000_NS22TransformInputIteratorIb7NonZeroIsEPslEEPllNS8_6detail34convert_binary_result_type_wrapperINS8_3SumESD_lEEEE10hipError_tPvRmT1_T2_T3_mT4_P12ihipStream_tbEUlT_E0_NS1_11comp_targetILNS1_3genE5ELNS1_11target_archE942ELNS1_3gpuE9ELNS1_3repE0EEENS1_30default_config_static_selectorELNS0_4arch9wavefront6targetE1EEEvSM_.private_seg_size, 0
	.set _ZN7rocprim17ROCPRIM_400000_NS6detail17trampoline_kernelINS0_14default_configENS1_22reduce_config_selectorIbEEZNS1_11reduce_implILb1ES3_N6hipcub16HIPCUB_304000_NS22TransformInputIteratorIb7NonZeroIsEPslEEPllNS8_6detail34convert_binary_result_type_wrapperINS8_3SumESD_lEEEE10hipError_tPvRmT1_T2_T3_mT4_P12ihipStream_tbEUlT_E0_NS1_11comp_targetILNS1_3genE5ELNS1_11target_archE942ELNS1_3gpuE9ELNS1_3repE0EEENS1_30default_config_static_selectorELNS0_4arch9wavefront6targetE1EEEvSM_.uses_vcc, 0
	.set _ZN7rocprim17ROCPRIM_400000_NS6detail17trampoline_kernelINS0_14default_configENS1_22reduce_config_selectorIbEEZNS1_11reduce_implILb1ES3_N6hipcub16HIPCUB_304000_NS22TransformInputIteratorIb7NonZeroIsEPslEEPllNS8_6detail34convert_binary_result_type_wrapperINS8_3SumESD_lEEEE10hipError_tPvRmT1_T2_T3_mT4_P12ihipStream_tbEUlT_E0_NS1_11comp_targetILNS1_3genE5ELNS1_11target_archE942ELNS1_3gpuE9ELNS1_3repE0EEENS1_30default_config_static_selectorELNS0_4arch9wavefront6targetE1EEEvSM_.uses_flat_scratch, 0
	.set _ZN7rocprim17ROCPRIM_400000_NS6detail17trampoline_kernelINS0_14default_configENS1_22reduce_config_selectorIbEEZNS1_11reduce_implILb1ES3_N6hipcub16HIPCUB_304000_NS22TransformInputIteratorIb7NonZeroIsEPslEEPllNS8_6detail34convert_binary_result_type_wrapperINS8_3SumESD_lEEEE10hipError_tPvRmT1_T2_T3_mT4_P12ihipStream_tbEUlT_E0_NS1_11comp_targetILNS1_3genE5ELNS1_11target_archE942ELNS1_3gpuE9ELNS1_3repE0EEENS1_30default_config_static_selectorELNS0_4arch9wavefront6targetE1EEEvSM_.has_dyn_sized_stack, 0
	.set _ZN7rocprim17ROCPRIM_400000_NS6detail17trampoline_kernelINS0_14default_configENS1_22reduce_config_selectorIbEEZNS1_11reduce_implILb1ES3_N6hipcub16HIPCUB_304000_NS22TransformInputIteratorIb7NonZeroIsEPslEEPllNS8_6detail34convert_binary_result_type_wrapperINS8_3SumESD_lEEEE10hipError_tPvRmT1_T2_T3_mT4_P12ihipStream_tbEUlT_E0_NS1_11comp_targetILNS1_3genE5ELNS1_11target_archE942ELNS1_3gpuE9ELNS1_3repE0EEENS1_30default_config_static_selectorELNS0_4arch9wavefront6targetE1EEEvSM_.has_recursion, 0
	.set _ZN7rocprim17ROCPRIM_400000_NS6detail17trampoline_kernelINS0_14default_configENS1_22reduce_config_selectorIbEEZNS1_11reduce_implILb1ES3_N6hipcub16HIPCUB_304000_NS22TransformInputIteratorIb7NonZeroIsEPslEEPllNS8_6detail34convert_binary_result_type_wrapperINS8_3SumESD_lEEEE10hipError_tPvRmT1_T2_T3_mT4_P12ihipStream_tbEUlT_E0_NS1_11comp_targetILNS1_3genE5ELNS1_11target_archE942ELNS1_3gpuE9ELNS1_3repE0EEENS1_30default_config_static_selectorELNS0_4arch9wavefront6targetE1EEEvSM_.has_indirect_call, 0
	.section	.AMDGPU.csdata,"",@progbits
; Kernel info:
; codeLenInByte = 0
; TotalNumSgprs: 6
; NumVgprs: 0
; NumAgprs: 0
; TotalNumVgprs: 0
; ScratchSize: 0
; MemoryBound: 0
; FloatMode: 240
; IeeeMode: 1
; LDSByteSize: 0 bytes/workgroup (compile time only)
; SGPRBlocks: 0
; VGPRBlocks: 0
; NumSGPRsForWavesPerEU: 6
; NumVGPRsForWavesPerEU: 1
; AccumOffset: 4
; Occupancy: 8
; WaveLimiterHint : 0
; COMPUTE_PGM_RSRC2:SCRATCH_EN: 0
; COMPUTE_PGM_RSRC2:USER_SGPR: 2
; COMPUTE_PGM_RSRC2:TRAP_HANDLER: 0
; COMPUTE_PGM_RSRC2:TGID_X_EN: 1
; COMPUTE_PGM_RSRC2:TGID_Y_EN: 0
; COMPUTE_PGM_RSRC2:TGID_Z_EN: 0
; COMPUTE_PGM_RSRC2:TIDIG_COMP_CNT: 0
; COMPUTE_PGM_RSRC3_GFX90A:ACCUM_OFFSET: 0
; COMPUTE_PGM_RSRC3_GFX90A:TG_SPLIT: 0
	.section	.text._ZN7rocprim17ROCPRIM_400000_NS6detail17trampoline_kernelINS0_14default_configENS1_22reduce_config_selectorIbEEZNS1_11reduce_implILb1ES3_N6hipcub16HIPCUB_304000_NS22TransformInputIteratorIb7NonZeroIsEPslEEPllNS8_6detail34convert_binary_result_type_wrapperINS8_3SumESD_lEEEE10hipError_tPvRmT1_T2_T3_mT4_P12ihipStream_tbEUlT_E0_NS1_11comp_targetILNS1_3genE4ELNS1_11target_archE910ELNS1_3gpuE8ELNS1_3repE0EEENS1_30default_config_static_selectorELNS0_4arch9wavefront6targetE1EEEvSM_,"axG",@progbits,_ZN7rocprim17ROCPRIM_400000_NS6detail17trampoline_kernelINS0_14default_configENS1_22reduce_config_selectorIbEEZNS1_11reduce_implILb1ES3_N6hipcub16HIPCUB_304000_NS22TransformInputIteratorIb7NonZeroIsEPslEEPllNS8_6detail34convert_binary_result_type_wrapperINS8_3SumESD_lEEEE10hipError_tPvRmT1_T2_T3_mT4_P12ihipStream_tbEUlT_E0_NS1_11comp_targetILNS1_3genE4ELNS1_11target_archE910ELNS1_3gpuE8ELNS1_3repE0EEENS1_30default_config_static_selectorELNS0_4arch9wavefront6targetE1EEEvSM_,comdat
	.protected	_ZN7rocprim17ROCPRIM_400000_NS6detail17trampoline_kernelINS0_14default_configENS1_22reduce_config_selectorIbEEZNS1_11reduce_implILb1ES3_N6hipcub16HIPCUB_304000_NS22TransformInputIteratorIb7NonZeroIsEPslEEPllNS8_6detail34convert_binary_result_type_wrapperINS8_3SumESD_lEEEE10hipError_tPvRmT1_T2_T3_mT4_P12ihipStream_tbEUlT_E0_NS1_11comp_targetILNS1_3genE4ELNS1_11target_archE910ELNS1_3gpuE8ELNS1_3repE0EEENS1_30default_config_static_selectorELNS0_4arch9wavefront6targetE1EEEvSM_ ; -- Begin function _ZN7rocprim17ROCPRIM_400000_NS6detail17trampoline_kernelINS0_14default_configENS1_22reduce_config_selectorIbEEZNS1_11reduce_implILb1ES3_N6hipcub16HIPCUB_304000_NS22TransformInputIteratorIb7NonZeroIsEPslEEPllNS8_6detail34convert_binary_result_type_wrapperINS8_3SumESD_lEEEE10hipError_tPvRmT1_T2_T3_mT4_P12ihipStream_tbEUlT_E0_NS1_11comp_targetILNS1_3genE4ELNS1_11target_archE910ELNS1_3gpuE8ELNS1_3repE0EEENS1_30default_config_static_selectorELNS0_4arch9wavefront6targetE1EEEvSM_
	.globl	_ZN7rocprim17ROCPRIM_400000_NS6detail17trampoline_kernelINS0_14default_configENS1_22reduce_config_selectorIbEEZNS1_11reduce_implILb1ES3_N6hipcub16HIPCUB_304000_NS22TransformInputIteratorIb7NonZeroIsEPslEEPllNS8_6detail34convert_binary_result_type_wrapperINS8_3SumESD_lEEEE10hipError_tPvRmT1_T2_T3_mT4_P12ihipStream_tbEUlT_E0_NS1_11comp_targetILNS1_3genE4ELNS1_11target_archE910ELNS1_3gpuE8ELNS1_3repE0EEENS1_30default_config_static_selectorELNS0_4arch9wavefront6targetE1EEEvSM_
	.p2align	8
	.type	_ZN7rocprim17ROCPRIM_400000_NS6detail17trampoline_kernelINS0_14default_configENS1_22reduce_config_selectorIbEEZNS1_11reduce_implILb1ES3_N6hipcub16HIPCUB_304000_NS22TransformInputIteratorIb7NonZeroIsEPslEEPllNS8_6detail34convert_binary_result_type_wrapperINS8_3SumESD_lEEEE10hipError_tPvRmT1_T2_T3_mT4_P12ihipStream_tbEUlT_E0_NS1_11comp_targetILNS1_3genE4ELNS1_11target_archE910ELNS1_3gpuE8ELNS1_3repE0EEENS1_30default_config_static_selectorELNS0_4arch9wavefront6targetE1EEEvSM_,@function
_ZN7rocprim17ROCPRIM_400000_NS6detail17trampoline_kernelINS0_14default_configENS1_22reduce_config_selectorIbEEZNS1_11reduce_implILb1ES3_N6hipcub16HIPCUB_304000_NS22TransformInputIteratorIb7NonZeroIsEPslEEPllNS8_6detail34convert_binary_result_type_wrapperINS8_3SumESD_lEEEE10hipError_tPvRmT1_T2_T3_mT4_P12ihipStream_tbEUlT_E0_NS1_11comp_targetILNS1_3genE4ELNS1_11target_archE910ELNS1_3gpuE8ELNS1_3repE0EEENS1_30default_config_static_selectorELNS0_4arch9wavefront6targetE1EEEvSM_: ; @_ZN7rocprim17ROCPRIM_400000_NS6detail17trampoline_kernelINS0_14default_configENS1_22reduce_config_selectorIbEEZNS1_11reduce_implILb1ES3_N6hipcub16HIPCUB_304000_NS22TransformInputIteratorIb7NonZeroIsEPslEEPllNS8_6detail34convert_binary_result_type_wrapperINS8_3SumESD_lEEEE10hipError_tPvRmT1_T2_T3_mT4_P12ihipStream_tbEUlT_E0_NS1_11comp_targetILNS1_3genE4ELNS1_11target_archE910ELNS1_3gpuE8ELNS1_3repE0EEENS1_30default_config_static_selectorELNS0_4arch9wavefront6targetE1EEEvSM_
; %bb.0:
	.section	.rodata,"a",@progbits
	.p2align	6, 0x0
	.amdhsa_kernel _ZN7rocprim17ROCPRIM_400000_NS6detail17trampoline_kernelINS0_14default_configENS1_22reduce_config_selectorIbEEZNS1_11reduce_implILb1ES3_N6hipcub16HIPCUB_304000_NS22TransformInputIteratorIb7NonZeroIsEPslEEPllNS8_6detail34convert_binary_result_type_wrapperINS8_3SumESD_lEEEE10hipError_tPvRmT1_T2_T3_mT4_P12ihipStream_tbEUlT_E0_NS1_11comp_targetILNS1_3genE4ELNS1_11target_archE910ELNS1_3gpuE8ELNS1_3repE0EEENS1_30default_config_static_selectorELNS0_4arch9wavefront6targetE1EEEvSM_
		.amdhsa_group_segment_fixed_size 0
		.amdhsa_private_segment_fixed_size 0
		.amdhsa_kernarg_size 72
		.amdhsa_user_sgpr_count 2
		.amdhsa_user_sgpr_dispatch_ptr 0
		.amdhsa_user_sgpr_queue_ptr 0
		.amdhsa_user_sgpr_kernarg_segment_ptr 1
		.amdhsa_user_sgpr_dispatch_id 0
		.amdhsa_user_sgpr_kernarg_preload_length 0
		.amdhsa_user_sgpr_kernarg_preload_offset 0
		.amdhsa_user_sgpr_private_segment_size 0
		.amdhsa_uses_dynamic_stack 0
		.amdhsa_enable_private_segment 0
		.amdhsa_system_sgpr_workgroup_id_x 1
		.amdhsa_system_sgpr_workgroup_id_y 0
		.amdhsa_system_sgpr_workgroup_id_z 0
		.amdhsa_system_sgpr_workgroup_info 0
		.amdhsa_system_vgpr_workitem_id 0
		.amdhsa_next_free_vgpr 1
		.amdhsa_next_free_sgpr 0
		.amdhsa_accum_offset 4
		.amdhsa_reserve_vcc 0
		.amdhsa_float_round_mode_32 0
		.amdhsa_float_round_mode_16_64 0
		.amdhsa_float_denorm_mode_32 3
		.amdhsa_float_denorm_mode_16_64 3
		.amdhsa_dx10_clamp 1
		.amdhsa_ieee_mode 1
		.amdhsa_fp16_overflow 0
		.amdhsa_tg_split 0
		.amdhsa_exception_fp_ieee_invalid_op 0
		.amdhsa_exception_fp_denorm_src 0
		.amdhsa_exception_fp_ieee_div_zero 0
		.amdhsa_exception_fp_ieee_overflow 0
		.amdhsa_exception_fp_ieee_underflow 0
		.amdhsa_exception_fp_ieee_inexact 0
		.amdhsa_exception_int_div_zero 0
	.end_amdhsa_kernel
	.section	.text._ZN7rocprim17ROCPRIM_400000_NS6detail17trampoline_kernelINS0_14default_configENS1_22reduce_config_selectorIbEEZNS1_11reduce_implILb1ES3_N6hipcub16HIPCUB_304000_NS22TransformInputIteratorIb7NonZeroIsEPslEEPllNS8_6detail34convert_binary_result_type_wrapperINS8_3SumESD_lEEEE10hipError_tPvRmT1_T2_T3_mT4_P12ihipStream_tbEUlT_E0_NS1_11comp_targetILNS1_3genE4ELNS1_11target_archE910ELNS1_3gpuE8ELNS1_3repE0EEENS1_30default_config_static_selectorELNS0_4arch9wavefront6targetE1EEEvSM_,"axG",@progbits,_ZN7rocprim17ROCPRIM_400000_NS6detail17trampoline_kernelINS0_14default_configENS1_22reduce_config_selectorIbEEZNS1_11reduce_implILb1ES3_N6hipcub16HIPCUB_304000_NS22TransformInputIteratorIb7NonZeroIsEPslEEPllNS8_6detail34convert_binary_result_type_wrapperINS8_3SumESD_lEEEE10hipError_tPvRmT1_T2_T3_mT4_P12ihipStream_tbEUlT_E0_NS1_11comp_targetILNS1_3genE4ELNS1_11target_archE910ELNS1_3gpuE8ELNS1_3repE0EEENS1_30default_config_static_selectorELNS0_4arch9wavefront6targetE1EEEvSM_,comdat
.Lfunc_end101:
	.size	_ZN7rocprim17ROCPRIM_400000_NS6detail17trampoline_kernelINS0_14default_configENS1_22reduce_config_selectorIbEEZNS1_11reduce_implILb1ES3_N6hipcub16HIPCUB_304000_NS22TransformInputIteratorIb7NonZeroIsEPslEEPllNS8_6detail34convert_binary_result_type_wrapperINS8_3SumESD_lEEEE10hipError_tPvRmT1_T2_T3_mT4_P12ihipStream_tbEUlT_E0_NS1_11comp_targetILNS1_3genE4ELNS1_11target_archE910ELNS1_3gpuE8ELNS1_3repE0EEENS1_30default_config_static_selectorELNS0_4arch9wavefront6targetE1EEEvSM_, .Lfunc_end101-_ZN7rocprim17ROCPRIM_400000_NS6detail17trampoline_kernelINS0_14default_configENS1_22reduce_config_selectorIbEEZNS1_11reduce_implILb1ES3_N6hipcub16HIPCUB_304000_NS22TransformInputIteratorIb7NonZeroIsEPslEEPllNS8_6detail34convert_binary_result_type_wrapperINS8_3SumESD_lEEEE10hipError_tPvRmT1_T2_T3_mT4_P12ihipStream_tbEUlT_E0_NS1_11comp_targetILNS1_3genE4ELNS1_11target_archE910ELNS1_3gpuE8ELNS1_3repE0EEENS1_30default_config_static_selectorELNS0_4arch9wavefront6targetE1EEEvSM_
                                        ; -- End function
	.set _ZN7rocprim17ROCPRIM_400000_NS6detail17trampoline_kernelINS0_14default_configENS1_22reduce_config_selectorIbEEZNS1_11reduce_implILb1ES3_N6hipcub16HIPCUB_304000_NS22TransformInputIteratorIb7NonZeroIsEPslEEPllNS8_6detail34convert_binary_result_type_wrapperINS8_3SumESD_lEEEE10hipError_tPvRmT1_T2_T3_mT4_P12ihipStream_tbEUlT_E0_NS1_11comp_targetILNS1_3genE4ELNS1_11target_archE910ELNS1_3gpuE8ELNS1_3repE0EEENS1_30default_config_static_selectorELNS0_4arch9wavefront6targetE1EEEvSM_.num_vgpr, 0
	.set _ZN7rocprim17ROCPRIM_400000_NS6detail17trampoline_kernelINS0_14default_configENS1_22reduce_config_selectorIbEEZNS1_11reduce_implILb1ES3_N6hipcub16HIPCUB_304000_NS22TransformInputIteratorIb7NonZeroIsEPslEEPllNS8_6detail34convert_binary_result_type_wrapperINS8_3SumESD_lEEEE10hipError_tPvRmT1_T2_T3_mT4_P12ihipStream_tbEUlT_E0_NS1_11comp_targetILNS1_3genE4ELNS1_11target_archE910ELNS1_3gpuE8ELNS1_3repE0EEENS1_30default_config_static_selectorELNS0_4arch9wavefront6targetE1EEEvSM_.num_agpr, 0
	.set _ZN7rocprim17ROCPRIM_400000_NS6detail17trampoline_kernelINS0_14default_configENS1_22reduce_config_selectorIbEEZNS1_11reduce_implILb1ES3_N6hipcub16HIPCUB_304000_NS22TransformInputIteratorIb7NonZeroIsEPslEEPllNS8_6detail34convert_binary_result_type_wrapperINS8_3SumESD_lEEEE10hipError_tPvRmT1_T2_T3_mT4_P12ihipStream_tbEUlT_E0_NS1_11comp_targetILNS1_3genE4ELNS1_11target_archE910ELNS1_3gpuE8ELNS1_3repE0EEENS1_30default_config_static_selectorELNS0_4arch9wavefront6targetE1EEEvSM_.numbered_sgpr, 0
	.set _ZN7rocprim17ROCPRIM_400000_NS6detail17trampoline_kernelINS0_14default_configENS1_22reduce_config_selectorIbEEZNS1_11reduce_implILb1ES3_N6hipcub16HIPCUB_304000_NS22TransformInputIteratorIb7NonZeroIsEPslEEPllNS8_6detail34convert_binary_result_type_wrapperINS8_3SumESD_lEEEE10hipError_tPvRmT1_T2_T3_mT4_P12ihipStream_tbEUlT_E0_NS1_11comp_targetILNS1_3genE4ELNS1_11target_archE910ELNS1_3gpuE8ELNS1_3repE0EEENS1_30default_config_static_selectorELNS0_4arch9wavefront6targetE1EEEvSM_.num_named_barrier, 0
	.set _ZN7rocprim17ROCPRIM_400000_NS6detail17trampoline_kernelINS0_14default_configENS1_22reduce_config_selectorIbEEZNS1_11reduce_implILb1ES3_N6hipcub16HIPCUB_304000_NS22TransformInputIteratorIb7NonZeroIsEPslEEPllNS8_6detail34convert_binary_result_type_wrapperINS8_3SumESD_lEEEE10hipError_tPvRmT1_T2_T3_mT4_P12ihipStream_tbEUlT_E0_NS1_11comp_targetILNS1_3genE4ELNS1_11target_archE910ELNS1_3gpuE8ELNS1_3repE0EEENS1_30default_config_static_selectorELNS0_4arch9wavefront6targetE1EEEvSM_.private_seg_size, 0
	.set _ZN7rocprim17ROCPRIM_400000_NS6detail17trampoline_kernelINS0_14default_configENS1_22reduce_config_selectorIbEEZNS1_11reduce_implILb1ES3_N6hipcub16HIPCUB_304000_NS22TransformInputIteratorIb7NonZeroIsEPslEEPllNS8_6detail34convert_binary_result_type_wrapperINS8_3SumESD_lEEEE10hipError_tPvRmT1_T2_T3_mT4_P12ihipStream_tbEUlT_E0_NS1_11comp_targetILNS1_3genE4ELNS1_11target_archE910ELNS1_3gpuE8ELNS1_3repE0EEENS1_30default_config_static_selectorELNS0_4arch9wavefront6targetE1EEEvSM_.uses_vcc, 0
	.set _ZN7rocprim17ROCPRIM_400000_NS6detail17trampoline_kernelINS0_14default_configENS1_22reduce_config_selectorIbEEZNS1_11reduce_implILb1ES3_N6hipcub16HIPCUB_304000_NS22TransformInputIteratorIb7NonZeroIsEPslEEPllNS8_6detail34convert_binary_result_type_wrapperINS8_3SumESD_lEEEE10hipError_tPvRmT1_T2_T3_mT4_P12ihipStream_tbEUlT_E0_NS1_11comp_targetILNS1_3genE4ELNS1_11target_archE910ELNS1_3gpuE8ELNS1_3repE0EEENS1_30default_config_static_selectorELNS0_4arch9wavefront6targetE1EEEvSM_.uses_flat_scratch, 0
	.set _ZN7rocprim17ROCPRIM_400000_NS6detail17trampoline_kernelINS0_14default_configENS1_22reduce_config_selectorIbEEZNS1_11reduce_implILb1ES3_N6hipcub16HIPCUB_304000_NS22TransformInputIteratorIb7NonZeroIsEPslEEPllNS8_6detail34convert_binary_result_type_wrapperINS8_3SumESD_lEEEE10hipError_tPvRmT1_T2_T3_mT4_P12ihipStream_tbEUlT_E0_NS1_11comp_targetILNS1_3genE4ELNS1_11target_archE910ELNS1_3gpuE8ELNS1_3repE0EEENS1_30default_config_static_selectorELNS0_4arch9wavefront6targetE1EEEvSM_.has_dyn_sized_stack, 0
	.set _ZN7rocprim17ROCPRIM_400000_NS6detail17trampoline_kernelINS0_14default_configENS1_22reduce_config_selectorIbEEZNS1_11reduce_implILb1ES3_N6hipcub16HIPCUB_304000_NS22TransformInputIteratorIb7NonZeroIsEPslEEPllNS8_6detail34convert_binary_result_type_wrapperINS8_3SumESD_lEEEE10hipError_tPvRmT1_T2_T3_mT4_P12ihipStream_tbEUlT_E0_NS1_11comp_targetILNS1_3genE4ELNS1_11target_archE910ELNS1_3gpuE8ELNS1_3repE0EEENS1_30default_config_static_selectorELNS0_4arch9wavefront6targetE1EEEvSM_.has_recursion, 0
	.set _ZN7rocprim17ROCPRIM_400000_NS6detail17trampoline_kernelINS0_14default_configENS1_22reduce_config_selectorIbEEZNS1_11reduce_implILb1ES3_N6hipcub16HIPCUB_304000_NS22TransformInputIteratorIb7NonZeroIsEPslEEPllNS8_6detail34convert_binary_result_type_wrapperINS8_3SumESD_lEEEE10hipError_tPvRmT1_T2_T3_mT4_P12ihipStream_tbEUlT_E0_NS1_11comp_targetILNS1_3genE4ELNS1_11target_archE910ELNS1_3gpuE8ELNS1_3repE0EEENS1_30default_config_static_selectorELNS0_4arch9wavefront6targetE1EEEvSM_.has_indirect_call, 0
	.section	.AMDGPU.csdata,"",@progbits
; Kernel info:
; codeLenInByte = 0
; TotalNumSgprs: 6
; NumVgprs: 0
; NumAgprs: 0
; TotalNumVgprs: 0
; ScratchSize: 0
; MemoryBound: 0
; FloatMode: 240
; IeeeMode: 1
; LDSByteSize: 0 bytes/workgroup (compile time only)
; SGPRBlocks: 0
; VGPRBlocks: 0
; NumSGPRsForWavesPerEU: 6
; NumVGPRsForWavesPerEU: 1
; AccumOffset: 4
; Occupancy: 8
; WaveLimiterHint : 0
; COMPUTE_PGM_RSRC2:SCRATCH_EN: 0
; COMPUTE_PGM_RSRC2:USER_SGPR: 2
; COMPUTE_PGM_RSRC2:TRAP_HANDLER: 0
; COMPUTE_PGM_RSRC2:TGID_X_EN: 1
; COMPUTE_PGM_RSRC2:TGID_Y_EN: 0
; COMPUTE_PGM_RSRC2:TGID_Z_EN: 0
; COMPUTE_PGM_RSRC2:TIDIG_COMP_CNT: 0
; COMPUTE_PGM_RSRC3_GFX90A:ACCUM_OFFSET: 0
; COMPUTE_PGM_RSRC3_GFX90A:TG_SPLIT: 0
	.section	.text._ZN7rocprim17ROCPRIM_400000_NS6detail17trampoline_kernelINS0_14default_configENS1_22reduce_config_selectorIbEEZNS1_11reduce_implILb1ES3_N6hipcub16HIPCUB_304000_NS22TransformInputIteratorIb7NonZeroIsEPslEEPllNS8_6detail34convert_binary_result_type_wrapperINS8_3SumESD_lEEEE10hipError_tPvRmT1_T2_T3_mT4_P12ihipStream_tbEUlT_E0_NS1_11comp_targetILNS1_3genE3ELNS1_11target_archE908ELNS1_3gpuE7ELNS1_3repE0EEENS1_30default_config_static_selectorELNS0_4arch9wavefront6targetE1EEEvSM_,"axG",@progbits,_ZN7rocprim17ROCPRIM_400000_NS6detail17trampoline_kernelINS0_14default_configENS1_22reduce_config_selectorIbEEZNS1_11reduce_implILb1ES3_N6hipcub16HIPCUB_304000_NS22TransformInputIteratorIb7NonZeroIsEPslEEPllNS8_6detail34convert_binary_result_type_wrapperINS8_3SumESD_lEEEE10hipError_tPvRmT1_T2_T3_mT4_P12ihipStream_tbEUlT_E0_NS1_11comp_targetILNS1_3genE3ELNS1_11target_archE908ELNS1_3gpuE7ELNS1_3repE0EEENS1_30default_config_static_selectorELNS0_4arch9wavefront6targetE1EEEvSM_,comdat
	.protected	_ZN7rocprim17ROCPRIM_400000_NS6detail17trampoline_kernelINS0_14default_configENS1_22reduce_config_selectorIbEEZNS1_11reduce_implILb1ES3_N6hipcub16HIPCUB_304000_NS22TransformInputIteratorIb7NonZeroIsEPslEEPllNS8_6detail34convert_binary_result_type_wrapperINS8_3SumESD_lEEEE10hipError_tPvRmT1_T2_T3_mT4_P12ihipStream_tbEUlT_E0_NS1_11comp_targetILNS1_3genE3ELNS1_11target_archE908ELNS1_3gpuE7ELNS1_3repE0EEENS1_30default_config_static_selectorELNS0_4arch9wavefront6targetE1EEEvSM_ ; -- Begin function _ZN7rocprim17ROCPRIM_400000_NS6detail17trampoline_kernelINS0_14default_configENS1_22reduce_config_selectorIbEEZNS1_11reduce_implILb1ES3_N6hipcub16HIPCUB_304000_NS22TransformInputIteratorIb7NonZeroIsEPslEEPllNS8_6detail34convert_binary_result_type_wrapperINS8_3SumESD_lEEEE10hipError_tPvRmT1_T2_T3_mT4_P12ihipStream_tbEUlT_E0_NS1_11comp_targetILNS1_3genE3ELNS1_11target_archE908ELNS1_3gpuE7ELNS1_3repE0EEENS1_30default_config_static_selectorELNS0_4arch9wavefront6targetE1EEEvSM_
	.globl	_ZN7rocprim17ROCPRIM_400000_NS6detail17trampoline_kernelINS0_14default_configENS1_22reduce_config_selectorIbEEZNS1_11reduce_implILb1ES3_N6hipcub16HIPCUB_304000_NS22TransformInputIteratorIb7NonZeroIsEPslEEPllNS8_6detail34convert_binary_result_type_wrapperINS8_3SumESD_lEEEE10hipError_tPvRmT1_T2_T3_mT4_P12ihipStream_tbEUlT_E0_NS1_11comp_targetILNS1_3genE3ELNS1_11target_archE908ELNS1_3gpuE7ELNS1_3repE0EEENS1_30default_config_static_selectorELNS0_4arch9wavefront6targetE1EEEvSM_
	.p2align	8
	.type	_ZN7rocprim17ROCPRIM_400000_NS6detail17trampoline_kernelINS0_14default_configENS1_22reduce_config_selectorIbEEZNS1_11reduce_implILb1ES3_N6hipcub16HIPCUB_304000_NS22TransformInputIteratorIb7NonZeroIsEPslEEPllNS8_6detail34convert_binary_result_type_wrapperINS8_3SumESD_lEEEE10hipError_tPvRmT1_T2_T3_mT4_P12ihipStream_tbEUlT_E0_NS1_11comp_targetILNS1_3genE3ELNS1_11target_archE908ELNS1_3gpuE7ELNS1_3repE0EEENS1_30default_config_static_selectorELNS0_4arch9wavefront6targetE1EEEvSM_,@function
_ZN7rocprim17ROCPRIM_400000_NS6detail17trampoline_kernelINS0_14default_configENS1_22reduce_config_selectorIbEEZNS1_11reduce_implILb1ES3_N6hipcub16HIPCUB_304000_NS22TransformInputIteratorIb7NonZeroIsEPslEEPllNS8_6detail34convert_binary_result_type_wrapperINS8_3SumESD_lEEEE10hipError_tPvRmT1_T2_T3_mT4_P12ihipStream_tbEUlT_E0_NS1_11comp_targetILNS1_3genE3ELNS1_11target_archE908ELNS1_3gpuE7ELNS1_3repE0EEENS1_30default_config_static_selectorELNS0_4arch9wavefront6targetE1EEEvSM_: ; @_ZN7rocprim17ROCPRIM_400000_NS6detail17trampoline_kernelINS0_14default_configENS1_22reduce_config_selectorIbEEZNS1_11reduce_implILb1ES3_N6hipcub16HIPCUB_304000_NS22TransformInputIteratorIb7NonZeroIsEPslEEPllNS8_6detail34convert_binary_result_type_wrapperINS8_3SumESD_lEEEE10hipError_tPvRmT1_T2_T3_mT4_P12ihipStream_tbEUlT_E0_NS1_11comp_targetILNS1_3genE3ELNS1_11target_archE908ELNS1_3gpuE7ELNS1_3repE0EEENS1_30default_config_static_selectorELNS0_4arch9wavefront6targetE1EEEvSM_
; %bb.0:
	.section	.rodata,"a",@progbits
	.p2align	6, 0x0
	.amdhsa_kernel _ZN7rocprim17ROCPRIM_400000_NS6detail17trampoline_kernelINS0_14default_configENS1_22reduce_config_selectorIbEEZNS1_11reduce_implILb1ES3_N6hipcub16HIPCUB_304000_NS22TransformInputIteratorIb7NonZeroIsEPslEEPllNS8_6detail34convert_binary_result_type_wrapperINS8_3SumESD_lEEEE10hipError_tPvRmT1_T2_T3_mT4_P12ihipStream_tbEUlT_E0_NS1_11comp_targetILNS1_3genE3ELNS1_11target_archE908ELNS1_3gpuE7ELNS1_3repE0EEENS1_30default_config_static_selectorELNS0_4arch9wavefront6targetE1EEEvSM_
		.amdhsa_group_segment_fixed_size 0
		.amdhsa_private_segment_fixed_size 0
		.amdhsa_kernarg_size 72
		.amdhsa_user_sgpr_count 2
		.amdhsa_user_sgpr_dispatch_ptr 0
		.amdhsa_user_sgpr_queue_ptr 0
		.amdhsa_user_sgpr_kernarg_segment_ptr 1
		.amdhsa_user_sgpr_dispatch_id 0
		.amdhsa_user_sgpr_kernarg_preload_length 0
		.amdhsa_user_sgpr_kernarg_preload_offset 0
		.amdhsa_user_sgpr_private_segment_size 0
		.amdhsa_uses_dynamic_stack 0
		.amdhsa_enable_private_segment 0
		.amdhsa_system_sgpr_workgroup_id_x 1
		.amdhsa_system_sgpr_workgroup_id_y 0
		.amdhsa_system_sgpr_workgroup_id_z 0
		.amdhsa_system_sgpr_workgroup_info 0
		.amdhsa_system_vgpr_workitem_id 0
		.amdhsa_next_free_vgpr 1
		.amdhsa_next_free_sgpr 0
		.amdhsa_accum_offset 4
		.amdhsa_reserve_vcc 0
		.amdhsa_float_round_mode_32 0
		.amdhsa_float_round_mode_16_64 0
		.amdhsa_float_denorm_mode_32 3
		.amdhsa_float_denorm_mode_16_64 3
		.amdhsa_dx10_clamp 1
		.amdhsa_ieee_mode 1
		.amdhsa_fp16_overflow 0
		.amdhsa_tg_split 0
		.amdhsa_exception_fp_ieee_invalid_op 0
		.amdhsa_exception_fp_denorm_src 0
		.amdhsa_exception_fp_ieee_div_zero 0
		.amdhsa_exception_fp_ieee_overflow 0
		.amdhsa_exception_fp_ieee_underflow 0
		.amdhsa_exception_fp_ieee_inexact 0
		.amdhsa_exception_int_div_zero 0
	.end_amdhsa_kernel
	.section	.text._ZN7rocprim17ROCPRIM_400000_NS6detail17trampoline_kernelINS0_14default_configENS1_22reduce_config_selectorIbEEZNS1_11reduce_implILb1ES3_N6hipcub16HIPCUB_304000_NS22TransformInputIteratorIb7NonZeroIsEPslEEPllNS8_6detail34convert_binary_result_type_wrapperINS8_3SumESD_lEEEE10hipError_tPvRmT1_T2_T3_mT4_P12ihipStream_tbEUlT_E0_NS1_11comp_targetILNS1_3genE3ELNS1_11target_archE908ELNS1_3gpuE7ELNS1_3repE0EEENS1_30default_config_static_selectorELNS0_4arch9wavefront6targetE1EEEvSM_,"axG",@progbits,_ZN7rocprim17ROCPRIM_400000_NS6detail17trampoline_kernelINS0_14default_configENS1_22reduce_config_selectorIbEEZNS1_11reduce_implILb1ES3_N6hipcub16HIPCUB_304000_NS22TransformInputIteratorIb7NonZeroIsEPslEEPllNS8_6detail34convert_binary_result_type_wrapperINS8_3SumESD_lEEEE10hipError_tPvRmT1_T2_T3_mT4_P12ihipStream_tbEUlT_E0_NS1_11comp_targetILNS1_3genE3ELNS1_11target_archE908ELNS1_3gpuE7ELNS1_3repE0EEENS1_30default_config_static_selectorELNS0_4arch9wavefront6targetE1EEEvSM_,comdat
.Lfunc_end102:
	.size	_ZN7rocprim17ROCPRIM_400000_NS6detail17trampoline_kernelINS0_14default_configENS1_22reduce_config_selectorIbEEZNS1_11reduce_implILb1ES3_N6hipcub16HIPCUB_304000_NS22TransformInputIteratorIb7NonZeroIsEPslEEPllNS8_6detail34convert_binary_result_type_wrapperINS8_3SumESD_lEEEE10hipError_tPvRmT1_T2_T3_mT4_P12ihipStream_tbEUlT_E0_NS1_11comp_targetILNS1_3genE3ELNS1_11target_archE908ELNS1_3gpuE7ELNS1_3repE0EEENS1_30default_config_static_selectorELNS0_4arch9wavefront6targetE1EEEvSM_, .Lfunc_end102-_ZN7rocprim17ROCPRIM_400000_NS6detail17trampoline_kernelINS0_14default_configENS1_22reduce_config_selectorIbEEZNS1_11reduce_implILb1ES3_N6hipcub16HIPCUB_304000_NS22TransformInputIteratorIb7NonZeroIsEPslEEPllNS8_6detail34convert_binary_result_type_wrapperINS8_3SumESD_lEEEE10hipError_tPvRmT1_T2_T3_mT4_P12ihipStream_tbEUlT_E0_NS1_11comp_targetILNS1_3genE3ELNS1_11target_archE908ELNS1_3gpuE7ELNS1_3repE0EEENS1_30default_config_static_selectorELNS0_4arch9wavefront6targetE1EEEvSM_
                                        ; -- End function
	.set _ZN7rocprim17ROCPRIM_400000_NS6detail17trampoline_kernelINS0_14default_configENS1_22reduce_config_selectorIbEEZNS1_11reduce_implILb1ES3_N6hipcub16HIPCUB_304000_NS22TransformInputIteratorIb7NonZeroIsEPslEEPllNS8_6detail34convert_binary_result_type_wrapperINS8_3SumESD_lEEEE10hipError_tPvRmT1_T2_T3_mT4_P12ihipStream_tbEUlT_E0_NS1_11comp_targetILNS1_3genE3ELNS1_11target_archE908ELNS1_3gpuE7ELNS1_3repE0EEENS1_30default_config_static_selectorELNS0_4arch9wavefront6targetE1EEEvSM_.num_vgpr, 0
	.set _ZN7rocprim17ROCPRIM_400000_NS6detail17trampoline_kernelINS0_14default_configENS1_22reduce_config_selectorIbEEZNS1_11reduce_implILb1ES3_N6hipcub16HIPCUB_304000_NS22TransformInputIteratorIb7NonZeroIsEPslEEPllNS8_6detail34convert_binary_result_type_wrapperINS8_3SumESD_lEEEE10hipError_tPvRmT1_T2_T3_mT4_P12ihipStream_tbEUlT_E0_NS1_11comp_targetILNS1_3genE3ELNS1_11target_archE908ELNS1_3gpuE7ELNS1_3repE0EEENS1_30default_config_static_selectorELNS0_4arch9wavefront6targetE1EEEvSM_.num_agpr, 0
	.set _ZN7rocprim17ROCPRIM_400000_NS6detail17trampoline_kernelINS0_14default_configENS1_22reduce_config_selectorIbEEZNS1_11reduce_implILb1ES3_N6hipcub16HIPCUB_304000_NS22TransformInputIteratorIb7NonZeroIsEPslEEPllNS8_6detail34convert_binary_result_type_wrapperINS8_3SumESD_lEEEE10hipError_tPvRmT1_T2_T3_mT4_P12ihipStream_tbEUlT_E0_NS1_11comp_targetILNS1_3genE3ELNS1_11target_archE908ELNS1_3gpuE7ELNS1_3repE0EEENS1_30default_config_static_selectorELNS0_4arch9wavefront6targetE1EEEvSM_.numbered_sgpr, 0
	.set _ZN7rocprim17ROCPRIM_400000_NS6detail17trampoline_kernelINS0_14default_configENS1_22reduce_config_selectorIbEEZNS1_11reduce_implILb1ES3_N6hipcub16HIPCUB_304000_NS22TransformInputIteratorIb7NonZeroIsEPslEEPllNS8_6detail34convert_binary_result_type_wrapperINS8_3SumESD_lEEEE10hipError_tPvRmT1_T2_T3_mT4_P12ihipStream_tbEUlT_E0_NS1_11comp_targetILNS1_3genE3ELNS1_11target_archE908ELNS1_3gpuE7ELNS1_3repE0EEENS1_30default_config_static_selectorELNS0_4arch9wavefront6targetE1EEEvSM_.num_named_barrier, 0
	.set _ZN7rocprim17ROCPRIM_400000_NS6detail17trampoline_kernelINS0_14default_configENS1_22reduce_config_selectorIbEEZNS1_11reduce_implILb1ES3_N6hipcub16HIPCUB_304000_NS22TransformInputIteratorIb7NonZeroIsEPslEEPllNS8_6detail34convert_binary_result_type_wrapperINS8_3SumESD_lEEEE10hipError_tPvRmT1_T2_T3_mT4_P12ihipStream_tbEUlT_E0_NS1_11comp_targetILNS1_3genE3ELNS1_11target_archE908ELNS1_3gpuE7ELNS1_3repE0EEENS1_30default_config_static_selectorELNS0_4arch9wavefront6targetE1EEEvSM_.private_seg_size, 0
	.set _ZN7rocprim17ROCPRIM_400000_NS6detail17trampoline_kernelINS0_14default_configENS1_22reduce_config_selectorIbEEZNS1_11reduce_implILb1ES3_N6hipcub16HIPCUB_304000_NS22TransformInputIteratorIb7NonZeroIsEPslEEPllNS8_6detail34convert_binary_result_type_wrapperINS8_3SumESD_lEEEE10hipError_tPvRmT1_T2_T3_mT4_P12ihipStream_tbEUlT_E0_NS1_11comp_targetILNS1_3genE3ELNS1_11target_archE908ELNS1_3gpuE7ELNS1_3repE0EEENS1_30default_config_static_selectorELNS0_4arch9wavefront6targetE1EEEvSM_.uses_vcc, 0
	.set _ZN7rocprim17ROCPRIM_400000_NS6detail17trampoline_kernelINS0_14default_configENS1_22reduce_config_selectorIbEEZNS1_11reduce_implILb1ES3_N6hipcub16HIPCUB_304000_NS22TransformInputIteratorIb7NonZeroIsEPslEEPllNS8_6detail34convert_binary_result_type_wrapperINS8_3SumESD_lEEEE10hipError_tPvRmT1_T2_T3_mT4_P12ihipStream_tbEUlT_E0_NS1_11comp_targetILNS1_3genE3ELNS1_11target_archE908ELNS1_3gpuE7ELNS1_3repE0EEENS1_30default_config_static_selectorELNS0_4arch9wavefront6targetE1EEEvSM_.uses_flat_scratch, 0
	.set _ZN7rocprim17ROCPRIM_400000_NS6detail17trampoline_kernelINS0_14default_configENS1_22reduce_config_selectorIbEEZNS1_11reduce_implILb1ES3_N6hipcub16HIPCUB_304000_NS22TransformInputIteratorIb7NonZeroIsEPslEEPllNS8_6detail34convert_binary_result_type_wrapperINS8_3SumESD_lEEEE10hipError_tPvRmT1_T2_T3_mT4_P12ihipStream_tbEUlT_E0_NS1_11comp_targetILNS1_3genE3ELNS1_11target_archE908ELNS1_3gpuE7ELNS1_3repE0EEENS1_30default_config_static_selectorELNS0_4arch9wavefront6targetE1EEEvSM_.has_dyn_sized_stack, 0
	.set _ZN7rocprim17ROCPRIM_400000_NS6detail17trampoline_kernelINS0_14default_configENS1_22reduce_config_selectorIbEEZNS1_11reduce_implILb1ES3_N6hipcub16HIPCUB_304000_NS22TransformInputIteratorIb7NonZeroIsEPslEEPllNS8_6detail34convert_binary_result_type_wrapperINS8_3SumESD_lEEEE10hipError_tPvRmT1_T2_T3_mT4_P12ihipStream_tbEUlT_E0_NS1_11comp_targetILNS1_3genE3ELNS1_11target_archE908ELNS1_3gpuE7ELNS1_3repE0EEENS1_30default_config_static_selectorELNS0_4arch9wavefront6targetE1EEEvSM_.has_recursion, 0
	.set _ZN7rocprim17ROCPRIM_400000_NS6detail17trampoline_kernelINS0_14default_configENS1_22reduce_config_selectorIbEEZNS1_11reduce_implILb1ES3_N6hipcub16HIPCUB_304000_NS22TransformInputIteratorIb7NonZeroIsEPslEEPllNS8_6detail34convert_binary_result_type_wrapperINS8_3SumESD_lEEEE10hipError_tPvRmT1_T2_T3_mT4_P12ihipStream_tbEUlT_E0_NS1_11comp_targetILNS1_3genE3ELNS1_11target_archE908ELNS1_3gpuE7ELNS1_3repE0EEENS1_30default_config_static_selectorELNS0_4arch9wavefront6targetE1EEEvSM_.has_indirect_call, 0
	.section	.AMDGPU.csdata,"",@progbits
; Kernel info:
; codeLenInByte = 0
; TotalNumSgprs: 6
; NumVgprs: 0
; NumAgprs: 0
; TotalNumVgprs: 0
; ScratchSize: 0
; MemoryBound: 0
; FloatMode: 240
; IeeeMode: 1
; LDSByteSize: 0 bytes/workgroup (compile time only)
; SGPRBlocks: 0
; VGPRBlocks: 0
; NumSGPRsForWavesPerEU: 6
; NumVGPRsForWavesPerEU: 1
; AccumOffset: 4
; Occupancy: 8
; WaveLimiterHint : 0
; COMPUTE_PGM_RSRC2:SCRATCH_EN: 0
; COMPUTE_PGM_RSRC2:USER_SGPR: 2
; COMPUTE_PGM_RSRC2:TRAP_HANDLER: 0
; COMPUTE_PGM_RSRC2:TGID_X_EN: 1
; COMPUTE_PGM_RSRC2:TGID_Y_EN: 0
; COMPUTE_PGM_RSRC2:TGID_Z_EN: 0
; COMPUTE_PGM_RSRC2:TIDIG_COMP_CNT: 0
; COMPUTE_PGM_RSRC3_GFX90A:ACCUM_OFFSET: 0
; COMPUTE_PGM_RSRC3_GFX90A:TG_SPLIT: 0
	.section	.text._ZN7rocprim17ROCPRIM_400000_NS6detail17trampoline_kernelINS0_14default_configENS1_22reduce_config_selectorIbEEZNS1_11reduce_implILb1ES3_N6hipcub16HIPCUB_304000_NS22TransformInputIteratorIb7NonZeroIsEPslEEPllNS8_6detail34convert_binary_result_type_wrapperINS8_3SumESD_lEEEE10hipError_tPvRmT1_T2_T3_mT4_P12ihipStream_tbEUlT_E0_NS1_11comp_targetILNS1_3genE2ELNS1_11target_archE906ELNS1_3gpuE6ELNS1_3repE0EEENS1_30default_config_static_selectorELNS0_4arch9wavefront6targetE1EEEvSM_,"axG",@progbits,_ZN7rocprim17ROCPRIM_400000_NS6detail17trampoline_kernelINS0_14default_configENS1_22reduce_config_selectorIbEEZNS1_11reduce_implILb1ES3_N6hipcub16HIPCUB_304000_NS22TransformInputIteratorIb7NonZeroIsEPslEEPllNS8_6detail34convert_binary_result_type_wrapperINS8_3SumESD_lEEEE10hipError_tPvRmT1_T2_T3_mT4_P12ihipStream_tbEUlT_E0_NS1_11comp_targetILNS1_3genE2ELNS1_11target_archE906ELNS1_3gpuE6ELNS1_3repE0EEENS1_30default_config_static_selectorELNS0_4arch9wavefront6targetE1EEEvSM_,comdat
	.protected	_ZN7rocprim17ROCPRIM_400000_NS6detail17trampoline_kernelINS0_14default_configENS1_22reduce_config_selectorIbEEZNS1_11reduce_implILb1ES3_N6hipcub16HIPCUB_304000_NS22TransformInputIteratorIb7NonZeroIsEPslEEPllNS8_6detail34convert_binary_result_type_wrapperINS8_3SumESD_lEEEE10hipError_tPvRmT1_T2_T3_mT4_P12ihipStream_tbEUlT_E0_NS1_11comp_targetILNS1_3genE2ELNS1_11target_archE906ELNS1_3gpuE6ELNS1_3repE0EEENS1_30default_config_static_selectorELNS0_4arch9wavefront6targetE1EEEvSM_ ; -- Begin function _ZN7rocprim17ROCPRIM_400000_NS6detail17trampoline_kernelINS0_14default_configENS1_22reduce_config_selectorIbEEZNS1_11reduce_implILb1ES3_N6hipcub16HIPCUB_304000_NS22TransformInputIteratorIb7NonZeroIsEPslEEPllNS8_6detail34convert_binary_result_type_wrapperINS8_3SumESD_lEEEE10hipError_tPvRmT1_T2_T3_mT4_P12ihipStream_tbEUlT_E0_NS1_11comp_targetILNS1_3genE2ELNS1_11target_archE906ELNS1_3gpuE6ELNS1_3repE0EEENS1_30default_config_static_selectorELNS0_4arch9wavefront6targetE1EEEvSM_
	.globl	_ZN7rocprim17ROCPRIM_400000_NS6detail17trampoline_kernelINS0_14default_configENS1_22reduce_config_selectorIbEEZNS1_11reduce_implILb1ES3_N6hipcub16HIPCUB_304000_NS22TransformInputIteratorIb7NonZeroIsEPslEEPllNS8_6detail34convert_binary_result_type_wrapperINS8_3SumESD_lEEEE10hipError_tPvRmT1_T2_T3_mT4_P12ihipStream_tbEUlT_E0_NS1_11comp_targetILNS1_3genE2ELNS1_11target_archE906ELNS1_3gpuE6ELNS1_3repE0EEENS1_30default_config_static_selectorELNS0_4arch9wavefront6targetE1EEEvSM_
	.p2align	8
	.type	_ZN7rocprim17ROCPRIM_400000_NS6detail17trampoline_kernelINS0_14default_configENS1_22reduce_config_selectorIbEEZNS1_11reduce_implILb1ES3_N6hipcub16HIPCUB_304000_NS22TransformInputIteratorIb7NonZeroIsEPslEEPllNS8_6detail34convert_binary_result_type_wrapperINS8_3SumESD_lEEEE10hipError_tPvRmT1_T2_T3_mT4_P12ihipStream_tbEUlT_E0_NS1_11comp_targetILNS1_3genE2ELNS1_11target_archE906ELNS1_3gpuE6ELNS1_3repE0EEENS1_30default_config_static_selectorELNS0_4arch9wavefront6targetE1EEEvSM_,@function
_ZN7rocprim17ROCPRIM_400000_NS6detail17trampoline_kernelINS0_14default_configENS1_22reduce_config_selectorIbEEZNS1_11reduce_implILb1ES3_N6hipcub16HIPCUB_304000_NS22TransformInputIteratorIb7NonZeroIsEPslEEPllNS8_6detail34convert_binary_result_type_wrapperINS8_3SumESD_lEEEE10hipError_tPvRmT1_T2_T3_mT4_P12ihipStream_tbEUlT_E0_NS1_11comp_targetILNS1_3genE2ELNS1_11target_archE906ELNS1_3gpuE6ELNS1_3repE0EEENS1_30default_config_static_selectorELNS0_4arch9wavefront6targetE1EEEvSM_: ; @_ZN7rocprim17ROCPRIM_400000_NS6detail17trampoline_kernelINS0_14default_configENS1_22reduce_config_selectorIbEEZNS1_11reduce_implILb1ES3_N6hipcub16HIPCUB_304000_NS22TransformInputIteratorIb7NonZeroIsEPslEEPllNS8_6detail34convert_binary_result_type_wrapperINS8_3SumESD_lEEEE10hipError_tPvRmT1_T2_T3_mT4_P12ihipStream_tbEUlT_E0_NS1_11comp_targetILNS1_3genE2ELNS1_11target_archE906ELNS1_3gpuE6ELNS1_3repE0EEENS1_30default_config_static_selectorELNS0_4arch9wavefront6targetE1EEEvSM_
; %bb.0:
	.section	.rodata,"a",@progbits
	.p2align	6, 0x0
	.amdhsa_kernel _ZN7rocprim17ROCPRIM_400000_NS6detail17trampoline_kernelINS0_14default_configENS1_22reduce_config_selectorIbEEZNS1_11reduce_implILb1ES3_N6hipcub16HIPCUB_304000_NS22TransformInputIteratorIb7NonZeroIsEPslEEPllNS8_6detail34convert_binary_result_type_wrapperINS8_3SumESD_lEEEE10hipError_tPvRmT1_T2_T3_mT4_P12ihipStream_tbEUlT_E0_NS1_11comp_targetILNS1_3genE2ELNS1_11target_archE906ELNS1_3gpuE6ELNS1_3repE0EEENS1_30default_config_static_selectorELNS0_4arch9wavefront6targetE1EEEvSM_
		.amdhsa_group_segment_fixed_size 0
		.amdhsa_private_segment_fixed_size 0
		.amdhsa_kernarg_size 72
		.amdhsa_user_sgpr_count 2
		.amdhsa_user_sgpr_dispatch_ptr 0
		.amdhsa_user_sgpr_queue_ptr 0
		.amdhsa_user_sgpr_kernarg_segment_ptr 1
		.amdhsa_user_sgpr_dispatch_id 0
		.amdhsa_user_sgpr_kernarg_preload_length 0
		.amdhsa_user_sgpr_kernarg_preload_offset 0
		.amdhsa_user_sgpr_private_segment_size 0
		.amdhsa_uses_dynamic_stack 0
		.amdhsa_enable_private_segment 0
		.amdhsa_system_sgpr_workgroup_id_x 1
		.amdhsa_system_sgpr_workgroup_id_y 0
		.amdhsa_system_sgpr_workgroup_id_z 0
		.amdhsa_system_sgpr_workgroup_info 0
		.amdhsa_system_vgpr_workitem_id 0
		.amdhsa_next_free_vgpr 1
		.amdhsa_next_free_sgpr 0
		.amdhsa_accum_offset 4
		.amdhsa_reserve_vcc 0
		.amdhsa_float_round_mode_32 0
		.amdhsa_float_round_mode_16_64 0
		.amdhsa_float_denorm_mode_32 3
		.amdhsa_float_denorm_mode_16_64 3
		.amdhsa_dx10_clamp 1
		.amdhsa_ieee_mode 1
		.amdhsa_fp16_overflow 0
		.amdhsa_tg_split 0
		.amdhsa_exception_fp_ieee_invalid_op 0
		.amdhsa_exception_fp_denorm_src 0
		.amdhsa_exception_fp_ieee_div_zero 0
		.amdhsa_exception_fp_ieee_overflow 0
		.amdhsa_exception_fp_ieee_underflow 0
		.amdhsa_exception_fp_ieee_inexact 0
		.amdhsa_exception_int_div_zero 0
	.end_amdhsa_kernel
	.section	.text._ZN7rocprim17ROCPRIM_400000_NS6detail17trampoline_kernelINS0_14default_configENS1_22reduce_config_selectorIbEEZNS1_11reduce_implILb1ES3_N6hipcub16HIPCUB_304000_NS22TransformInputIteratorIb7NonZeroIsEPslEEPllNS8_6detail34convert_binary_result_type_wrapperINS8_3SumESD_lEEEE10hipError_tPvRmT1_T2_T3_mT4_P12ihipStream_tbEUlT_E0_NS1_11comp_targetILNS1_3genE2ELNS1_11target_archE906ELNS1_3gpuE6ELNS1_3repE0EEENS1_30default_config_static_selectorELNS0_4arch9wavefront6targetE1EEEvSM_,"axG",@progbits,_ZN7rocprim17ROCPRIM_400000_NS6detail17trampoline_kernelINS0_14default_configENS1_22reduce_config_selectorIbEEZNS1_11reduce_implILb1ES3_N6hipcub16HIPCUB_304000_NS22TransformInputIteratorIb7NonZeroIsEPslEEPllNS8_6detail34convert_binary_result_type_wrapperINS8_3SumESD_lEEEE10hipError_tPvRmT1_T2_T3_mT4_P12ihipStream_tbEUlT_E0_NS1_11comp_targetILNS1_3genE2ELNS1_11target_archE906ELNS1_3gpuE6ELNS1_3repE0EEENS1_30default_config_static_selectorELNS0_4arch9wavefront6targetE1EEEvSM_,comdat
.Lfunc_end103:
	.size	_ZN7rocprim17ROCPRIM_400000_NS6detail17trampoline_kernelINS0_14default_configENS1_22reduce_config_selectorIbEEZNS1_11reduce_implILb1ES3_N6hipcub16HIPCUB_304000_NS22TransformInputIteratorIb7NonZeroIsEPslEEPllNS8_6detail34convert_binary_result_type_wrapperINS8_3SumESD_lEEEE10hipError_tPvRmT1_T2_T3_mT4_P12ihipStream_tbEUlT_E0_NS1_11comp_targetILNS1_3genE2ELNS1_11target_archE906ELNS1_3gpuE6ELNS1_3repE0EEENS1_30default_config_static_selectorELNS0_4arch9wavefront6targetE1EEEvSM_, .Lfunc_end103-_ZN7rocprim17ROCPRIM_400000_NS6detail17trampoline_kernelINS0_14default_configENS1_22reduce_config_selectorIbEEZNS1_11reduce_implILb1ES3_N6hipcub16HIPCUB_304000_NS22TransformInputIteratorIb7NonZeroIsEPslEEPllNS8_6detail34convert_binary_result_type_wrapperINS8_3SumESD_lEEEE10hipError_tPvRmT1_T2_T3_mT4_P12ihipStream_tbEUlT_E0_NS1_11comp_targetILNS1_3genE2ELNS1_11target_archE906ELNS1_3gpuE6ELNS1_3repE0EEENS1_30default_config_static_selectorELNS0_4arch9wavefront6targetE1EEEvSM_
                                        ; -- End function
	.set _ZN7rocprim17ROCPRIM_400000_NS6detail17trampoline_kernelINS0_14default_configENS1_22reduce_config_selectorIbEEZNS1_11reduce_implILb1ES3_N6hipcub16HIPCUB_304000_NS22TransformInputIteratorIb7NonZeroIsEPslEEPllNS8_6detail34convert_binary_result_type_wrapperINS8_3SumESD_lEEEE10hipError_tPvRmT1_T2_T3_mT4_P12ihipStream_tbEUlT_E0_NS1_11comp_targetILNS1_3genE2ELNS1_11target_archE906ELNS1_3gpuE6ELNS1_3repE0EEENS1_30default_config_static_selectorELNS0_4arch9wavefront6targetE1EEEvSM_.num_vgpr, 0
	.set _ZN7rocprim17ROCPRIM_400000_NS6detail17trampoline_kernelINS0_14default_configENS1_22reduce_config_selectorIbEEZNS1_11reduce_implILb1ES3_N6hipcub16HIPCUB_304000_NS22TransformInputIteratorIb7NonZeroIsEPslEEPllNS8_6detail34convert_binary_result_type_wrapperINS8_3SumESD_lEEEE10hipError_tPvRmT1_T2_T3_mT4_P12ihipStream_tbEUlT_E0_NS1_11comp_targetILNS1_3genE2ELNS1_11target_archE906ELNS1_3gpuE6ELNS1_3repE0EEENS1_30default_config_static_selectorELNS0_4arch9wavefront6targetE1EEEvSM_.num_agpr, 0
	.set _ZN7rocprim17ROCPRIM_400000_NS6detail17trampoline_kernelINS0_14default_configENS1_22reduce_config_selectorIbEEZNS1_11reduce_implILb1ES3_N6hipcub16HIPCUB_304000_NS22TransformInputIteratorIb7NonZeroIsEPslEEPllNS8_6detail34convert_binary_result_type_wrapperINS8_3SumESD_lEEEE10hipError_tPvRmT1_T2_T3_mT4_P12ihipStream_tbEUlT_E0_NS1_11comp_targetILNS1_3genE2ELNS1_11target_archE906ELNS1_3gpuE6ELNS1_3repE0EEENS1_30default_config_static_selectorELNS0_4arch9wavefront6targetE1EEEvSM_.numbered_sgpr, 0
	.set _ZN7rocprim17ROCPRIM_400000_NS6detail17trampoline_kernelINS0_14default_configENS1_22reduce_config_selectorIbEEZNS1_11reduce_implILb1ES3_N6hipcub16HIPCUB_304000_NS22TransformInputIteratorIb7NonZeroIsEPslEEPllNS8_6detail34convert_binary_result_type_wrapperINS8_3SumESD_lEEEE10hipError_tPvRmT1_T2_T3_mT4_P12ihipStream_tbEUlT_E0_NS1_11comp_targetILNS1_3genE2ELNS1_11target_archE906ELNS1_3gpuE6ELNS1_3repE0EEENS1_30default_config_static_selectorELNS0_4arch9wavefront6targetE1EEEvSM_.num_named_barrier, 0
	.set _ZN7rocprim17ROCPRIM_400000_NS6detail17trampoline_kernelINS0_14default_configENS1_22reduce_config_selectorIbEEZNS1_11reduce_implILb1ES3_N6hipcub16HIPCUB_304000_NS22TransformInputIteratorIb7NonZeroIsEPslEEPllNS8_6detail34convert_binary_result_type_wrapperINS8_3SumESD_lEEEE10hipError_tPvRmT1_T2_T3_mT4_P12ihipStream_tbEUlT_E0_NS1_11comp_targetILNS1_3genE2ELNS1_11target_archE906ELNS1_3gpuE6ELNS1_3repE0EEENS1_30default_config_static_selectorELNS0_4arch9wavefront6targetE1EEEvSM_.private_seg_size, 0
	.set _ZN7rocprim17ROCPRIM_400000_NS6detail17trampoline_kernelINS0_14default_configENS1_22reduce_config_selectorIbEEZNS1_11reduce_implILb1ES3_N6hipcub16HIPCUB_304000_NS22TransformInputIteratorIb7NonZeroIsEPslEEPllNS8_6detail34convert_binary_result_type_wrapperINS8_3SumESD_lEEEE10hipError_tPvRmT1_T2_T3_mT4_P12ihipStream_tbEUlT_E0_NS1_11comp_targetILNS1_3genE2ELNS1_11target_archE906ELNS1_3gpuE6ELNS1_3repE0EEENS1_30default_config_static_selectorELNS0_4arch9wavefront6targetE1EEEvSM_.uses_vcc, 0
	.set _ZN7rocprim17ROCPRIM_400000_NS6detail17trampoline_kernelINS0_14default_configENS1_22reduce_config_selectorIbEEZNS1_11reduce_implILb1ES3_N6hipcub16HIPCUB_304000_NS22TransformInputIteratorIb7NonZeroIsEPslEEPllNS8_6detail34convert_binary_result_type_wrapperINS8_3SumESD_lEEEE10hipError_tPvRmT1_T2_T3_mT4_P12ihipStream_tbEUlT_E0_NS1_11comp_targetILNS1_3genE2ELNS1_11target_archE906ELNS1_3gpuE6ELNS1_3repE0EEENS1_30default_config_static_selectorELNS0_4arch9wavefront6targetE1EEEvSM_.uses_flat_scratch, 0
	.set _ZN7rocprim17ROCPRIM_400000_NS6detail17trampoline_kernelINS0_14default_configENS1_22reduce_config_selectorIbEEZNS1_11reduce_implILb1ES3_N6hipcub16HIPCUB_304000_NS22TransformInputIteratorIb7NonZeroIsEPslEEPllNS8_6detail34convert_binary_result_type_wrapperINS8_3SumESD_lEEEE10hipError_tPvRmT1_T2_T3_mT4_P12ihipStream_tbEUlT_E0_NS1_11comp_targetILNS1_3genE2ELNS1_11target_archE906ELNS1_3gpuE6ELNS1_3repE0EEENS1_30default_config_static_selectorELNS0_4arch9wavefront6targetE1EEEvSM_.has_dyn_sized_stack, 0
	.set _ZN7rocprim17ROCPRIM_400000_NS6detail17trampoline_kernelINS0_14default_configENS1_22reduce_config_selectorIbEEZNS1_11reduce_implILb1ES3_N6hipcub16HIPCUB_304000_NS22TransformInputIteratorIb7NonZeroIsEPslEEPllNS8_6detail34convert_binary_result_type_wrapperINS8_3SumESD_lEEEE10hipError_tPvRmT1_T2_T3_mT4_P12ihipStream_tbEUlT_E0_NS1_11comp_targetILNS1_3genE2ELNS1_11target_archE906ELNS1_3gpuE6ELNS1_3repE0EEENS1_30default_config_static_selectorELNS0_4arch9wavefront6targetE1EEEvSM_.has_recursion, 0
	.set _ZN7rocprim17ROCPRIM_400000_NS6detail17trampoline_kernelINS0_14default_configENS1_22reduce_config_selectorIbEEZNS1_11reduce_implILb1ES3_N6hipcub16HIPCUB_304000_NS22TransformInputIteratorIb7NonZeroIsEPslEEPllNS8_6detail34convert_binary_result_type_wrapperINS8_3SumESD_lEEEE10hipError_tPvRmT1_T2_T3_mT4_P12ihipStream_tbEUlT_E0_NS1_11comp_targetILNS1_3genE2ELNS1_11target_archE906ELNS1_3gpuE6ELNS1_3repE0EEENS1_30default_config_static_selectorELNS0_4arch9wavefront6targetE1EEEvSM_.has_indirect_call, 0
	.section	.AMDGPU.csdata,"",@progbits
; Kernel info:
; codeLenInByte = 0
; TotalNumSgprs: 6
; NumVgprs: 0
; NumAgprs: 0
; TotalNumVgprs: 0
; ScratchSize: 0
; MemoryBound: 0
; FloatMode: 240
; IeeeMode: 1
; LDSByteSize: 0 bytes/workgroup (compile time only)
; SGPRBlocks: 0
; VGPRBlocks: 0
; NumSGPRsForWavesPerEU: 6
; NumVGPRsForWavesPerEU: 1
; AccumOffset: 4
; Occupancy: 8
; WaveLimiterHint : 0
; COMPUTE_PGM_RSRC2:SCRATCH_EN: 0
; COMPUTE_PGM_RSRC2:USER_SGPR: 2
; COMPUTE_PGM_RSRC2:TRAP_HANDLER: 0
; COMPUTE_PGM_RSRC2:TGID_X_EN: 1
; COMPUTE_PGM_RSRC2:TGID_Y_EN: 0
; COMPUTE_PGM_RSRC2:TGID_Z_EN: 0
; COMPUTE_PGM_RSRC2:TIDIG_COMP_CNT: 0
; COMPUTE_PGM_RSRC3_GFX90A:ACCUM_OFFSET: 0
; COMPUTE_PGM_RSRC3_GFX90A:TG_SPLIT: 0
	.section	.text._ZN7rocprim17ROCPRIM_400000_NS6detail17trampoline_kernelINS0_14default_configENS1_22reduce_config_selectorIbEEZNS1_11reduce_implILb1ES3_N6hipcub16HIPCUB_304000_NS22TransformInputIteratorIb7NonZeroIsEPslEEPllNS8_6detail34convert_binary_result_type_wrapperINS8_3SumESD_lEEEE10hipError_tPvRmT1_T2_T3_mT4_P12ihipStream_tbEUlT_E0_NS1_11comp_targetILNS1_3genE10ELNS1_11target_archE1201ELNS1_3gpuE5ELNS1_3repE0EEENS1_30default_config_static_selectorELNS0_4arch9wavefront6targetE1EEEvSM_,"axG",@progbits,_ZN7rocprim17ROCPRIM_400000_NS6detail17trampoline_kernelINS0_14default_configENS1_22reduce_config_selectorIbEEZNS1_11reduce_implILb1ES3_N6hipcub16HIPCUB_304000_NS22TransformInputIteratorIb7NonZeroIsEPslEEPllNS8_6detail34convert_binary_result_type_wrapperINS8_3SumESD_lEEEE10hipError_tPvRmT1_T2_T3_mT4_P12ihipStream_tbEUlT_E0_NS1_11comp_targetILNS1_3genE10ELNS1_11target_archE1201ELNS1_3gpuE5ELNS1_3repE0EEENS1_30default_config_static_selectorELNS0_4arch9wavefront6targetE1EEEvSM_,comdat
	.protected	_ZN7rocprim17ROCPRIM_400000_NS6detail17trampoline_kernelINS0_14default_configENS1_22reduce_config_selectorIbEEZNS1_11reduce_implILb1ES3_N6hipcub16HIPCUB_304000_NS22TransformInputIteratorIb7NonZeroIsEPslEEPllNS8_6detail34convert_binary_result_type_wrapperINS8_3SumESD_lEEEE10hipError_tPvRmT1_T2_T3_mT4_P12ihipStream_tbEUlT_E0_NS1_11comp_targetILNS1_3genE10ELNS1_11target_archE1201ELNS1_3gpuE5ELNS1_3repE0EEENS1_30default_config_static_selectorELNS0_4arch9wavefront6targetE1EEEvSM_ ; -- Begin function _ZN7rocprim17ROCPRIM_400000_NS6detail17trampoline_kernelINS0_14default_configENS1_22reduce_config_selectorIbEEZNS1_11reduce_implILb1ES3_N6hipcub16HIPCUB_304000_NS22TransformInputIteratorIb7NonZeroIsEPslEEPllNS8_6detail34convert_binary_result_type_wrapperINS8_3SumESD_lEEEE10hipError_tPvRmT1_T2_T3_mT4_P12ihipStream_tbEUlT_E0_NS1_11comp_targetILNS1_3genE10ELNS1_11target_archE1201ELNS1_3gpuE5ELNS1_3repE0EEENS1_30default_config_static_selectorELNS0_4arch9wavefront6targetE1EEEvSM_
	.globl	_ZN7rocprim17ROCPRIM_400000_NS6detail17trampoline_kernelINS0_14default_configENS1_22reduce_config_selectorIbEEZNS1_11reduce_implILb1ES3_N6hipcub16HIPCUB_304000_NS22TransformInputIteratorIb7NonZeroIsEPslEEPllNS8_6detail34convert_binary_result_type_wrapperINS8_3SumESD_lEEEE10hipError_tPvRmT1_T2_T3_mT4_P12ihipStream_tbEUlT_E0_NS1_11comp_targetILNS1_3genE10ELNS1_11target_archE1201ELNS1_3gpuE5ELNS1_3repE0EEENS1_30default_config_static_selectorELNS0_4arch9wavefront6targetE1EEEvSM_
	.p2align	8
	.type	_ZN7rocprim17ROCPRIM_400000_NS6detail17trampoline_kernelINS0_14default_configENS1_22reduce_config_selectorIbEEZNS1_11reduce_implILb1ES3_N6hipcub16HIPCUB_304000_NS22TransformInputIteratorIb7NonZeroIsEPslEEPllNS8_6detail34convert_binary_result_type_wrapperINS8_3SumESD_lEEEE10hipError_tPvRmT1_T2_T3_mT4_P12ihipStream_tbEUlT_E0_NS1_11comp_targetILNS1_3genE10ELNS1_11target_archE1201ELNS1_3gpuE5ELNS1_3repE0EEENS1_30default_config_static_selectorELNS0_4arch9wavefront6targetE1EEEvSM_,@function
_ZN7rocprim17ROCPRIM_400000_NS6detail17trampoline_kernelINS0_14default_configENS1_22reduce_config_selectorIbEEZNS1_11reduce_implILb1ES3_N6hipcub16HIPCUB_304000_NS22TransformInputIteratorIb7NonZeroIsEPslEEPllNS8_6detail34convert_binary_result_type_wrapperINS8_3SumESD_lEEEE10hipError_tPvRmT1_T2_T3_mT4_P12ihipStream_tbEUlT_E0_NS1_11comp_targetILNS1_3genE10ELNS1_11target_archE1201ELNS1_3gpuE5ELNS1_3repE0EEENS1_30default_config_static_selectorELNS0_4arch9wavefront6targetE1EEEvSM_: ; @_ZN7rocprim17ROCPRIM_400000_NS6detail17trampoline_kernelINS0_14default_configENS1_22reduce_config_selectorIbEEZNS1_11reduce_implILb1ES3_N6hipcub16HIPCUB_304000_NS22TransformInputIteratorIb7NonZeroIsEPslEEPllNS8_6detail34convert_binary_result_type_wrapperINS8_3SumESD_lEEEE10hipError_tPvRmT1_T2_T3_mT4_P12ihipStream_tbEUlT_E0_NS1_11comp_targetILNS1_3genE10ELNS1_11target_archE1201ELNS1_3gpuE5ELNS1_3repE0EEENS1_30default_config_static_selectorELNS0_4arch9wavefront6targetE1EEEvSM_
; %bb.0:
	.section	.rodata,"a",@progbits
	.p2align	6, 0x0
	.amdhsa_kernel _ZN7rocprim17ROCPRIM_400000_NS6detail17trampoline_kernelINS0_14default_configENS1_22reduce_config_selectorIbEEZNS1_11reduce_implILb1ES3_N6hipcub16HIPCUB_304000_NS22TransformInputIteratorIb7NonZeroIsEPslEEPllNS8_6detail34convert_binary_result_type_wrapperINS8_3SumESD_lEEEE10hipError_tPvRmT1_T2_T3_mT4_P12ihipStream_tbEUlT_E0_NS1_11comp_targetILNS1_3genE10ELNS1_11target_archE1201ELNS1_3gpuE5ELNS1_3repE0EEENS1_30default_config_static_selectorELNS0_4arch9wavefront6targetE1EEEvSM_
		.amdhsa_group_segment_fixed_size 0
		.amdhsa_private_segment_fixed_size 0
		.amdhsa_kernarg_size 72
		.amdhsa_user_sgpr_count 2
		.amdhsa_user_sgpr_dispatch_ptr 0
		.amdhsa_user_sgpr_queue_ptr 0
		.amdhsa_user_sgpr_kernarg_segment_ptr 1
		.amdhsa_user_sgpr_dispatch_id 0
		.amdhsa_user_sgpr_kernarg_preload_length 0
		.amdhsa_user_sgpr_kernarg_preload_offset 0
		.amdhsa_user_sgpr_private_segment_size 0
		.amdhsa_uses_dynamic_stack 0
		.amdhsa_enable_private_segment 0
		.amdhsa_system_sgpr_workgroup_id_x 1
		.amdhsa_system_sgpr_workgroup_id_y 0
		.amdhsa_system_sgpr_workgroup_id_z 0
		.amdhsa_system_sgpr_workgroup_info 0
		.amdhsa_system_vgpr_workitem_id 0
		.amdhsa_next_free_vgpr 1
		.amdhsa_next_free_sgpr 0
		.amdhsa_accum_offset 4
		.amdhsa_reserve_vcc 0
		.amdhsa_float_round_mode_32 0
		.amdhsa_float_round_mode_16_64 0
		.amdhsa_float_denorm_mode_32 3
		.amdhsa_float_denorm_mode_16_64 3
		.amdhsa_dx10_clamp 1
		.amdhsa_ieee_mode 1
		.amdhsa_fp16_overflow 0
		.amdhsa_tg_split 0
		.amdhsa_exception_fp_ieee_invalid_op 0
		.amdhsa_exception_fp_denorm_src 0
		.amdhsa_exception_fp_ieee_div_zero 0
		.amdhsa_exception_fp_ieee_overflow 0
		.amdhsa_exception_fp_ieee_underflow 0
		.amdhsa_exception_fp_ieee_inexact 0
		.amdhsa_exception_int_div_zero 0
	.end_amdhsa_kernel
	.section	.text._ZN7rocprim17ROCPRIM_400000_NS6detail17trampoline_kernelINS0_14default_configENS1_22reduce_config_selectorIbEEZNS1_11reduce_implILb1ES3_N6hipcub16HIPCUB_304000_NS22TransformInputIteratorIb7NonZeroIsEPslEEPllNS8_6detail34convert_binary_result_type_wrapperINS8_3SumESD_lEEEE10hipError_tPvRmT1_T2_T3_mT4_P12ihipStream_tbEUlT_E0_NS1_11comp_targetILNS1_3genE10ELNS1_11target_archE1201ELNS1_3gpuE5ELNS1_3repE0EEENS1_30default_config_static_selectorELNS0_4arch9wavefront6targetE1EEEvSM_,"axG",@progbits,_ZN7rocprim17ROCPRIM_400000_NS6detail17trampoline_kernelINS0_14default_configENS1_22reduce_config_selectorIbEEZNS1_11reduce_implILb1ES3_N6hipcub16HIPCUB_304000_NS22TransformInputIteratorIb7NonZeroIsEPslEEPllNS8_6detail34convert_binary_result_type_wrapperINS8_3SumESD_lEEEE10hipError_tPvRmT1_T2_T3_mT4_P12ihipStream_tbEUlT_E0_NS1_11comp_targetILNS1_3genE10ELNS1_11target_archE1201ELNS1_3gpuE5ELNS1_3repE0EEENS1_30default_config_static_selectorELNS0_4arch9wavefront6targetE1EEEvSM_,comdat
.Lfunc_end104:
	.size	_ZN7rocprim17ROCPRIM_400000_NS6detail17trampoline_kernelINS0_14default_configENS1_22reduce_config_selectorIbEEZNS1_11reduce_implILb1ES3_N6hipcub16HIPCUB_304000_NS22TransformInputIteratorIb7NonZeroIsEPslEEPllNS8_6detail34convert_binary_result_type_wrapperINS8_3SumESD_lEEEE10hipError_tPvRmT1_T2_T3_mT4_P12ihipStream_tbEUlT_E0_NS1_11comp_targetILNS1_3genE10ELNS1_11target_archE1201ELNS1_3gpuE5ELNS1_3repE0EEENS1_30default_config_static_selectorELNS0_4arch9wavefront6targetE1EEEvSM_, .Lfunc_end104-_ZN7rocprim17ROCPRIM_400000_NS6detail17trampoline_kernelINS0_14default_configENS1_22reduce_config_selectorIbEEZNS1_11reduce_implILb1ES3_N6hipcub16HIPCUB_304000_NS22TransformInputIteratorIb7NonZeroIsEPslEEPllNS8_6detail34convert_binary_result_type_wrapperINS8_3SumESD_lEEEE10hipError_tPvRmT1_T2_T3_mT4_P12ihipStream_tbEUlT_E0_NS1_11comp_targetILNS1_3genE10ELNS1_11target_archE1201ELNS1_3gpuE5ELNS1_3repE0EEENS1_30default_config_static_selectorELNS0_4arch9wavefront6targetE1EEEvSM_
                                        ; -- End function
	.set _ZN7rocprim17ROCPRIM_400000_NS6detail17trampoline_kernelINS0_14default_configENS1_22reduce_config_selectorIbEEZNS1_11reduce_implILb1ES3_N6hipcub16HIPCUB_304000_NS22TransformInputIteratorIb7NonZeroIsEPslEEPllNS8_6detail34convert_binary_result_type_wrapperINS8_3SumESD_lEEEE10hipError_tPvRmT1_T2_T3_mT4_P12ihipStream_tbEUlT_E0_NS1_11comp_targetILNS1_3genE10ELNS1_11target_archE1201ELNS1_3gpuE5ELNS1_3repE0EEENS1_30default_config_static_selectorELNS0_4arch9wavefront6targetE1EEEvSM_.num_vgpr, 0
	.set _ZN7rocprim17ROCPRIM_400000_NS6detail17trampoline_kernelINS0_14default_configENS1_22reduce_config_selectorIbEEZNS1_11reduce_implILb1ES3_N6hipcub16HIPCUB_304000_NS22TransformInputIteratorIb7NonZeroIsEPslEEPllNS8_6detail34convert_binary_result_type_wrapperINS8_3SumESD_lEEEE10hipError_tPvRmT1_T2_T3_mT4_P12ihipStream_tbEUlT_E0_NS1_11comp_targetILNS1_3genE10ELNS1_11target_archE1201ELNS1_3gpuE5ELNS1_3repE0EEENS1_30default_config_static_selectorELNS0_4arch9wavefront6targetE1EEEvSM_.num_agpr, 0
	.set _ZN7rocprim17ROCPRIM_400000_NS6detail17trampoline_kernelINS0_14default_configENS1_22reduce_config_selectorIbEEZNS1_11reduce_implILb1ES3_N6hipcub16HIPCUB_304000_NS22TransformInputIteratorIb7NonZeroIsEPslEEPllNS8_6detail34convert_binary_result_type_wrapperINS8_3SumESD_lEEEE10hipError_tPvRmT1_T2_T3_mT4_P12ihipStream_tbEUlT_E0_NS1_11comp_targetILNS1_3genE10ELNS1_11target_archE1201ELNS1_3gpuE5ELNS1_3repE0EEENS1_30default_config_static_selectorELNS0_4arch9wavefront6targetE1EEEvSM_.numbered_sgpr, 0
	.set _ZN7rocprim17ROCPRIM_400000_NS6detail17trampoline_kernelINS0_14default_configENS1_22reduce_config_selectorIbEEZNS1_11reduce_implILb1ES3_N6hipcub16HIPCUB_304000_NS22TransformInputIteratorIb7NonZeroIsEPslEEPllNS8_6detail34convert_binary_result_type_wrapperINS8_3SumESD_lEEEE10hipError_tPvRmT1_T2_T3_mT4_P12ihipStream_tbEUlT_E0_NS1_11comp_targetILNS1_3genE10ELNS1_11target_archE1201ELNS1_3gpuE5ELNS1_3repE0EEENS1_30default_config_static_selectorELNS0_4arch9wavefront6targetE1EEEvSM_.num_named_barrier, 0
	.set _ZN7rocprim17ROCPRIM_400000_NS6detail17trampoline_kernelINS0_14default_configENS1_22reduce_config_selectorIbEEZNS1_11reduce_implILb1ES3_N6hipcub16HIPCUB_304000_NS22TransformInputIteratorIb7NonZeroIsEPslEEPllNS8_6detail34convert_binary_result_type_wrapperINS8_3SumESD_lEEEE10hipError_tPvRmT1_T2_T3_mT4_P12ihipStream_tbEUlT_E0_NS1_11comp_targetILNS1_3genE10ELNS1_11target_archE1201ELNS1_3gpuE5ELNS1_3repE0EEENS1_30default_config_static_selectorELNS0_4arch9wavefront6targetE1EEEvSM_.private_seg_size, 0
	.set _ZN7rocprim17ROCPRIM_400000_NS6detail17trampoline_kernelINS0_14default_configENS1_22reduce_config_selectorIbEEZNS1_11reduce_implILb1ES3_N6hipcub16HIPCUB_304000_NS22TransformInputIteratorIb7NonZeroIsEPslEEPllNS8_6detail34convert_binary_result_type_wrapperINS8_3SumESD_lEEEE10hipError_tPvRmT1_T2_T3_mT4_P12ihipStream_tbEUlT_E0_NS1_11comp_targetILNS1_3genE10ELNS1_11target_archE1201ELNS1_3gpuE5ELNS1_3repE0EEENS1_30default_config_static_selectorELNS0_4arch9wavefront6targetE1EEEvSM_.uses_vcc, 0
	.set _ZN7rocprim17ROCPRIM_400000_NS6detail17trampoline_kernelINS0_14default_configENS1_22reduce_config_selectorIbEEZNS1_11reduce_implILb1ES3_N6hipcub16HIPCUB_304000_NS22TransformInputIteratorIb7NonZeroIsEPslEEPllNS8_6detail34convert_binary_result_type_wrapperINS8_3SumESD_lEEEE10hipError_tPvRmT1_T2_T3_mT4_P12ihipStream_tbEUlT_E0_NS1_11comp_targetILNS1_3genE10ELNS1_11target_archE1201ELNS1_3gpuE5ELNS1_3repE0EEENS1_30default_config_static_selectorELNS0_4arch9wavefront6targetE1EEEvSM_.uses_flat_scratch, 0
	.set _ZN7rocprim17ROCPRIM_400000_NS6detail17trampoline_kernelINS0_14default_configENS1_22reduce_config_selectorIbEEZNS1_11reduce_implILb1ES3_N6hipcub16HIPCUB_304000_NS22TransformInputIteratorIb7NonZeroIsEPslEEPllNS8_6detail34convert_binary_result_type_wrapperINS8_3SumESD_lEEEE10hipError_tPvRmT1_T2_T3_mT4_P12ihipStream_tbEUlT_E0_NS1_11comp_targetILNS1_3genE10ELNS1_11target_archE1201ELNS1_3gpuE5ELNS1_3repE0EEENS1_30default_config_static_selectorELNS0_4arch9wavefront6targetE1EEEvSM_.has_dyn_sized_stack, 0
	.set _ZN7rocprim17ROCPRIM_400000_NS6detail17trampoline_kernelINS0_14default_configENS1_22reduce_config_selectorIbEEZNS1_11reduce_implILb1ES3_N6hipcub16HIPCUB_304000_NS22TransformInputIteratorIb7NonZeroIsEPslEEPllNS8_6detail34convert_binary_result_type_wrapperINS8_3SumESD_lEEEE10hipError_tPvRmT1_T2_T3_mT4_P12ihipStream_tbEUlT_E0_NS1_11comp_targetILNS1_3genE10ELNS1_11target_archE1201ELNS1_3gpuE5ELNS1_3repE0EEENS1_30default_config_static_selectorELNS0_4arch9wavefront6targetE1EEEvSM_.has_recursion, 0
	.set _ZN7rocprim17ROCPRIM_400000_NS6detail17trampoline_kernelINS0_14default_configENS1_22reduce_config_selectorIbEEZNS1_11reduce_implILb1ES3_N6hipcub16HIPCUB_304000_NS22TransformInputIteratorIb7NonZeroIsEPslEEPllNS8_6detail34convert_binary_result_type_wrapperINS8_3SumESD_lEEEE10hipError_tPvRmT1_T2_T3_mT4_P12ihipStream_tbEUlT_E0_NS1_11comp_targetILNS1_3genE10ELNS1_11target_archE1201ELNS1_3gpuE5ELNS1_3repE0EEENS1_30default_config_static_selectorELNS0_4arch9wavefront6targetE1EEEvSM_.has_indirect_call, 0
	.section	.AMDGPU.csdata,"",@progbits
; Kernel info:
; codeLenInByte = 0
; TotalNumSgprs: 6
; NumVgprs: 0
; NumAgprs: 0
; TotalNumVgprs: 0
; ScratchSize: 0
; MemoryBound: 0
; FloatMode: 240
; IeeeMode: 1
; LDSByteSize: 0 bytes/workgroup (compile time only)
; SGPRBlocks: 0
; VGPRBlocks: 0
; NumSGPRsForWavesPerEU: 6
; NumVGPRsForWavesPerEU: 1
; AccumOffset: 4
; Occupancy: 8
; WaveLimiterHint : 0
; COMPUTE_PGM_RSRC2:SCRATCH_EN: 0
; COMPUTE_PGM_RSRC2:USER_SGPR: 2
; COMPUTE_PGM_RSRC2:TRAP_HANDLER: 0
; COMPUTE_PGM_RSRC2:TGID_X_EN: 1
; COMPUTE_PGM_RSRC2:TGID_Y_EN: 0
; COMPUTE_PGM_RSRC2:TGID_Z_EN: 0
; COMPUTE_PGM_RSRC2:TIDIG_COMP_CNT: 0
; COMPUTE_PGM_RSRC3_GFX90A:ACCUM_OFFSET: 0
; COMPUTE_PGM_RSRC3_GFX90A:TG_SPLIT: 0
	.section	.text._ZN7rocprim17ROCPRIM_400000_NS6detail17trampoline_kernelINS0_14default_configENS1_22reduce_config_selectorIbEEZNS1_11reduce_implILb1ES3_N6hipcub16HIPCUB_304000_NS22TransformInputIteratorIb7NonZeroIsEPslEEPllNS8_6detail34convert_binary_result_type_wrapperINS8_3SumESD_lEEEE10hipError_tPvRmT1_T2_T3_mT4_P12ihipStream_tbEUlT_E0_NS1_11comp_targetILNS1_3genE10ELNS1_11target_archE1200ELNS1_3gpuE4ELNS1_3repE0EEENS1_30default_config_static_selectorELNS0_4arch9wavefront6targetE1EEEvSM_,"axG",@progbits,_ZN7rocprim17ROCPRIM_400000_NS6detail17trampoline_kernelINS0_14default_configENS1_22reduce_config_selectorIbEEZNS1_11reduce_implILb1ES3_N6hipcub16HIPCUB_304000_NS22TransformInputIteratorIb7NonZeroIsEPslEEPllNS8_6detail34convert_binary_result_type_wrapperINS8_3SumESD_lEEEE10hipError_tPvRmT1_T2_T3_mT4_P12ihipStream_tbEUlT_E0_NS1_11comp_targetILNS1_3genE10ELNS1_11target_archE1200ELNS1_3gpuE4ELNS1_3repE0EEENS1_30default_config_static_selectorELNS0_4arch9wavefront6targetE1EEEvSM_,comdat
	.protected	_ZN7rocprim17ROCPRIM_400000_NS6detail17trampoline_kernelINS0_14default_configENS1_22reduce_config_selectorIbEEZNS1_11reduce_implILb1ES3_N6hipcub16HIPCUB_304000_NS22TransformInputIteratorIb7NonZeroIsEPslEEPllNS8_6detail34convert_binary_result_type_wrapperINS8_3SumESD_lEEEE10hipError_tPvRmT1_T2_T3_mT4_P12ihipStream_tbEUlT_E0_NS1_11comp_targetILNS1_3genE10ELNS1_11target_archE1200ELNS1_3gpuE4ELNS1_3repE0EEENS1_30default_config_static_selectorELNS0_4arch9wavefront6targetE1EEEvSM_ ; -- Begin function _ZN7rocprim17ROCPRIM_400000_NS6detail17trampoline_kernelINS0_14default_configENS1_22reduce_config_selectorIbEEZNS1_11reduce_implILb1ES3_N6hipcub16HIPCUB_304000_NS22TransformInputIteratorIb7NonZeroIsEPslEEPllNS8_6detail34convert_binary_result_type_wrapperINS8_3SumESD_lEEEE10hipError_tPvRmT1_T2_T3_mT4_P12ihipStream_tbEUlT_E0_NS1_11comp_targetILNS1_3genE10ELNS1_11target_archE1200ELNS1_3gpuE4ELNS1_3repE0EEENS1_30default_config_static_selectorELNS0_4arch9wavefront6targetE1EEEvSM_
	.globl	_ZN7rocprim17ROCPRIM_400000_NS6detail17trampoline_kernelINS0_14default_configENS1_22reduce_config_selectorIbEEZNS1_11reduce_implILb1ES3_N6hipcub16HIPCUB_304000_NS22TransformInputIteratorIb7NonZeroIsEPslEEPllNS8_6detail34convert_binary_result_type_wrapperINS8_3SumESD_lEEEE10hipError_tPvRmT1_T2_T3_mT4_P12ihipStream_tbEUlT_E0_NS1_11comp_targetILNS1_3genE10ELNS1_11target_archE1200ELNS1_3gpuE4ELNS1_3repE0EEENS1_30default_config_static_selectorELNS0_4arch9wavefront6targetE1EEEvSM_
	.p2align	8
	.type	_ZN7rocprim17ROCPRIM_400000_NS6detail17trampoline_kernelINS0_14default_configENS1_22reduce_config_selectorIbEEZNS1_11reduce_implILb1ES3_N6hipcub16HIPCUB_304000_NS22TransformInputIteratorIb7NonZeroIsEPslEEPllNS8_6detail34convert_binary_result_type_wrapperINS8_3SumESD_lEEEE10hipError_tPvRmT1_T2_T3_mT4_P12ihipStream_tbEUlT_E0_NS1_11comp_targetILNS1_3genE10ELNS1_11target_archE1200ELNS1_3gpuE4ELNS1_3repE0EEENS1_30default_config_static_selectorELNS0_4arch9wavefront6targetE1EEEvSM_,@function
_ZN7rocprim17ROCPRIM_400000_NS6detail17trampoline_kernelINS0_14default_configENS1_22reduce_config_selectorIbEEZNS1_11reduce_implILb1ES3_N6hipcub16HIPCUB_304000_NS22TransformInputIteratorIb7NonZeroIsEPslEEPllNS8_6detail34convert_binary_result_type_wrapperINS8_3SumESD_lEEEE10hipError_tPvRmT1_T2_T3_mT4_P12ihipStream_tbEUlT_E0_NS1_11comp_targetILNS1_3genE10ELNS1_11target_archE1200ELNS1_3gpuE4ELNS1_3repE0EEENS1_30default_config_static_selectorELNS0_4arch9wavefront6targetE1EEEvSM_: ; @_ZN7rocprim17ROCPRIM_400000_NS6detail17trampoline_kernelINS0_14default_configENS1_22reduce_config_selectorIbEEZNS1_11reduce_implILb1ES3_N6hipcub16HIPCUB_304000_NS22TransformInputIteratorIb7NonZeroIsEPslEEPllNS8_6detail34convert_binary_result_type_wrapperINS8_3SumESD_lEEEE10hipError_tPvRmT1_T2_T3_mT4_P12ihipStream_tbEUlT_E0_NS1_11comp_targetILNS1_3genE10ELNS1_11target_archE1200ELNS1_3gpuE4ELNS1_3repE0EEENS1_30default_config_static_selectorELNS0_4arch9wavefront6targetE1EEEvSM_
; %bb.0:
	.section	.rodata,"a",@progbits
	.p2align	6, 0x0
	.amdhsa_kernel _ZN7rocprim17ROCPRIM_400000_NS6detail17trampoline_kernelINS0_14default_configENS1_22reduce_config_selectorIbEEZNS1_11reduce_implILb1ES3_N6hipcub16HIPCUB_304000_NS22TransformInputIteratorIb7NonZeroIsEPslEEPllNS8_6detail34convert_binary_result_type_wrapperINS8_3SumESD_lEEEE10hipError_tPvRmT1_T2_T3_mT4_P12ihipStream_tbEUlT_E0_NS1_11comp_targetILNS1_3genE10ELNS1_11target_archE1200ELNS1_3gpuE4ELNS1_3repE0EEENS1_30default_config_static_selectorELNS0_4arch9wavefront6targetE1EEEvSM_
		.amdhsa_group_segment_fixed_size 0
		.amdhsa_private_segment_fixed_size 0
		.amdhsa_kernarg_size 72
		.amdhsa_user_sgpr_count 2
		.amdhsa_user_sgpr_dispatch_ptr 0
		.amdhsa_user_sgpr_queue_ptr 0
		.amdhsa_user_sgpr_kernarg_segment_ptr 1
		.amdhsa_user_sgpr_dispatch_id 0
		.amdhsa_user_sgpr_kernarg_preload_length 0
		.amdhsa_user_sgpr_kernarg_preload_offset 0
		.amdhsa_user_sgpr_private_segment_size 0
		.amdhsa_uses_dynamic_stack 0
		.amdhsa_enable_private_segment 0
		.amdhsa_system_sgpr_workgroup_id_x 1
		.amdhsa_system_sgpr_workgroup_id_y 0
		.amdhsa_system_sgpr_workgroup_id_z 0
		.amdhsa_system_sgpr_workgroup_info 0
		.amdhsa_system_vgpr_workitem_id 0
		.amdhsa_next_free_vgpr 1
		.amdhsa_next_free_sgpr 0
		.amdhsa_accum_offset 4
		.amdhsa_reserve_vcc 0
		.amdhsa_float_round_mode_32 0
		.amdhsa_float_round_mode_16_64 0
		.amdhsa_float_denorm_mode_32 3
		.amdhsa_float_denorm_mode_16_64 3
		.amdhsa_dx10_clamp 1
		.amdhsa_ieee_mode 1
		.amdhsa_fp16_overflow 0
		.amdhsa_tg_split 0
		.amdhsa_exception_fp_ieee_invalid_op 0
		.amdhsa_exception_fp_denorm_src 0
		.amdhsa_exception_fp_ieee_div_zero 0
		.amdhsa_exception_fp_ieee_overflow 0
		.amdhsa_exception_fp_ieee_underflow 0
		.amdhsa_exception_fp_ieee_inexact 0
		.amdhsa_exception_int_div_zero 0
	.end_amdhsa_kernel
	.section	.text._ZN7rocprim17ROCPRIM_400000_NS6detail17trampoline_kernelINS0_14default_configENS1_22reduce_config_selectorIbEEZNS1_11reduce_implILb1ES3_N6hipcub16HIPCUB_304000_NS22TransformInputIteratorIb7NonZeroIsEPslEEPllNS8_6detail34convert_binary_result_type_wrapperINS8_3SumESD_lEEEE10hipError_tPvRmT1_T2_T3_mT4_P12ihipStream_tbEUlT_E0_NS1_11comp_targetILNS1_3genE10ELNS1_11target_archE1200ELNS1_3gpuE4ELNS1_3repE0EEENS1_30default_config_static_selectorELNS0_4arch9wavefront6targetE1EEEvSM_,"axG",@progbits,_ZN7rocprim17ROCPRIM_400000_NS6detail17trampoline_kernelINS0_14default_configENS1_22reduce_config_selectorIbEEZNS1_11reduce_implILb1ES3_N6hipcub16HIPCUB_304000_NS22TransformInputIteratorIb7NonZeroIsEPslEEPllNS8_6detail34convert_binary_result_type_wrapperINS8_3SumESD_lEEEE10hipError_tPvRmT1_T2_T3_mT4_P12ihipStream_tbEUlT_E0_NS1_11comp_targetILNS1_3genE10ELNS1_11target_archE1200ELNS1_3gpuE4ELNS1_3repE0EEENS1_30default_config_static_selectorELNS0_4arch9wavefront6targetE1EEEvSM_,comdat
.Lfunc_end105:
	.size	_ZN7rocprim17ROCPRIM_400000_NS6detail17trampoline_kernelINS0_14default_configENS1_22reduce_config_selectorIbEEZNS1_11reduce_implILb1ES3_N6hipcub16HIPCUB_304000_NS22TransformInputIteratorIb7NonZeroIsEPslEEPllNS8_6detail34convert_binary_result_type_wrapperINS8_3SumESD_lEEEE10hipError_tPvRmT1_T2_T3_mT4_P12ihipStream_tbEUlT_E0_NS1_11comp_targetILNS1_3genE10ELNS1_11target_archE1200ELNS1_3gpuE4ELNS1_3repE0EEENS1_30default_config_static_selectorELNS0_4arch9wavefront6targetE1EEEvSM_, .Lfunc_end105-_ZN7rocprim17ROCPRIM_400000_NS6detail17trampoline_kernelINS0_14default_configENS1_22reduce_config_selectorIbEEZNS1_11reduce_implILb1ES3_N6hipcub16HIPCUB_304000_NS22TransformInputIteratorIb7NonZeroIsEPslEEPllNS8_6detail34convert_binary_result_type_wrapperINS8_3SumESD_lEEEE10hipError_tPvRmT1_T2_T3_mT4_P12ihipStream_tbEUlT_E0_NS1_11comp_targetILNS1_3genE10ELNS1_11target_archE1200ELNS1_3gpuE4ELNS1_3repE0EEENS1_30default_config_static_selectorELNS0_4arch9wavefront6targetE1EEEvSM_
                                        ; -- End function
	.set _ZN7rocprim17ROCPRIM_400000_NS6detail17trampoline_kernelINS0_14default_configENS1_22reduce_config_selectorIbEEZNS1_11reduce_implILb1ES3_N6hipcub16HIPCUB_304000_NS22TransformInputIteratorIb7NonZeroIsEPslEEPllNS8_6detail34convert_binary_result_type_wrapperINS8_3SumESD_lEEEE10hipError_tPvRmT1_T2_T3_mT4_P12ihipStream_tbEUlT_E0_NS1_11comp_targetILNS1_3genE10ELNS1_11target_archE1200ELNS1_3gpuE4ELNS1_3repE0EEENS1_30default_config_static_selectorELNS0_4arch9wavefront6targetE1EEEvSM_.num_vgpr, 0
	.set _ZN7rocprim17ROCPRIM_400000_NS6detail17trampoline_kernelINS0_14default_configENS1_22reduce_config_selectorIbEEZNS1_11reduce_implILb1ES3_N6hipcub16HIPCUB_304000_NS22TransformInputIteratorIb7NonZeroIsEPslEEPllNS8_6detail34convert_binary_result_type_wrapperINS8_3SumESD_lEEEE10hipError_tPvRmT1_T2_T3_mT4_P12ihipStream_tbEUlT_E0_NS1_11comp_targetILNS1_3genE10ELNS1_11target_archE1200ELNS1_3gpuE4ELNS1_3repE0EEENS1_30default_config_static_selectorELNS0_4arch9wavefront6targetE1EEEvSM_.num_agpr, 0
	.set _ZN7rocprim17ROCPRIM_400000_NS6detail17trampoline_kernelINS0_14default_configENS1_22reduce_config_selectorIbEEZNS1_11reduce_implILb1ES3_N6hipcub16HIPCUB_304000_NS22TransformInputIteratorIb7NonZeroIsEPslEEPllNS8_6detail34convert_binary_result_type_wrapperINS8_3SumESD_lEEEE10hipError_tPvRmT1_T2_T3_mT4_P12ihipStream_tbEUlT_E0_NS1_11comp_targetILNS1_3genE10ELNS1_11target_archE1200ELNS1_3gpuE4ELNS1_3repE0EEENS1_30default_config_static_selectorELNS0_4arch9wavefront6targetE1EEEvSM_.numbered_sgpr, 0
	.set _ZN7rocprim17ROCPRIM_400000_NS6detail17trampoline_kernelINS0_14default_configENS1_22reduce_config_selectorIbEEZNS1_11reduce_implILb1ES3_N6hipcub16HIPCUB_304000_NS22TransformInputIteratorIb7NonZeroIsEPslEEPllNS8_6detail34convert_binary_result_type_wrapperINS8_3SumESD_lEEEE10hipError_tPvRmT1_T2_T3_mT4_P12ihipStream_tbEUlT_E0_NS1_11comp_targetILNS1_3genE10ELNS1_11target_archE1200ELNS1_3gpuE4ELNS1_3repE0EEENS1_30default_config_static_selectorELNS0_4arch9wavefront6targetE1EEEvSM_.num_named_barrier, 0
	.set _ZN7rocprim17ROCPRIM_400000_NS6detail17trampoline_kernelINS0_14default_configENS1_22reduce_config_selectorIbEEZNS1_11reduce_implILb1ES3_N6hipcub16HIPCUB_304000_NS22TransformInputIteratorIb7NonZeroIsEPslEEPllNS8_6detail34convert_binary_result_type_wrapperINS8_3SumESD_lEEEE10hipError_tPvRmT1_T2_T3_mT4_P12ihipStream_tbEUlT_E0_NS1_11comp_targetILNS1_3genE10ELNS1_11target_archE1200ELNS1_3gpuE4ELNS1_3repE0EEENS1_30default_config_static_selectorELNS0_4arch9wavefront6targetE1EEEvSM_.private_seg_size, 0
	.set _ZN7rocprim17ROCPRIM_400000_NS6detail17trampoline_kernelINS0_14default_configENS1_22reduce_config_selectorIbEEZNS1_11reduce_implILb1ES3_N6hipcub16HIPCUB_304000_NS22TransformInputIteratorIb7NonZeroIsEPslEEPllNS8_6detail34convert_binary_result_type_wrapperINS8_3SumESD_lEEEE10hipError_tPvRmT1_T2_T3_mT4_P12ihipStream_tbEUlT_E0_NS1_11comp_targetILNS1_3genE10ELNS1_11target_archE1200ELNS1_3gpuE4ELNS1_3repE0EEENS1_30default_config_static_selectorELNS0_4arch9wavefront6targetE1EEEvSM_.uses_vcc, 0
	.set _ZN7rocprim17ROCPRIM_400000_NS6detail17trampoline_kernelINS0_14default_configENS1_22reduce_config_selectorIbEEZNS1_11reduce_implILb1ES3_N6hipcub16HIPCUB_304000_NS22TransformInputIteratorIb7NonZeroIsEPslEEPllNS8_6detail34convert_binary_result_type_wrapperINS8_3SumESD_lEEEE10hipError_tPvRmT1_T2_T3_mT4_P12ihipStream_tbEUlT_E0_NS1_11comp_targetILNS1_3genE10ELNS1_11target_archE1200ELNS1_3gpuE4ELNS1_3repE0EEENS1_30default_config_static_selectorELNS0_4arch9wavefront6targetE1EEEvSM_.uses_flat_scratch, 0
	.set _ZN7rocprim17ROCPRIM_400000_NS6detail17trampoline_kernelINS0_14default_configENS1_22reduce_config_selectorIbEEZNS1_11reduce_implILb1ES3_N6hipcub16HIPCUB_304000_NS22TransformInputIteratorIb7NonZeroIsEPslEEPllNS8_6detail34convert_binary_result_type_wrapperINS8_3SumESD_lEEEE10hipError_tPvRmT1_T2_T3_mT4_P12ihipStream_tbEUlT_E0_NS1_11comp_targetILNS1_3genE10ELNS1_11target_archE1200ELNS1_3gpuE4ELNS1_3repE0EEENS1_30default_config_static_selectorELNS0_4arch9wavefront6targetE1EEEvSM_.has_dyn_sized_stack, 0
	.set _ZN7rocprim17ROCPRIM_400000_NS6detail17trampoline_kernelINS0_14default_configENS1_22reduce_config_selectorIbEEZNS1_11reduce_implILb1ES3_N6hipcub16HIPCUB_304000_NS22TransformInputIteratorIb7NonZeroIsEPslEEPllNS8_6detail34convert_binary_result_type_wrapperINS8_3SumESD_lEEEE10hipError_tPvRmT1_T2_T3_mT4_P12ihipStream_tbEUlT_E0_NS1_11comp_targetILNS1_3genE10ELNS1_11target_archE1200ELNS1_3gpuE4ELNS1_3repE0EEENS1_30default_config_static_selectorELNS0_4arch9wavefront6targetE1EEEvSM_.has_recursion, 0
	.set _ZN7rocprim17ROCPRIM_400000_NS6detail17trampoline_kernelINS0_14default_configENS1_22reduce_config_selectorIbEEZNS1_11reduce_implILb1ES3_N6hipcub16HIPCUB_304000_NS22TransformInputIteratorIb7NonZeroIsEPslEEPllNS8_6detail34convert_binary_result_type_wrapperINS8_3SumESD_lEEEE10hipError_tPvRmT1_T2_T3_mT4_P12ihipStream_tbEUlT_E0_NS1_11comp_targetILNS1_3genE10ELNS1_11target_archE1200ELNS1_3gpuE4ELNS1_3repE0EEENS1_30default_config_static_selectorELNS0_4arch9wavefront6targetE1EEEvSM_.has_indirect_call, 0
	.section	.AMDGPU.csdata,"",@progbits
; Kernel info:
; codeLenInByte = 0
; TotalNumSgprs: 6
; NumVgprs: 0
; NumAgprs: 0
; TotalNumVgprs: 0
; ScratchSize: 0
; MemoryBound: 0
; FloatMode: 240
; IeeeMode: 1
; LDSByteSize: 0 bytes/workgroup (compile time only)
; SGPRBlocks: 0
; VGPRBlocks: 0
; NumSGPRsForWavesPerEU: 6
; NumVGPRsForWavesPerEU: 1
; AccumOffset: 4
; Occupancy: 8
; WaveLimiterHint : 0
; COMPUTE_PGM_RSRC2:SCRATCH_EN: 0
; COMPUTE_PGM_RSRC2:USER_SGPR: 2
; COMPUTE_PGM_RSRC2:TRAP_HANDLER: 0
; COMPUTE_PGM_RSRC2:TGID_X_EN: 1
; COMPUTE_PGM_RSRC2:TGID_Y_EN: 0
; COMPUTE_PGM_RSRC2:TGID_Z_EN: 0
; COMPUTE_PGM_RSRC2:TIDIG_COMP_CNT: 0
; COMPUTE_PGM_RSRC3_GFX90A:ACCUM_OFFSET: 0
; COMPUTE_PGM_RSRC3_GFX90A:TG_SPLIT: 0
	.section	.text._ZN7rocprim17ROCPRIM_400000_NS6detail17trampoline_kernelINS0_14default_configENS1_22reduce_config_selectorIbEEZNS1_11reduce_implILb1ES3_N6hipcub16HIPCUB_304000_NS22TransformInputIteratorIb7NonZeroIsEPslEEPllNS8_6detail34convert_binary_result_type_wrapperINS8_3SumESD_lEEEE10hipError_tPvRmT1_T2_T3_mT4_P12ihipStream_tbEUlT_E0_NS1_11comp_targetILNS1_3genE9ELNS1_11target_archE1100ELNS1_3gpuE3ELNS1_3repE0EEENS1_30default_config_static_selectorELNS0_4arch9wavefront6targetE1EEEvSM_,"axG",@progbits,_ZN7rocprim17ROCPRIM_400000_NS6detail17trampoline_kernelINS0_14default_configENS1_22reduce_config_selectorIbEEZNS1_11reduce_implILb1ES3_N6hipcub16HIPCUB_304000_NS22TransformInputIteratorIb7NonZeroIsEPslEEPllNS8_6detail34convert_binary_result_type_wrapperINS8_3SumESD_lEEEE10hipError_tPvRmT1_T2_T3_mT4_P12ihipStream_tbEUlT_E0_NS1_11comp_targetILNS1_3genE9ELNS1_11target_archE1100ELNS1_3gpuE3ELNS1_3repE0EEENS1_30default_config_static_selectorELNS0_4arch9wavefront6targetE1EEEvSM_,comdat
	.protected	_ZN7rocprim17ROCPRIM_400000_NS6detail17trampoline_kernelINS0_14default_configENS1_22reduce_config_selectorIbEEZNS1_11reduce_implILb1ES3_N6hipcub16HIPCUB_304000_NS22TransformInputIteratorIb7NonZeroIsEPslEEPllNS8_6detail34convert_binary_result_type_wrapperINS8_3SumESD_lEEEE10hipError_tPvRmT1_T2_T3_mT4_P12ihipStream_tbEUlT_E0_NS1_11comp_targetILNS1_3genE9ELNS1_11target_archE1100ELNS1_3gpuE3ELNS1_3repE0EEENS1_30default_config_static_selectorELNS0_4arch9wavefront6targetE1EEEvSM_ ; -- Begin function _ZN7rocprim17ROCPRIM_400000_NS6detail17trampoline_kernelINS0_14default_configENS1_22reduce_config_selectorIbEEZNS1_11reduce_implILb1ES3_N6hipcub16HIPCUB_304000_NS22TransformInputIteratorIb7NonZeroIsEPslEEPllNS8_6detail34convert_binary_result_type_wrapperINS8_3SumESD_lEEEE10hipError_tPvRmT1_T2_T3_mT4_P12ihipStream_tbEUlT_E0_NS1_11comp_targetILNS1_3genE9ELNS1_11target_archE1100ELNS1_3gpuE3ELNS1_3repE0EEENS1_30default_config_static_selectorELNS0_4arch9wavefront6targetE1EEEvSM_
	.globl	_ZN7rocprim17ROCPRIM_400000_NS6detail17trampoline_kernelINS0_14default_configENS1_22reduce_config_selectorIbEEZNS1_11reduce_implILb1ES3_N6hipcub16HIPCUB_304000_NS22TransformInputIteratorIb7NonZeroIsEPslEEPllNS8_6detail34convert_binary_result_type_wrapperINS8_3SumESD_lEEEE10hipError_tPvRmT1_T2_T3_mT4_P12ihipStream_tbEUlT_E0_NS1_11comp_targetILNS1_3genE9ELNS1_11target_archE1100ELNS1_3gpuE3ELNS1_3repE0EEENS1_30default_config_static_selectorELNS0_4arch9wavefront6targetE1EEEvSM_
	.p2align	8
	.type	_ZN7rocprim17ROCPRIM_400000_NS6detail17trampoline_kernelINS0_14default_configENS1_22reduce_config_selectorIbEEZNS1_11reduce_implILb1ES3_N6hipcub16HIPCUB_304000_NS22TransformInputIteratorIb7NonZeroIsEPslEEPllNS8_6detail34convert_binary_result_type_wrapperINS8_3SumESD_lEEEE10hipError_tPvRmT1_T2_T3_mT4_P12ihipStream_tbEUlT_E0_NS1_11comp_targetILNS1_3genE9ELNS1_11target_archE1100ELNS1_3gpuE3ELNS1_3repE0EEENS1_30default_config_static_selectorELNS0_4arch9wavefront6targetE1EEEvSM_,@function
_ZN7rocprim17ROCPRIM_400000_NS6detail17trampoline_kernelINS0_14default_configENS1_22reduce_config_selectorIbEEZNS1_11reduce_implILb1ES3_N6hipcub16HIPCUB_304000_NS22TransformInputIteratorIb7NonZeroIsEPslEEPllNS8_6detail34convert_binary_result_type_wrapperINS8_3SumESD_lEEEE10hipError_tPvRmT1_T2_T3_mT4_P12ihipStream_tbEUlT_E0_NS1_11comp_targetILNS1_3genE9ELNS1_11target_archE1100ELNS1_3gpuE3ELNS1_3repE0EEENS1_30default_config_static_selectorELNS0_4arch9wavefront6targetE1EEEvSM_: ; @_ZN7rocprim17ROCPRIM_400000_NS6detail17trampoline_kernelINS0_14default_configENS1_22reduce_config_selectorIbEEZNS1_11reduce_implILb1ES3_N6hipcub16HIPCUB_304000_NS22TransformInputIteratorIb7NonZeroIsEPslEEPllNS8_6detail34convert_binary_result_type_wrapperINS8_3SumESD_lEEEE10hipError_tPvRmT1_T2_T3_mT4_P12ihipStream_tbEUlT_E0_NS1_11comp_targetILNS1_3genE9ELNS1_11target_archE1100ELNS1_3gpuE3ELNS1_3repE0EEENS1_30default_config_static_selectorELNS0_4arch9wavefront6targetE1EEEvSM_
; %bb.0:
	.section	.rodata,"a",@progbits
	.p2align	6, 0x0
	.amdhsa_kernel _ZN7rocprim17ROCPRIM_400000_NS6detail17trampoline_kernelINS0_14default_configENS1_22reduce_config_selectorIbEEZNS1_11reduce_implILb1ES3_N6hipcub16HIPCUB_304000_NS22TransformInputIteratorIb7NonZeroIsEPslEEPllNS8_6detail34convert_binary_result_type_wrapperINS8_3SumESD_lEEEE10hipError_tPvRmT1_T2_T3_mT4_P12ihipStream_tbEUlT_E0_NS1_11comp_targetILNS1_3genE9ELNS1_11target_archE1100ELNS1_3gpuE3ELNS1_3repE0EEENS1_30default_config_static_selectorELNS0_4arch9wavefront6targetE1EEEvSM_
		.amdhsa_group_segment_fixed_size 0
		.amdhsa_private_segment_fixed_size 0
		.amdhsa_kernarg_size 72
		.amdhsa_user_sgpr_count 2
		.amdhsa_user_sgpr_dispatch_ptr 0
		.amdhsa_user_sgpr_queue_ptr 0
		.amdhsa_user_sgpr_kernarg_segment_ptr 1
		.amdhsa_user_sgpr_dispatch_id 0
		.amdhsa_user_sgpr_kernarg_preload_length 0
		.amdhsa_user_sgpr_kernarg_preload_offset 0
		.amdhsa_user_sgpr_private_segment_size 0
		.amdhsa_uses_dynamic_stack 0
		.amdhsa_enable_private_segment 0
		.amdhsa_system_sgpr_workgroup_id_x 1
		.amdhsa_system_sgpr_workgroup_id_y 0
		.amdhsa_system_sgpr_workgroup_id_z 0
		.amdhsa_system_sgpr_workgroup_info 0
		.amdhsa_system_vgpr_workitem_id 0
		.amdhsa_next_free_vgpr 1
		.amdhsa_next_free_sgpr 0
		.amdhsa_accum_offset 4
		.amdhsa_reserve_vcc 0
		.amdhsa_float_round_mode_32 0
		.amdhsa_float_round_mode_16_64 0
		.amdhsa_float_denorm_mode_32 3
		.amdhsa_float_denorm_mode_16_64 3
		.amdhsa_dx10_clamp 1
		.amdhsa_ieee_mode 1
		.amdhsa_fp16_overflow 0
		.amdhsa_tg_split 0
		.amdhsa_exception_fp_ieee_invalid_op 0
		.amdhsa_exception_fp_denorm_src 0
		.amdhsa_exception_fp_ieee_div_zero 0
		.amdhsa_exception_fp_ieee_overflow 0
		.amdhsa_exception_fp_ieee_underflow 0
		.amdhsa_exception_fp_ieee_inexact 0
		.amdhsa_exception_int_div_zero 0
	.end_amdhsa_kernel
	.section	.text._ZN7rocprim17ROCPRIM_400000_NS6detail17trampoline_kernelINS0_14default_configENS1_22reduce_config_selectorIbEEZNS1_11reduce_implILb1ES3_N6hipcub16HIPCUB_304000_NS22TransformInputIteratorIb7NonZeroIsEPslEEPllNS8_6detail34convert_binary_result_type_wrapperINS8_3SumESD_lEEEE10hipError_tPvRmT1_T2_T3_mT4_P12ihipStream_tbEUlT_E0_NS1_11comp_targetILNS1_3genE9ELNS1_11target_archE1100ELNS1_3gpuE3ELNS1_3repE0EEENS1_30default_config_static_selectorELNS0_4arch9wavefront6targetE1EEEvSM_,"axG",@progbits,_ZN7rocprim17ROCPRIM_400000_NS6detail17trampoline_kernelINS0_14default_configENS1_22reduce_config_selectorIbEEZNS1_11reduce_implILb1ES3_N6hipcub16HIPCUB_304000_NS22TransformInputIteratorIb7NonZeroIsEPslEEPllNS8_6detail34convert_binary_result_type_wrapperINS8_3SumESD_lEEEE10hipError_tPvRmT1_T2_T3_mT4_P12ihipStream_tbEUlT_E0_NS1_11comp_targetILNS1_3genE9ELNS1_11target_archE1100ELNS1_3gpuE3ELNS1_3repE0EEENS1_30default_config_static_selectorELNS0_4arch9wavefront6targetE1EEEvSM_,comdat
.Lfunc_end106:
	.size	_ZN7rocprim17ROCPRIM_400000_NS6detail17trampoline_kernelINS0_14default_configENS1_22reduce_config_selectorIbEEZNS1_11reduce_implILb1ES3_N6hipcub16HIPCUB_304000_NS22TransformInputIteratorIb7NonZeroIsEPslEEPllNS8_6detail34convert_binary_result_type_wrapperINS8_3SumESD_lEEEE10hipError_tPvRmT1_T2_T3_mT4_P12ihipStream_tbEUlT_E0_NS1_11comp_targetILNS1_3genE9ELNS1_11target_archE1100ELNS1_3gpuE3ELNS1_3repE0EEENS1_30default_config_static_selectorELNS0_4arch9wavefront6targetE1EEEvSM_, .Lfunc_end106-_ZN7rocprim17ROCPRIM_400000_NS6detail17trampoline_kernelINS0_14default_configENS1_22reduce_config_selectorIbEEZNS1_11reduce_implILb1ES3_N6hipcub16HIPCUB_304000_NS22TransformInputIteratorIb7NonZeroIsEPslEEPllNS8_6detail34convert_binary_result_type_wrapperINS8_3SumESD_lEEEE10hipError_tPvRmT1_T2_T3_mT4_P12ihipStream_tbEUlT_E0_NS1_11comp_targetILNS1_3genE9ELNS1_11target_archE1100ELNS1_3gpuE3ELNS1_3repE0EEENS1_30default_config_static_selectorELNS0_4arch9wavefront6targetE1EEEvSM_
                                        ; -- End function
	.set _ZN7rocprim17ROCPRIM_400000_NS6detail17trampoline_kernelINS0_14default_configENS1_22reduce_config_selectorIbEEZNS1_11reduce_implILb1ES3_N6hipcub16HIPCUB_304000_NS22TransformInputIteratorIb7NonZeroIsEPslEEPllNS8_6detail34convert_binary_result_type_wrapperINS8_3SumESD_lEEEE10hipError_tPvRmT1_T2_T3_mT4_P12ihipStream_tbEUlT_E0_NS1_11comp_targetILNS1_3genE9ELNS1_11target_archE1100ELNS1_3gpuE3ELNS1_3repE0EEENS1_30default_config_static_selectorELNS0_4arch9wavefront6targetE1EEEvSM_.num_vgpr, 0
	.set _ZN7rocprim17ROCPRIM_400000_NS6detail17trampoline_kernelINS0_14default_configENS1_22reduce_config_selectorIbEEZNS1_11reduce_implILb1ES3_N6hipcub16HIPCUB_304000_NS22TransformInputIteratorIb7NonZeroIsEPslEEPllNS8_6detail34convert_binary_result_type_wrapperINS8_3SumESD_lEEEE10hipError_tPvRmT1_T2_T3_mT4_P12ihipStream_tbEUlT_E0_NS1_11comp_targetILNS1_3genE9ELNS1_11target_archE1100ELNS1_3gpuE3ELNS1_3repE0EEENS1_30default_config_static_selectorELNS0_4arch9wavefront6targetE1EEEvSM_.num_agpr, 0
	.set _ZN7rocprim17ROCPRIM_400000_NS6detail17trampoline_kernelINS0_14default_configENS1_22reduce_config_selectorIbEEZNS1_11reduce_implILb1ES3_N6hipcub16HIPCUB_304000_NS22TransformInputIteratorIb7NonZeroIsEPslEEPllNS8_6detail34convert_binary_result_type_wrapperINS8_3SumESD_lEEEE10hipError_tPvRmT1_T2_T3_mT4_P12ihipStream_tbEUlT_E0_NS1_11comp_targetILNS1_3genE9ELNS1_11target_archE1100ELNS1_3gpuE3ELNS1_3repE0EEENS1_30default_config_static_selectorELNS0_4arch9wavefront6targetE1EEEvSM_.numbered_sgpr, 0
	.set _ZN7rocprim17ROCPRIM_400000_NS6detail17trampoline_kernelINS0_14default_configENS1_22reduce_config_selectorIbEEZNS1_11reduce_implILb1ES3_N6hipcub16HIPCUB_304000_NS22TransformInputIteratorIb7NonZeroIsEPslEEPllNS8_6detail34convert_binary_result_type_wrapperINS8_3SumESD_lEEEE10hipError_tPvRmT1_T2_T3_mT4_P12ihipStream_tbEUlT_E0_NS1_11comp_targetILNS1_3genE9ELNS1_11target_archE1100ELNS1_3gpuE3ELNS1_3repE0EEENS1_30default_config_static_selectorELNS0_4arch9wavefront6targetE1EEEvSM_.num_named_barrier, 0
	.set _ZN7rocprim17ROCPRIM_400000_NS6detail17trampoline_kernelINS0_14default_configENS1_22reduce_config_selectorIbEEZNS1_11reduce_implILb1ES3_N6hipcub16HIPCUB_304000_NS22TransformInputIteratorIb7NonZeroIsEPslEEPllNS8_6detail34convert_binary_result_type_wrapperINS8_3SumESD_lEEEE10hipError_tPvRmT1_T2_T3_mT4_P12ihipStream_tbEUlT_E0_NS1_11comp_targetILNS1_3genE9ELNS1_11target_archE1100ELNS1_3gpuE3ELNS1_3repE0EEENS1_30default_config_static_selectorELNS0_4arch9wavefront6targetE1EEEvSM_.private_seg_size, 0
	.set _ZN7rocprim17ROCPRIM_400000_NS6detail17trampoline_kernelINS0_14default_configENS1_22reduce_config_selectorIbEEZNS1_11reduce_implILb1ES3_N6hipcub16HIPCUB_304000_NS22TransformInputIteratorIb7NonZeroIsEPslEEPllNS8_6detail34convert_binary_result_type_wrapperINS8_3SumESD_lEEEE10hipError_tPvRmT1_T2_T3_mT4_P12ihipStream_tbEUlT_E0_NS1_11comp_targetILNS1_3genE9ELNS1_11target_archE1100ELNS1_3gpuE3ELNS1_3repE0EEENS1_30default_config_static_selectorELNS0_4arch9wavefront6targetE1EEEvSM_.uses_vcc, 0
	.set _ZN7rocprim17ROCPRIM_400000_NS6detail17trampoline_kernelINS0_14default_configENS1_22reduce_config_selectorIbEEZNS1_11reduce_implILb1ES3_N6hipcub16HIPCUB_304000_NS22TransformInputIteratorIb7NonZeroIsEPslEEPllNS8_6detail34convert_binary_result_type_wrapperINS8_3SumESD_lEEEE10hipError_tPvRmT1_T2_T3_mT4_P12ihipStream_tbEUlT_E0_NS1_11comp_targetILNS1_3genE9ELNS1_11target_archE1100ELNS1_3gpuE3ELNS1_3repE0EEENS1_30default_config_static_selectorELNS0_4arch9wavefront6targetE1EEEvSM_.uses_flat_scratch, 0
	.set _ZN7rocprim17ROCPRIM_400000_NS6detail17trampoline_kernelINS0_14default_configENS1_22reduce_config_selectorIbEEZNS1_11reduce_implILb1ES3_N6hipcub16HIPCUB_304000_NS22TransformInputIteratorIb7NonZeroIsEPslEEPllNS8_6detail34convert_binary_result_type_wrapperINS8_3SumESD_lEEEE10hipError_tPvRmT1_T2_T3_mT4_P12ihipStream_tbEUlT_E0_NS1_11comp_targetILNS1_3genE9ELNS1_11target_archE1100ELNS1_3gpuE3ELNS1_3repE0EEENS1_30default_config_static_selectorELNS0_4arch9wavefront6targetE1EEEvSM_.has_dyn_sized_stack, 0
	.set _ZN7rocprim17ROCPRIM_400000_NS6detail17trampoline_kernelINS0_14default_configENS1_22reduce_config_selectorIbEEZNS1_11reduce_implILb1ES3_N6hipcub16HIPCUB_304000_NS22TransformInputIteratorIb7NonZeroIsEPslEEPllNS8_6detail34convert_binary_result_type_wrapperINS8_3SumESD_lEEEE10hipError_tPvRmT1_T2_T3_mT4_P12ihipStream_tbEUlT_E0_NS1_11comp_targetILNS1_3genE9ELNS1_11target_archE1100ELNS1_3gpuE3ELNS1_3repE0EEENS1_30default_config_static_selectorELNS0_4arch9wavefront6targetE1EEEvSM_.has_recursion, 0
	.set _ZN7rocprim17ROCPRIM_400000_NS6detail17trampoline_kernelINS0_14default_configENS1_22reduce_config_selectorIbEEZNS1_11reduce_implILb1ES3_N6hipcub16HIPCUB_304000_NS22TransformInputIteratorIb7NonZeroIsEPslEEPllNS8_6detail34convert_binary_result_type_wrapperINS8_3SumESD_lEEEE10hipError_tPvRmT1_T2_T3_mT4_P12ihipStream_tbEUlT_E0_NS1_11comp_targetILNS1_3genE9ELNS1_11target_archE1100ELNS1_3gpuE3ELNS1_3repE0EEENS1_30default_config_static_selectorELNS0_4arch9wavefront6targetE1EEEvSM_.has_indirect_call, 0
	.section	.AMDGPU.csdata,"",@progbits
; Kernel info:
; codeLenInByte = 0
; TotalNumSgprs: 6
; NumVgprs: 0
; NumAgprs: 0
; TotalNumVgprs: 0
; ScratchSize: 0
; MemoryBound: 0
; FloatMode: 240
; IeeeMode: 1
; LDSByteSize: 0 bytes/workgroup (compile time only)
; SGPRBlocks: 0
; VGPRBlocks: 0
; NumSGPRsForWavesPerEU: 6
; NumVGPRsForWavesPerEU: 1
; AccumOffset: 4
; Occupancy: 8
; WaveLimiterHint : 0
; COMPUTE_PGM_RSRC2:SCRATCH_EN: 0
; COMPUTE_PGM_RSRC2:USER_SGPR: 2
; COMPUTE_PGM_RSRC2:TRAP_HANDLER: 0
; COMPUTE_PGM_RSRC2:TGID_X_EN: 1
; COMPUTE_PGM_RSRC2:TGID_Y_EN: 0
; COMPUTE_PGM_RSRC2:TGID_Z_EN: 0
; COMPUTE_PGM_RSRC2:TIDIG_COMP_CNT: 0
; COMPUTE_PGM_RSRC3_GFX90A:ACCUM_OFFSET: 0
; COMPUTE_PGM_RSRC3_GFX90A:TG_SPLIT: 0
	.section	.text._ZN7rocprim17ROCPRIM_400000_NS6detail17trampoline_kernelINS0_14default_configENS1_22reduce_config_selectorIbEEZNS1_11reduce_implILb1ES3_N6hipcub16HIPCUB_304000_NS22TransformInputIteratorIb7NonZeroIsEPslEEPllNS8_6detail34convert_binary_result_type_wrapperINS8_3SumESD_lEEEE10hipError_tPvRmT1_T2_T3_mT4_P12ihipStream_tbEUlT_E0_NS1_11comp_targetILNS1_3genE8ELNS1_11target_archE1030ELNS1_3gpuE2ELNS1_3repE0EEENS1_30default_config_static_selectorELNS0_4arch9wavefront6targetE1EEEvSM_,"axG",@progbits,_ZN7rocprim17ROCPRIM_400000_NS6detail17trampoline_kernelINS0_14default_configENS1_22reduce_config_selectorIbEEZNS1_11reduce_implILb1ES3_N6hipcub16HIPCUB_304000_NS22TransformInputIteratorIb7NonZeroIsEPslEEPllNS8_6detail34convert_binary_result_type_wrapperINS8_3SumESD_lEEEE10hipError_tPvRmT1_T2_T3_mT4_P12ihipStream_tbEUlT_E0_NS1_11comp_targetILNS1_3genE8ELNS1_11target_archE1030ELNS1_3gpuE2ELNS1_3repE0EEENS1_30default_config_static_selectorELNS0_4arch9wavefront6targetE1EEEvSM_,comdat
	.protected	_ZN7rocprim17ROCPRIM_400000_NS6detail17trampoline_kernelINS0_14default_configENS1_22reduce_config_selectorIbEEZNS1_11reduce_implILb1ES3_N6hipcub16HIPCUB_304000_NS22TransformInputIteratorIb7NonZeroIsEPslEEPllNS8_6detail34convert_binary_result_type_wrapperINS8_3SumESD_lEEEE10hipError_tPvRmT1_T2_T3_mT4_P12ihipStream_tbEUlT_E0_NS1_11comp_targetILNS1_3genE8ELNS1_11target_archE1030ELNS1_3gpuE2ELNS1_3repE0EEENS1_30default_config_static_selectorELNS0_4arch9wavefront6targetE1EEEvSM_ ; -- Begin function _ZN7rocprim17ROCPRIM_400000_NS6detail17trampoline_kernelINS0_14default_configENS1_22reduce_config_selectorIbEEZNS1_11reduce_implILb1ES3_N6hipcub16HIPCUB_304000_NS22TransformInputIteratorIb7NonZeroIsEPslEEPllNS8_6detail34convert_binary_result_type_wrapperINS8_3SumESD_lEEEE10hipError_tPvRmT1_T2_T3_mT4_P12ihipStream_tbEUlT_E0_NS1_11comp_targetILNS1_3genE8ELNS1_11target_archE1030ELNS1_3gpuE2ELNS1_3repE0EEENS1_30default_config_static_selectorELNS0_4arch9wavefront6targetE1EEEvSM_
	.globl	_ZN7rocprim17ROCPRIM_400000_NS6detail17trampoline_kernelINS0_14default_configENS1_22reduce_config_selectorIbEEZNS1_11reduce_implILb1ES3_N6hipcub16HIPCUB_304000_NS22TransformInputIteratorIb7NonZeroIsEPslEEPllNS8_6detail34convert_binary_result_type_wrapperINS8_3SumESD_lEEEE10hipError_tPvRmT1_T2_T3_mT4_P12ihipStream_tbEUlT_E0_NS1_11comp_targetILNS1_3genE8ELNS1_11target_archE1030ELNS1_3gpuE2ELNS1_3repE0EEENS1_30default_config_static_selectorELNS0_4arch9wavefront6targetE1EEEvSM_
	.p2align	8
	.type	_ZN7rocprim17ROCPRIM_400000_NS6detail17trampoline_kernelINS0_14default_configENS1_22reduce_config_selectorIbEEZNS1_11reduce_implILb1ES3_N6hipcub16HIPCUB_304000_NS22TransformInputIteratorIb7NonZeroIsEPslEEPllNS8_6detail34convert_binary_result_type_wrapperINS8_3SumESD_lEEEE10hipError_tPvRmT1_T2_T3_mT4_P12ihipStream_tbEUlT_E0_NS1_11comp_targetILNS1_3genE8ELNS1_11target_archE1030ELNS1_3gpuE2ELNS1_3repE0EEENS1_30default_config_static_selectorELNS0_4arch9wavefront6targetE1EEEvSM_,@function
_ZN7rocprim17ROCPRIM_400000_NS6detail17trampoline_kernelINS0_14default_configENS1_22reduce_config_selectorIbEEZNS1_11reduce_implILb1ES3_N6hipcub16HIPCUB_304000_NS22TransformInputIteratorIb7NonZeroIsEPslEEPllNS8_6detail34convert_binary_result_type_wrapperINS8_3SumESD_lEEEE10hipError_tPvRmT1_T2_T3_mT4_P12ihipStream_tbEUlT_E0_NS1_11comp_targetILNS1_3genE8ELNS1_11target_archE1030ELNS1_3gpuE2ELNS1_3repE0EEENS1_30default_config_static_selectorELNS0_4arch9wavefront6targetE1EEEvSM_: ; @_ZN7rocprim17ROCPRIM_400000_NS6detail17trampoline_kernelINS0_14default_configENS1_22reduce_config_selectorIbEEZNS1_11reduce_implILb1ES3_N6hipcub16HIPCUB_304000_NS22TransformInputIteratorIb7NonZeroIsEPslEEPllNS8_6detail34convert_binary_result_type_wrapperINS8_3SumESD_lEEEE10hipError_tPvRmT1_T2_T3_mT4_P12ihipStream_tbEUlT_E0_NS1_11comp_targetILNS1_3genE8ELNS1_11target_archE1030ELNS1_3gpuE2ELNS1_3repE0EEENS1_30default_config_static_selectorELNS0_4arch9wavefront6targetE1EEEvSM_
; %bb.0:
	.section	.rodata,"a",@progbits
	.p2align	6, 0x0
	.amdhsa_kernel _ZN7rocprim17ROCPRIM_400000_NS6detail17trampoline_kernelINS0_14default_configENS1_22reduce_config_selectorIbEEZNS1_11reduce_implILb1ES3_N6hipcub16HIPCUB_304000_NS22TransformInputIteratorIb7NonZeroIsEPslEEPllNS8_6detail34convert_binary_result_type_wrapperINS8_3SumESD_lEEEE10hipError_tPvRmT1_T2_T3_mT4_P12ihipStream_tbEUlT_E0_NS1_11comp_targetILNS1_3genE8ELNS1_11target_archE1030ELNS1_3gpuE2ELNS1_3repE0EEENS1_30default_config_static_selectorELNS0_4arch9wavefront6targetE1EEEvSM_
		.amdhsa_group_segment_fixed_size 0
		.amdhsa_private_segment_fixed_size 0
		.amdhsa_kernarg_size 72
		.amdhsa_user_sgpr_count 2
		.amdhsa_user_sgpr_dispatch_ptr 0
		.amdhsa_user_sgpr_queue_ptr 0
		.amdhsa_user_sgpr_kernarg_segment_ptr 1
		.amdhsa_user_sgpr_dispatch_id 0
		.amdhsa_user_sgpr_kernarg_preload_length 0
		.amdhsa_user_sgpr_kernarg_preload_offset 0
		.amdhsa_user_sgpr_private_segment_size 0
		.amdhsa_uses_dynamic_stack 0
		.amdhsa_enable_private_segment 0
		.amdhsa_system_sgpr_workgroup_id_x 1
		.amdhsa_system_sgpr_workgroup_id_y 0
		.amdhsa_system_sgpr_workgroup_id_z 0
		.amdhsa_system_sgpr_workgroup_info 0
		.amdhsa_system_vgpr_workitem_id 0
		.amdhsa_next_free_vgpr 1
		.amdhsa_next_free_sgpr 0
		.amdhsa_accum_offset 4
		.amdhsa_reserve_vcc 0
		.amdhsa_float_round_mode_32 0
		.amdhsa_float_round_mode_16_64 0
		.amdhsa_float_denorm_mode_32 3
		.amdhsa_float_denorm_mode_16_64 3
		.amdhsa_dx10_clamp 1
		.amdhsa_ieee_mode 1
		.amdhsa_fp16_overflow 0
		.amdhsa_tg_split 0
		.amdhsa_exception_fp_ieee_invalid_op 0
		.amdhsa_exception_fp_denorm_src 0
		.amdhsa_exception_fp_ieee_div_zero 0
		.amdhsa_exception_fp_ieee_overflow 0
		.amdhsa_exception_fp_ieee_underflow 0
		.amdhsa_exception_fp_ieee_inexact 0
		.amdhsa_exception_int_div_zero 0
	.end_amdhsa_kernel
	.section	.text._ZN7rocprim17ROCPRIM_400000_NS6detail17trampoline_kernelINS0_14default_configENS1_22reduce_config_selectorIbEEZNS1_11reduce_implILb1ES3_N6hipcub16HIPCUB_304000_NS22TransformInputIteratorIb7NonZeroIsEPslEEPllNS8_6detail34convert_binary_result_type_wrapperINS8_3SumESD_lEEEE10hipError_tPvRmT1_T2_T3_mT4_P12ihipStream_tbEUlT_E0_NS1_11comp_targetILNS1_3genE8ELNS1_11target_archE1030ELNS1_3gpuE2ELNS1_3repE0EEENS1_30default_config_static_selectorELNS0_4arch9wavefront6targetE1EEEvSM_,"axG",@progbits,_ZN7rocprim17ROCPRIM_400000_NS6detail17trampoline_kernelINS0_14default_configENS1_22reduce_config_selectorIbEEZNS1_11reduce_implILb1ES3_N6hipcub16HIPCUB_304000_NS22TransformInputIteratorIb7NonZeroIsEPslEEPllNS8_6detail34convert_binary_result_type_wrapperINS8_3SumESD_lEEEE10hipError_tPvRmT1_T2_T3_mT4_P12ihipStream_tbEUlT_E0_NS1_11comp_targetILNS1_3genE8ELNS1_11target_archE1030ELNS1_3gpuE2ELNS1_3repE0EEENS1_30default_config_static_selectorELNS0_4arch9wavefront6targetE1EEEvSM_,comdat
.Lfunc_end107:
	.size	_ZN7rocprim17ROCPRIM_400000_NS6detail17trampoline_kernelINS0_14default_configENS1_22reduce_config_selectorIbEEZNS1_11reduce_implILb1ES3_N6hipcub16HIPCUB_304000_NS22TransformInputIteratorIb7NonZeroIsEPslEEPllNS8_6detail34convert_binary_result_type_wrapperINS8_3SumESD_lEEEE10hipError_tPvRmT1_T2_T3_mT4_P12ihipStream_tbEUlT_E0_NS1_11comp_targetILNS1_3genE8ELNS1_11target_archE1030ELNS1_3gpuE2ELNS1_3repE0EEENS1_30default_config_static_selectorELNS0_4arch9wavefront6targetE1EEEvSM_, .Lfunc_end107-_ZN7rocprim17ROCPRIM_400000_NS6detail17trampoline_kernelINS0_14default_configENS1_22reduce_config_selectorIbEEZNS1_11reduce_implILb1ES3_N6hipcub16HIPCUB_304000_NS22TransformInputIteratorIb7NonZeroIsEPslEEPllNS8_6detail34convert_binary_result_type_wrapperINS8_3SumESD_lEEEE10hipError_tPvRmT1_T2_T3_mT4_P12ihipStream_tbEUlT_E0_NS1_11comp_targetILNS1_3genE8ELNS1_11target_archE1030ELNS1_3gpuE2ELNS1_3repE0EEENS1_30default_config_static_selectorELNS0_4arch9wavefront6targetE1EEEvSM_
                                        ; -- End function
	.set _ZN7rocprim17ROCPRIM_400000_NS6detail17trampoline_kernelINS0_14default_configENS1_22reduce_config_selectorIbEEZNS1_11reduce_implILb1ES3_N6hipcub16HIPCUB_304000_NS22TransformInputIteratorIb7NonZeroIsEPslEEPllNS8_6detail34convert_binary_result_type_wrapperINS8_3SumESD_lEEEE10hipError_tPvRmT1_T2_T3_mT4_P12ihipStream_tbEUlT_E0_NS1_11comp_targetILNS1_3genE8ELNS1_11target_archE1030ELNS1_3gpuE2ELNS1_3repE0EEENS1_30default_config_static_selectorELNS0_4arch9wavefront6targetE1EEEvSM_.num_vgpr, 0
	.set _ZN7rocprim17ROCPRIM_400000_NS6detail17trampoline_kernelINS0_14default_configENS1_22reduce_config_selectorIbEEZNS1_11reduce_implILb1ES3_N6hipcub16HIPCUB_304000_NS22TransformInputIteratorIb7NonZeroIsEPslEEPllNS8_6detail34convert_binary_result_type_wrapperINS8_3SumESD_lEEEE10hipError_tPvRmT1_T2_T3_mT4_P12ihipStream_tbEUlT_E0_NS1_11comp_targetILNS1_3genE8ELNS1_11target_archE1030ELNS1_3gpuE2ELNS1_3repE0EEENS1_30default_config_static_selectorELNS0_4arch9wavefront6targetE1EEEvSM_.num_agpr, 0
	.set _ZN7rocprim17ROCPRIM_400000_NS6detail17trampoline_kernelINS0_14default_configENS1_22reduce_config_selectorIbEEZNS1_11reduce_implILb1ES3_N6hipcub16HIPCUB_304000_NS22TransformInputIteratorIb7NonZeroIsEPslEEPllNS8_6detail34convert_binary_result_type_wrapperINS8_3SumESD_lEEEE10hipError_tPvRmT1_T2_T3_mT4_P12ihipStream_tbEUlT_E0_NS1_11comp_targetILNS1_3genE8ELNS1_11target_archE1030ELNS1_3gpuE2ELNS1_3repE0EEENS1_30default_config_static_selectorELNS0_4arch9wavefront6targetE1EEEvSM_.numbered_sgpr, 0
	.set _ZN7rocprim17ROCPRIM_400000_NS6detail17trampoline_kernelINS0_14default_configENS1_22reduce_config_selectorIbEEZNS1_11reduce_implILb1ES3_N6hipcub16HIPCUB_304000_NS22TransformInputIteratorIb7NonZeroIsEPslEEPllNS8_6detail34convert_binary_result_type_wrapperINS8_3SumESD_lEEEE10hipError_tPvRmT1_T2_T3_mT4_P12ihipStream_tbEUlT_E0_NS1_11comp_targetILNS1_3genE8ELNS1_11target_archE1030ELNS1_3gpuE2ELNS1_3repE0EEENS1_30default_config_static_selectorELNS0_4arch9wavefront6targetE1EEEvSM_.num_named_barrier, 0
	.set _ZN7rocprim17ROCPRIM_400000_NS6detail17trampoline_kernelINS0_14default_configENS1_22reduce_config_selectorIbEEZNS1_11reduce_implILb1ES3_N6hipcub16HIPCUB_304000_NS22TransformInputIteratorIb7NonZeroIsEPslEEPllNS8_6detail34convert_binary_result_type_wrapperINS8_3SumESD_lEEEE10hipError_tPvRmT1_T2_T3_mT4_P12ihipStream_tbEUlT_E0_NS1_11comp_targetILNS1_3genE8ELNS1_11target_archE1030ELNS1_3gpuE2ELNS1_3repE0EEENS1_30default_config_static_selectorELNS0_4arch9wavefront6targetE1EEEvSM_.private_seg_size, 0
	.set _ZN7rocprim17ROCPRIM_400000_NS6detail17trampoline_kernelINS0_14default_configENS1_22reduce_config_selectorIbEEZNS1_11reduce_implILb1ES3_N6hipcub16HIPCUB_304000_NS22TransformInputIteratorIb7NonZeroIsEPslEEPllNS8_6detail34convert_binary_result_type_wrapperINS8_3SumESD_lEEEE10hipError_tPvRmT1_T2_T3_mT4_P12ihipStream_tbEUlT_E0_NS1_11comp_targetILNS1_3genE8ELNS1_11target_archE1030ELNS1_3gpuE2ELNS1_3repE0EEENS1_30default_config_static_selectorELNS0_4arch9wavefront6targetE1EEEvSM_.uses_vcc, 0
	.set _ZN7rocprim17ROCPRIM_400000_NS6detail17trampoline_kernelINS0_14default_configENS1_22reduce_config_selectorIbEEZNS1_11reduce_implILb1ES3_N6hipcub16HIPCUB_304000_NS22TransformInputIteratorIb7NonZeroIsEPslEEPllNS8_6detail34convert_binary_result_type_wrapperINS8_3SumESD_lEEEE10hipError_tPvRmT1_T2_T3_mT4_P12ihipStream_tbEUlT_E0_NS1_11comp_targetILNS1_3genE8ELNS1_11target_archE1030ELNS1_3gpuE2ELNS1_3repE0EEENS1_30default_config_static_selectorELNS0_4arch9wavefront6targetE1EEEvSM_.uses_flat_scratch, 0
	.set _ZN7rocprim17ROCPRIM_400000_NS6detail17trampoline_kernelINS0_14default_configENS1_22reduce_config_selectorIbEEZNS1_11reduce_implILb1ES3_N6hipcub16HIPCUB_304000_NS22TransformInputIteratorIb7NonZeroIsEPslEEPllNS8_6detail34convert_binary_result_type_wrapperINS8_3SumESD_lEEEE10hipError_tPvRmT1_T2_T3_mT4_P12ihipStream_tbEUlT_E0_NS1_11comp_targetILNS1_3genE8ELNS1_11target_archE1030ELNS1_3gpuE2ELNS1_3repE0EEENS1_30default_config_static_selectorELNS0_4arch9wavefront6targetE1EEEvSM_.has_dyn_sized_stack, 0
	.set _ZN7rocprim17ROCPRIM_400000_NS6detail17trampoline_kernelINS0_14default_configENS1_22reduce_config_selectorIbEEZNS1_11reduce_implILb1ES3_N6hipcub16HIPCUB_304000_NS22TransformInputIteratorIb7NonZeroIsEPslEEPllNS8_6detail34convert_binary_result_type_wrapperINS8_3SumESD_lEEEE10hipError_tPvRmT1_T2_T3_mT4_P12ihipStream_tbEUlT_E0_NS1_11comp_targetILNS1_3genE8ELNS1_11target_archE1030ELNS1_3gpuE2ELNS1_3repE0EEENS1_30default_config_static_selectorELNS0_4arch9wavefront6targetE1EEEvSM_.has_recursion, 0
	.set _ZN7rocprim17ROCPRIM_400000_NS6detail17trampoline_kernelINS0_14default_configENS1_22reduce_config_selectorIbEEZNS1_11reduce_implILb1ES3_N6hipcub16HIPCUB_304000_NS22TransformInputIteratorIb7NonZeroIsEPslEEPllNS8_6detail34convert_binary_result_type_wrapperINS8_3SumESD_lEEEE10hipError_tPvRmT1_T2_T3_mT4_P12ihipStream_tbEUlT_E0_NS1_11comp_targetILNS1_3genE8ELNS1_11target_archE1030ELNS1_3gpuE2ELNS1_3repE0EEENS1_30default_config_static_selectorELNS0_4arch9wavefront6targetE1EEEvSM_.has_indirect_call, 0
	.section	.AMDGPU.csdata,"",@progbits
; Kernel info:
; codeLenInByte = 0
; TotalNumSgprs: 6
; NumVgprs: 0
; NumAgprs: 0
; TotalNumVgprs: 0
; ScratchSize: 0
; MemoryBound: 0
; FloatMode: 240
; IeeeMode: 1
; LDSByteSize: 0 bytes/workgroup (compile time only)
; SGPRBlocks: 0
; VGPRBlocks: 0
; NumSGPRsForWavesPerEU: 6
; NumVGPRsForWavesPerEU: 1
; AccumOffset: 4
; Occupancy: 8
; WaveLimiterHint : 0
; COMPUTE_PGM_RSRC2:SCRATCH_EN: 0
; COMPUTE_PGM_RSRC2:USER_SGPR: 2
; COMPUTE_PGM_RSRC2:TRAP_HANDLER: 0
; COMPUTE_PGM_RSRC2:TGID_X_EN: 1
; COMPUTE_PGM_RSRC2:TGID_Y_EN: 0
; COMPUTE_PGM_RSRC2:TGID_Z_EN: 0
; COMPUTE_PGM_RSRC2:TIDIG_COMP_CNT: 0
; COMPUTE_PGM_RSRC3_GFX90A:ACCUM_OFFSET: 0
; COMPUTE_PGM_RSRC3_GFX90A:TG_SPLIT: 0
	.section	.text._ZN7rocprim17ROCPRIM_400000_NS6detail17trampoline_kernelINS0_14default_configENS1_22reduce_config_selectorIbEEZNS1_11reduce_implILb1ES3_N6hipcub16HIPCUB_304000_NS22TransformInputIteratorIb7NonZeroIsEPslEEPllNS8_6detail34convert_binary_result_type_wrapperINS8_3SumESD_lEEEE10hipError_tPvRmT1_T2_T3_mT4_P12ihipStream_tbEUlT_E1_NS1_11comp_targetILNS1_3genE0ELNS1_11target_archE4294967295ELNS1_3gpuE0ELNS1_3repE0EEENS1_30default_config_static_selectorELNS0_4arch9wavefront6targetE1EEEvSM_,"axG",@progbits,_ZN7rocprim17ROCPRIM_400000_NS6detail17trampoline_kernelINS0_14default_configENS1_22reduce_config_selectorIbEEZNS1_11reduce_implILb1ES3_N6hipcub16HIPCUB_304000_NS22TransformInputIteratorIb7NonZeroIsEPslEEPllNS8_6detail34convert_binary_result_type_wrapperINS8_3SumESD_lEEEE10hipError_tPvRmT1_T2_T3_mT4_P12ihipStream_tbEUlT_E1_NS1_11comp_targetILNS1_3genE0ELNS1_11target_archE4294967295ELNS1_3gpuE0ELNS1_3repE0EEENS1_30default_config_static_selectorELNS0_4arch9wavefront6targetE1EEEvSM_,comdat
	.protected	_ZN7rocprim17ROCPRIM_400000_NS6detail17trampoline_kernelINS0_14default_configENS1_22reduce_config_selectorIbEEZNS1_11reduce_implILb1ES3_N6hipcub16HIPCUB_304000_NS22TransformInputIteratorIb7NonZeroIsEPslEEPllNS8_6detail34convert_binary_result_type_wrapperINS8_3SumESD_lEEEE10hipError_tPvRmT1_T2_T3_mT4_P12ihipStream_tbEUlT_E1_NS1_11comp_targetILNS1_3genE0ELNS1_11target_archE4294967295ELNS1_3gpuE0ELNS1_3repE0EEENS1_30default_config_static_selectorELNS0_4arch9wavefront6targetE1EEEvSM_ ; -- Begin function _ZN7rocprim17ROCPRIM_400000_NS6detail17trampoline_kernelINS0_14default_configENS1_22reduce_config_selectorIbEEZNS1_11reduce_implILb1ES3_N6hipcub16HIPCUB_304000_NS22TransformInputIteratorIb7NonZeroIsEPslEEPllNS8_6detail34convert_binary_result_type_wrapperINS8_3SumESD_lEEEE10hipError_tPvRmT1_T2_T3_mT4_P12ihipStream_tbEUlT_E1_NS1_11comp_targetILNS1_3genE0ELNS1_11target_archE4294967295ELNS1_3gpuE0ELNS1_3repE0EEENS1_30default_config_static_selectorELNS0_4arch9wavefront6targetE1EEEvSM_
	.globl	_ZN7rocprim17ROCPRIM_400000_NS6detail17trampoline_kernelINS0_14default_configENS1_22reduce_config_selectorIbEEZNS1_11reduce_implILb1ES3_N6hipcub16HIPCUB_304000_NS22TransformInputIteratorIb7NonZeroIsEPslEEPllNS8_6detail34convert_binary_result_type_wrapperINS8_3SumESD_lEEEE10hipError_tPvRmT1_T2_T3_mT4_P12ihipStream_tbEUlT_E1_NS1_11comp_targetILNS1_3genE0ELNS1_11target_archE4294967295ELNS1_3gpuE0ELNS1_3repE0EEENS1_30default_config_static_selectorELNS0_4arch9wavefront6targetE1EEEvSM_
	.p2align	8
	.type	_ZN7rocprim17ROCPRIM_400000_NS6detail17trampoline_kernelINS0_14default_configENS1_22reduce_config_selectorIbEEZNS1_11reduce_implILb1ES3_N6hipcub16HIPCUB_304000_NS22TransformInputIteratorIb7NonZeroIsEPslEEPllNS8_6detail34convert_binary_result_type_wrapperINS8_3SumESD_lEEEE10hipError_tPvRmT1_T2_T3_mT4_P12ihipStream_tbEUlT_E1_NS1_11comp_targetILNS1_3genE0ELNS1_11target_archE4294967295ELNS1_3gpuE0ELNS1_3repE0EEENS1_30default_config_static_selectorELNS0_4arch9wavefront6targetE1EEEvSM_,@function
_ZN7rocprim17ROCPRIM_400000_NS6detail17trampoline_kernelINS0_14default_configENS1_22reduce_config_selectorIbEEZNS1_11reduce_implILb1ES3_N6hipcub16HIPCUB_304000_NS22TransformInputIteratorIb7NonZeroIsEPslEEPllNS8_6detail34convert_binary_result_type_wrapperINS8_3SumESD_lEEEE10hipError_tPvRmT1_T2_T3_mT4_P12ihipStream_tbEUlT_E1_NS1_11comp_targetILNS1_3genE0ELNS1_11target_archE4294967295ELNS1_3gpuE0ELNS1_3repE0EEENS1_30default_config_static_selectorELNS0_4arch9wavefront6targetE1EEEvSM_: ; @_ZN7rocprim17ROCPRIM_400000_NS6detail17trampoline_kernelINS0_14default_configENS1_22reduce_config_selectorIbEEZNS1_11reduce_implILb1ES3_N6hipcub16HIPCUB_304000_NS22TransformInputIteratorIb7NonZeroIsEPslEEPllNS8_6detail34convert_binary_result_type_wrapperINS8_3SumESD_lEEEE10hipError_tPvRmT1_T2_T3_mT4_P12ihipStream_tbEUlT_E1_NS1_11comp_targetILNS1_3genE0ELNS1_11target_archE4294967295ELNS1_3gpuE0ELNS1_3repE0EEENS1_30default_config_static_selectorELNS0_4arch9wavefront6targetE1EEEvSM_
; %bb.0:
	s_load_dword s33, s[0:1], 0x4
	s_load_dwordx2 s[40:41], s[0:1], 0x8
	s_load_dwordx4 s[36:39], s[0:1], 0x18
	s_waitcnt lgkmcnt(0)
	s_cmp_lt_i32 s33, 16
	s_cbranch_scc1 .LBB108_10
; %bb.1:
	s_cmp_gt_i32 s33, 63
	s_cbranch_scc0 .LBB108_11
; %bb.2:
	s_cmpk_gt_i32 s33, 0x7f
	s_cbranch_scc0 .LBB108_12
; %bb.3:
	s_mov_b64 s[6:7], 0
	s_cmpk_eq_i32 s33, 0x80
	s_mov_b64 s[4:5], 0
                                        ; implicit-def: $vgpr2_vgpr3
                                        ; implicit-def: $vgpr4_vgpr5
	s_cbranch_scc0 .LBB108_13
; %bb.4:
	s_mov_b32 s3, 0
	s_lshl_b32 s10, s2, 15
	s_mov_b32 s11, s3
	s_lshr_b64 s[4:5], s[36:37], 15
	s_lshl_b64 s[8:9], s[10:11], 1
	s_add_u32 s8, s40, s8
	s_addc_u32 s9, s41, s9
	s_cmp_lg_u64 s[4:5], s[2:3]
	s_cbranch_scc0 .LBB108_21
; %bb.5:
	v_lshlrev_b32_e32 v2, 1, v0
	v_mov_b32_e32 v3, 0
	v_lshl_add_u64 v[18:19], s[8:9], 0, v[2:3]
	global_load_ushort v1, v2, s[8:9]
	global_load_ushort v10, v2, s[8:9] offset:512
	global_load_ushort v4, v2, s[8:9] offset:1024
	;; [unrolled: 1-line block ×6, first 2 shown]
	s_movk_i32 s5, 0x2000
	v_add_co_u32_e32 v20, vcc, s5, v18
	s_movk_i32 s4, 0x1000
	s_nop 0
	v_addc_co_u32_e32 v21, vcc, 0, v19, vcc
	global_load_ushort v16, v2, s[8:9] offset:3584
	global_load_ushort v22, v[20:21], off offset:-4096
	v_add_co_u32_e32 v34, vcc, s4, v18
	s_movk_i32 s4, 0x3000
	s_nop 0
	v_addc_co_u32_e32 v35, vcc, 0, v19, vcc
	global_load_ushort v2, v[34:35], off offset:512
	global_load_ushort v23, v[34:35], off offset:1024
	;; [unrolled: 1-line block ×7, first 2 shown]
	global_load_ushort v32, v[20:21], off
	global_load_ushort v36, v[20:21], off offset:1024
	global_load_ushort v40, v[20:21], off offset:1536
	;; [unrolled: 1-line block ×3, first 2 shown]
	v_add_co_u32_e32 v42, vcc, s4, v18
	global_load_ushort v34, v[20:21], off offset:512
	s_movk_i32 s5, 0x4000
	v_addc_co_u32_e32 v43, vcc, 0, v19, vcc
	global_load_ushort v47, v[20:21], off offset:2560
	global_load_ushort v48, v[20:21], off offset:3072
	v_add_co_u32_e32 v44, vcc, s5, v18
	global_load_ushort v49, v[20:21], off offset:3584
	s_mov_b32 s11, 0xf000
	v_addc_co_u32_e32 v45, vcc, 0, v19, vcc
	v_add_co_u32_e32 v38, vcc, s11, v18
	s_movk_i32 s11, 0x5000
	s_nop 0
	v_addc_co_u32_e32 v39, vcc, 0, v19, vcc
	global_load_ushort v50, v[44:45], off offset:-4096
	global_load_ushort v52, v[42:43], off offset:512
	global_load_ushort v54, v[42:43], off offset:1024
	;; [unrolled: 1-line block ×8, first 2 shown]
	v_mov_b32_e32 v5, s3
	v_mov_b32_e32 v7, s3
	;; [unrolled: 1-line block ×35, first 2 shown]
	s_waitcnt vmcnt(31)
	v_cmp_ne_u16_e32 vcc, 0, v10
	v_mov_b32_e32 v101, s3
	s_waitcnt vmcnt(29)
	v_cmp_ne_u16_e64 s[4:5], 0, v6
	v_cndmask_b32_e64 v248, 0, 1, vcc
	v_cmp_ne_u16_e32 vcc, 0, v1
	v_mov_b32_e32 v103, s3
	global_load_ushort v60, v[42:43], off offset:2560
	global_load_ushort v64, v[42:43], off offset:3072
	;; [unrolled: 1-line block ×3, first 2 shown]
	global_load_ushort v66, v[44:45], off
	global_load_ushort v68, v[44:45], off offset:512
	global_load_ushort v70, v[44:45], off offset:1024
	;; [unrolled: 1-line block ×3, first 2 shown]
	v_cndmask_b32_e64 v1, 0, 1, vcc
	v_cmp_ne_u16_e32 vcc, 0, v4
	v_cndmask_b32_e64 v4, 0, 1, s[4:5]
	s_waitcnt vmcnt(35)
	v_cmp_ne_u16_e64 s[4:5], 0, v8
	v_mov_b32_e32 v45, s3
	v_mov_b32_e32 v105, s3
	v_cndmask_b32_e64 v6, 0, 1, s[4:5]
	s_waitcnt vmcnt(34)
	v_cmp_ne_u16_e64 s[4:5], 0, v12
	v_mov_b32_e32 v111, s3
	v_mov_b32_e32 v113, s3
	;; [unrolled: 5-line block ×5, first 2 shown]
	v_cndmask_b32_e64 v14, 0, 1, s[4:5]
	s_waitcnt vmcnt(30)
	v_cmp_ne_u16_e64 s[4:5], 0, v2
	global_load_ushort v2, v[42:43], off offset:2048
	v_mov_b32_e32 v43, s3
	v_cndmask_b32_e64 v16, 0, 1, s[4:5]
	s_waitcnt vmcnt(30)
	v_cmp_ne_u16_e64 s[4:5], 0, v23
	v_mov_b32_e32 v23, s3
	v_mov_b32_e32 v131, s3
	v_cndmask_b32_e64 v20, 0, 1, s[4:5]
	s_waitcnt vmcnt(29)
	v_cmp_ne_u16_e64 s[4:5], 0, v24
	v_mov_b32_e32 v133, s3
	;; [unrolled: 5-line block ×8, first 2 shown]
	v_mov_b32_e32 v161, s3
	v_cndmask_b32_e64 v34, 0, 1, s[4:5]
	v_cmp_ne_u16_e64 s[4:5], 0, v36
	v_mov_b32_e32 v169, s3
	v_mov_b32_e32 v171, s3
	v_cndmask_b32_e64 v36, 0, 1, s[4:5]
	v_cmp_ne_u16_e64 s[4:5], 0, v40
	v_mov_b32_e32 v173, s3
	v_mov_b32_e32 v175, s3
	v_cndmask_b32_e64 v40, 0, 1, s[4:5]
	v_cmp_ne_u16_e64 s[4:5], 0, v46
	v_mov_b32_e32 v181, s3
	v_mov_b32_e32 v183, s3
	v_cndmask_b32_e64 v42, 0, 1, s[4:5]
	s_waitcnt vmcnt(19)
	v_cmp_ne_u16_e64 s[4:5], 0, v47
	v_mov_b32_e32 v47, s3
	v_mov_b32_e32 v187, s3
	v_cndmask_b32_e64 v44, 0, 1, s[4:5]
	s_waitcnt vmcnt(18)
	v_cmp_ne_u16_e64 s[4:5], 0, v48
	v_mov_b32_e32 v189, s3
	;; [unrolled: 5-line block ×3, first 2 shown]
	v_mov_b32_e32 v195, s3
	v_cndmask_b32_e64 v48, 0, 1, s[4:5]
	s_movk_i32 s4, 0x6000
	v_add_co_u32_e64 v82, s[4:5], s4, v18
	v_mov_b32_e32 v197, s3
	s_nop 0
	v_addc_co_u32_e64 v83, s[4:5], 0, v19, s[4:5]
	v_add_co_u32_e64 v62, s[4:5], s11, v18
	global_load_ushort v84, v[82:83], off offset:-4096
	s_nop 0
	v_addc_co_u32_e64 v63, s[4:5], 0, v19, s[4:5]
	global_load_ushort v85, v[62:63], off offset:512
	global_load_ushort v86, v[62:63], off offset:1024
	;; [unrolled: 1-line block ×6, first 2 shown]
	s_waitcnt vmcnt(23)
	v_cmp_ne_u16_e64 s[4:5], 0, v50
	global_load_ushort v98, v[82:83], off
	global_load_ushort v100, v[82:83], off offset:512
	global_load_ushort v102, v[82:83], off offset:1024
	;; [unrolled: 1-line block ×7, first 2 shown]
	v_cndmask_b32_e64 v50, 0, 1, s[4:5]
	s_waitcnt vmcnt(30)
	v_cmp_ne_u16_e64 s[4:5], 0, v52
	s_movk_i32 s11, 0x7000
	v_mov_b32_e32 v83, s3
	v_cndmask_b32_e64 v52, 0, 1, s[4:5]
	s_waitcnt vmcnt(29)
	v_cmp_ne_u16_e64 s[4:5], 0, v54
	v_mov_b32_e32 v199, s3
	v_mov_b32_e32 v203, s3
	v_cndmask_b32_e64 v54, 0, 1, s[4:5]
	s_waitcnt vmcnt(28)
	v_cmp_ne_u16_e64 s[4:5], 0, v56
	v_mov_b32_e32 v205, s3
	v_mov_b32_e32 v207, s3
	v_cndmask_b32_e64 v56, 0, 1, s[4:5]
	s_waitcnt vmcnt(15)
	v_cmp_ne_u16_e64 s[4:5], 0, v2
	global_load_ushort v2, v[62:63], off offset:3072
	v_mov_b32_e32 v63, s3
	v_cndmask_b32_e64 v58, 0, 1, s[4:5]
	v_cmp_ne_u16_e64 s[4:5], 0, v60
	v_mov_b32_e32 v209, s3
	v_mov_b32_e32 v211, s3
	v_cndmask_b32_e64 v60, 0, 1, s[4:5]
	v_cmp_ne_u16_e64 s[4:5], 0, v64
	v_mov_b32_e32 v213, s3
	;; [unrolled: 4-line block ×11, first 2 shown]
	v_mov_b32_e32 v251, s3
	v_cndmask_b32_e64 v80, 0, 1, s[4:5]
	s_mov_b32 s4, 0x8000
	v_add_co_u32_e64 v106, s[4:5], s4, v18
	s_nop 1
	v_addc_co_u32_e64 v107, s[4:5], 0, v19, s[4:5]
	v_add_co_u32_e64 v94, s[4:5], s11, v18
	global_load_ushort v114, v[106:107], off offset:-4096
	s_nop 0
	v_addc_co_u32_e64 v95, s[4:5], 0, v19, s[4:5]
	global_load_ushort v116, v[94:95], off offset:512
	global_load_ushort v118, v[94:95], off offset:1024
	;; [unrolled: 1-line block ×7, first 2 shown]
	s_waitcnt vmcnt(23)
	v_cmp_ne_u16_e64 s[4:5], 0, v84
	global_load_ushort v132, v[106:107], off offset:512
	global_load_ushort v134, v[106:107], off offset:1024
	;; [unrolled: 1-line block ×5, first 2 shown]
	v_cndmask_b32_e64 v82, 0, 1, s[4:5]
	s_waitcnt vmcnt(27)
	v_cmp_ne_u16_e64 s[4:5], 0, v85
	s_mov_b32 s11, 0xb000
	v_mov_b32_e32 v85, s3
	v_cndmask_b32_e64 v84, 0, 1, s[4:5]
	s_waitcnt vmcnt(26)
	v_cmp_ne_u16_e64 s[4:5], 0, v86
	v_mov_b32_e32 v95, s3
	s_nop 0
	v_cndmask_b32_e64 v86, 0, 1, s[4:5]
	s_waitcnt vmcnt(25)
	v_cmp_ne_u16_e64 s[4:5], 0, v88
	s_nop 1
	v_cndmask_b32_e64 v88, 0, 1, s[4:5]
	s_waitcnt vmcnt(24)
	v_cmp_ne_u16_e64 s[4:5], 0, v90
	;; [unrolled: 4-line block ×4, first 2 shown]
	global_load_ushort v2, v[106:107], off
	global_load_ushort v142, v[106:107], off offset:3072
	global_load_ushort v144, v[106:107], off offset:3584
	v_cndmask_b32_e64 v94, 0, 1, s[4:5]
	v_cmp_ne_u16_e64 s[4:5], 0, v96
	v_mov_b32_e32 v107, s3
	s_nop 0
	v_cndmask_b32_e64 v96, 0, 1, s[4:5]
	v_cmp_ne_u16_e64 s[4:5], 0, v98
	s_nop 1
	v_cndmask_b32_e64 v98, 0, 1, s[4:5]
	v_cmp_ne_u16_e64 s[4:5], 0, v100
	;; [unrolled: 3-line block ×4, first 2 shown]
	s_nop 1
	v_cndmask_b32_e64 v104, 0, 1, s[4:5]
	s_mov_b32 s4, 0xa000
	v_add_co_u32_e64 v148, s[4:5], s4, v18
	s_nop 1
	v_addc_co_u32_e64 v149, s[4:5], 0, v19, s[4:5]
	global_load_ushort v146, v[148:149], off offset:-4096
	v_cmp_ne_u16_e64 s[4:5], 0, v108
	global_load_ushort v164, v[148:149], off
	global_load_ushort v165, v[148:149], off offset:512
	global_load_ushort v168, v[148:149], off offset:1024
	;; [unrolled: 1-line block ×4, first 2 shown]
	v_cndmask_b32_e64 v106, 0, 1, s[4:5]
	v_cmp_ne_u16_e64 s[4:5], 0, v109
	v_mov_b32_e32 v109, s3
	s_nop 0
	v_cndmask_b32_e64 v108, 0, 1, s[4:5]
	v_cmp_ne_u16_e64 s[4:5], 0, v110
	s_nop 1
	v_cndmask_b32_e64 v110, 0, 1, s[4:5]
	s_mov_b32 s4, 0x9000
	v_add_co_u32_e64 v124, s[4:5], s4, v18
	s_nop 1
	v_addc_co_u32_e64 v125, s[4:5], 0, v19, s[4:5]
	global_load_ushort v150, v[124:125], off offset:512
	global_load_ushort v151, v[124:125], off offset:1024
	;; [unrolled: 1-line block ×7, first 2 shown]
	v_cmp_ne_u16_e64 s[4:5], 0, v112
	v_mov_b32_e32 v125, s3
	s_nop 0
	v_cndmask_b32_e64 v112, 0, 1, s[4:5]
	s_waitcnt vmcnt(28)
	v_cmp_ne_u16_e64 s[4:5], 0, v114
	s_nop 1
	v_cndmask_b32_e64 v114, 0, 1, s[4:5]
	s_waitcnt vmcnt(27)
	v_cmp_ne_u16_e64 s[4:5], 0, v116
	;; [unrolled: 4-line block ×7, first 2 shown]
	v_mov_b32_e32 v127, s3
	s_nop 0
	v_cndmask_b32_e64 v126, 0, 1, s[4:5]
	s_waitcnt vmcnt(21)
	v_cmp_ne_u16_e64 s[4:5], 0, v128
	s_nop 1
	v_cndmask_b32_e64 v128, 0, 1, s[4:5]
	s_waitcnt vmcnt(15)
	v_cmp_ne_u16_e64 s[4:5], 0, v2
	global_load_ushort v2, v[148:149], off offset:1536
	global_load_ushort v178, v[148:149], off offset:3072
	global_load_ushort v179, v[148:149], off offset:3584
	v_cndmask_b32_e64 v130, 0, 1, s[4:5]
	v_cmp_ne_u16_e64 s[4:5], 0, v132
	v_mov_b32_e32 v149, s3
	s_nop 0
	v_cndmask_b32_e64 v132, 0, 1, s[4:5]
	v_cmp_ne_u16_e64 s[4:5], 0, v134
	s_nop 1
	v_cndmask_b32_e64 v134, 0, 1, s[4:5]
	v_cmp_ne_u16_e64 s[4:5], 0, v136
	;; [unrolled: 3-line block ×4, first 2 shown]
	s_nop 1
	v_cndmask_b32_e64 v140, 0, 1, s[4:5]
	s_waitcnt vmcnt(17)
	v_cmp_ne_u16_e64 s[4:5], 0, v142
	s_nop 1
	v_cndmask_b32_e64 v142, 0, 1, s[4:5]
	s_waitcnt vmcnt(16)
	v_cmp_ne_u16_e64 s[4:5], 0, v144
	;; [unrolled: 4-line block ×3, first 2 shown]
	s_nop 1
	v_cndmask_b32_e64 v146, 0, 1, s[4:5]
	s_mov_b32 s4, 0xc000
	v_add_co_u32_e64 v166, s[4:5], s4, v18
	s_nop 1
	v_addc_co_u32_e64 v167, s[4:5], 0, v19, s[4:5]
	v_add_co_u32_e64 v162, s[4:5], s11, v18
	global_load_ushort v180, v[166:167], off offset:-4096
	s_nop 0
	v_addc_co_u32_e64 v163, s[4:5], 0, v19, s[4:5]
	s_waitcnt vmcnt(10)
	v_cmp_ne_u16_e64 s[4:5], 0, v150
	global_load_ushort v182, v[162:163], off offset:512
	global_load_ushort v184, v[162:163], off offset:1024
	;; [unrolled: 1-line block ×7, first 2 shown]
	v_cndmask_b32_e64 v148, 0, 1, s[4:5]
	s_waitcnt vmcnt(16)
	v_cmp_ne_u16_e64 s[4:5], 0, v151
	global_load_ushort v193, v[166:167], off
	global_load_ushort v194, v[166:167], off offset:512
	global_load_ushort v198, v[166:167], off offset:1536
	v_cndmask_b32_e64 v150, 0, 1, s[4:5]
	s_waitcnt vmcnt(18)
	v_cmp_ne_u16_e64 s[4:5], 0, v152
	s_mov_b32 s11, 0xd000
	v_mov_b32_e32 v151, s3
	v_cndmask_b32_e64 v152, 0, 1, s[4:5]
	s_waitcnt vmcnt(17)
	v_cmp_ne_u16_e64 s[4:5], 0, v154
	v_mov_b32_e32 v163, s3
	s_nop 0
	v_cndmask_b32_e64 v154, 0, 1, s[4:5]
	s_waitcnt vmcnt(16)
	v_cmp_ne_u16_e64 s[4:5], 0, v156
	s_nop 1
	v_cndmask_b32_e64 v156, 0, 1, s[4:5]
	s_waitcnt vmcnt(15)
	v_cmp_ne_u16_e64 s[4:5], 0, v158
	;; [unrolled: 4-line block ×3, first 2 shown]
	s_nop 1
	v_cndmask_b32_e64 v160, 0, 1, s[4:5]
	v_cmp_ne_u16_e64 s[4:5], 0, v164
	s_nop 1
	v_cndmask_b32_e64 v162, 0, 1, s[4:5]
	v_cmp_ne_u16_e64 s[4:5], 0, v165
	v_mov_b32_e32 v165, s3
	s_nop 0
	v_cndmask_b32_e64 v164, 0, 1, s[4:5]
	v_cmp_ne_u16_e64 s[4:5], 0, v168
	s_nop 1
	v_cndmask_b32_e64 v168, 0, 1, s[4:5]
	s_waitcnt vmcnt(13)
	v_cmp_ne_u16_e64 s[4:5], 0, v2
	global_load_ushort v2, v[166:167], off offset:1024
	global_load_ushort v200, v[166:167], off offset:2048
	;; [unrolled: 1-line block ×4, first 2 shown]
	v_cndmask_b32_e64 v170, 0, 1, s[4:5]
	v_cmp_ne_u16_e64 s[4:5], 0, v172
	s_nop 1
	v_cndmask_b32_e64 v172, 0, 1, s[4:5]
	v_cmp_ne_u16_e64 s[4:5], 0, v174
	s_nop 1
	v_cndmask_b32_e64 v174, 0, 1, s[4:5]
	s_mov_b32 s4, 0xe000
	v_add_co_u32_e64 v176, s[4:5], s4, v18
	s_nop 1
	v_addc_co_u32_e64 v177, s[4:5], 0, v19, s[4:5]
	v_add_co_u32_e64 v18, s[4:5], s11, v18
	global_load_ushort v204, v[166:167], off offset:3584
	global_load_ushort v206, v[176:177], off offset:-4096
	v_addc_co_u32_e64 v19, s[4:5], 0, v19, s[4:5]
	s_waitcnt vmcnt(18)
	v_cmp_ne_u16_e64 s[4:5], 0, v178
	global_load_ushort v208, v[18:19], off offset:512
	global_load_ushort v210, v[18:19], off offset:1024
	;; [unrolled: 1-line block ×7, first 2 shown]
	global_load_ushort v238, v[38:39], off
	v_cndmask_b32_e64 v166, 0, 1, s[4:5]
	s_waitcnt vmcnt(25)
	v_cmp_ne_u16_e64 s[4:5], 0, v179
	global_load_ushort v222, v[176:177], off
	global_load_ushort v224, v[176:177], off offset:512
	global_load_ushort v240, v[38:39], off offset:512
	;; [unrolled: 1-line block ×7, first 2 shown]
	v_cndmask_b32_e64 v178, 0, 1, s[4:5]
	s_waitcnt vmcnt(32)
	v_cmp_ne_u16_e64 s[4:5], 0, v180
	global_load_ushort v226, v[176:177], off offset:1024
	global_load_ushort v228, v[176:177], off offset:1536
	;; [unrolled: 1-line block ×6, first 2 shown]
	v_cndmask_b32_e64 v180, 0, 1, s[4:5]
	s_waitcnt vmcnt(37)
	v_cmp_ne_u16_e64 s[4:5], 0, v182
	v_mov_b32_e32 v167, s3
	v_mov_b32_e32 v179, s3
	v_cndmask_b32_e64 v182, 0, 1, s[4:5]
	s_waitcnt vmcnt(36)
	v_cmp_ne_u16_e64 s[4:5], 0, v184
	v_mov_b32_e32 v19, s3
	v_mov_b32_e32 v177, s3
	;; [unrolled: 5-line block ×3, first 2 shown]
	v_cndmask_b32_e64 v184, 0, 1, s[4:5]
	s_waitcnt vmcnt(34)
	v_cmp_ne_u16_e64 s[4:5], 0, v186
	s_nop 1
	v_cndmask_b32_e64 v186, 0, 1, s[4:5]
	s_waitcnt vmcnt(33)
	v_cmp_ne_u16_e64 s[4:5], 0, v188
	s_nop 1
	;; [unrolled: 4-line block ×4, first 2 shown]
	v_cndmask_b32_e64 v176, 0, 1, s[4:5]
	s_waitcnt vmcnt(30)
	v_cmp_ne_u16_e64 s[4:5], 0, v193
	v_mov_b32_e32 v193, s3
	s_nop 0
	v_cndmask_b32_e64 v192, 0, 1, s[4:5]
	s_waitcnt vmcnt(29)
	v_cmp_ne_u16_e64 s[4:5], 0, v194
	s_nop 1
	v_cndmask_b32_e64 v194, 0, 1, s[4:5]
	s_waitcnt vmcnt(27)
	v_cmp_ne_u16_e64 s[4:5], 0, v2
	v_addc_co_u32_e32 v2, vcc, v248, v1, vcc
	v_lshl_add_u64 v[4:5], v[2:3], 0, v[4:5]
	v_lshl_add_u64 v[4:5], v[4:5], 0, v[6:7]
	v_lshl_add_u64 v[4:5], v[4:5], 0, v[8:9]
	v_lshl_add_u64 v[4:5], v[4:5], 0, v[10:11]
	v_lshl_add_u64 v[4:5], v[4:5], 0, v[12:13]
	v_lshl_add_u64 v[4:5], v[4:5], 0, v[14:15]
	v_lshl_add_u64 v[4:5], v[4:5], 0, v[16:17]
	v_lshl_add_u64 v[4:5], v[4:5], 0, v[20:21]
	v_lshl_add_u64 v[4:5], v[4:5], 0, v[22:23]
	v_lshl_add_u64 v[4:5], v[4:5], 0, v[24:25]
	v_lshl_add_u64 v[4:5], v[4:5], 0, v[26:27]
	v_lshl_add_u64 v[4:5], v[4:5], 0, v[28:29]
	v_lshl_add_u64 v[4:5], v[4:5], 0, v[30:31]
	v_lshl_add_u64 v[4:5], v[4:5], 0, v[32:33]
	v_lshl_add_u64 v[4:5], v[4:5], 0, v[34:35]
	v_lshl_add_u64 v[4:5], v[4:5], 0, v[36:37]
	v_lshl_add_u64 v[4:5], v[4:5], 0, v[40:41]
	v_lshl_add_u64 v[4:5], v[4:5], 0, v[42:43]
	v_lshl_add_u64 v[4:5], v[4:5], 0, v[44:45]
	v_lshl_add_u64 v[4:5], v[4:5], 0, v[46:47]
	v_lshl_add_u64 v[4:5], v[4:5], 0, v[48:49]
	v_lshl_add_u64 v[4:5], v[4:5], 0, v[50:51]
	v_lshl_add_u64 v[4:5], v[4:5], 0, v[52:53]
	v_lshl_add_u64 v[4:5], v[4:5], 0, v[54:55]
	v_lshl_add_u64 v[4:5], v[4:5], 0, v[56:57]
	v_lshl_add_u64 v[4:5], v[4:5], 0, v[58:59]
	v_lshl_add_u64 v[4:5], v[4:5], 0, v[60:61]
	v_lshl_add_u64 v[4:5], v[4:5], 0, v[62:63]
	v_lshl_add_u64 v[4:5], v[4:5], 0, v[64:65]
	v_lshl_add_u64 v[4:5], v[4:5], 0, v[66:67]
	v_lshl_add_u64 v[4:5], v[4:5], 0, v[68:69]
	v_lshl_add_u64 v[4:5], v[4:5], 0, v[70:71]
	v_lshl_add_u64 v[4:5], v[4:5], 0, v[72:73]
	v_lshl_add_u64 v[4:5], v[4:5], 0, v[74:75]
	v_lshl_add_u64 v[4:5], v[4:5], 0, v[76:77]
	v_lshl_add_u64 v[4:5], v[4:5], 0, v[78:79]
	v_lshl_add_u64 v[4:5], v[4:5], 0, v[80:81]
	v_lshl_add_u64 v[4:5], v[4:5], 0, v[82:83]
	v_lshl_add_u64 v[4:5], v[4:5], 0, v[84:85]
	v_lshl_add_u64 v[4:5], v[4:5], 0, v[86:87]
	v_lshl_add_u64 v[4:5], v[4:5], 0, v[88:89]
	v_lshl_add_u64 v[4:5], v[4:5], 0, v[90:91]
	v_lshl_add_u64 v[4:5], v[4:5], 0, v[92:93]
	v_lshl_add_u64 v[4:5], v[4:5], 0, v[94:95]
	v_lshl_add_u64 v[4:5], v[4:5], 0, v[96:97]
	v_lshl_add_u64 v[4:5], v[4:5], 0, v[98:99]
	v_lshl_add_u64 v[4:5], v[4:5], 0, v[100:101]
	v_lshl_add_u64 v[4:5], v[4:5], 0, v[102:103]
	v_lshl_add_u64 v[4:5], v[4:5], 0, v[104:105]
	v_lshl_add_u64 v[4:5], v[4:5], 0, v[106:107]
	v_lshl_add_u64 v[4:5], v[4:5], 0, v[108:109]
	v_lshl_add_u64 v[4:5], v[4:5], 0, v[110:111]
	v_lshl_add_u64 v[4:5], v[4:5], 0, v[112:113]
	v_lshl_add_u64 v[4:5], v[4:5], 0, v[114:115]
	v_lshl_add_u64 v[4:5], v[4:5], 0, v[116:117]
	v_lshl_add_u64 v[4:5], v[4:5], 0, v[118:119]
	v_lshl_add_u64 v[4:5], v[4:5], 0, v[120:121]
	v_lshl_add_u64 v[4:5], v[4:5], 0, v[122:123]
	v_lshl_add_u64 v[4:5], v[4:5], 0, v[124:125]
	v_lshl_add_u64 v[4:5], v[4:5], 0, v[126:127]
	v_lshl_add_u64 v[4:5], v[4:5], 0, v[128:129]
	v_lshl_add_u64 v[4:5], v[4:5], 0, v[130:131]
	v_lshl_add_u64 v[4:5], v[4:5], 0, v[132:133]
	v_lshl_add_u64 v[4:5], v[4:5], 0, v[134:135]
	v_lshl_add_u64 v[4:5], v[4:5], 0, v[136:137]
	v_lshl_add_u64 v[4:5], v[4:5], 0, v[138:139]
	v_lshl_add_u64 v[4:5], v[4:5], 0, v[140:141]
	v_lshl_add_u64 v[4:5], v[4:5], 0, v[142:143]
	v_lshl_add_u64 v[4:5], v[4:5], 0, v[144:145]
	v_lshl_add_u64 v[4:5], v[4:5], 0, v[146:147]
	v_lshl_add_u64 v[4:5], v[4:5], 0, v[148:149]
	v_lshl_add_u64 v[4:5], v[4:5], 0, v[150:151]
	v_lshl_add_u64 v[4:5], v[4:5], 0, v[152:153]
	v_lshl_add_u64 v[4:5], v[4:5], 0, v[154:155]
	v_lshl_add_u64 v[4:5], v[4:5], 0, v[156:157]
	v_lshl_add_u64 v[4:5], v[4:5], 0, v[158:159]
	v_lshl_add_u64 v[4:5], v[4:5], 0, v[160:161]
	v_lshl_add_u64 v[4:5], v[4:5], 0, v[162:163]
	v_lshl_add_u64 v[4:5], v[4:5], 0, v[164:165]
	v_lshl_add_u64 v[4:5], v[4:5], 0, v[168:169]
	v_lshl_add_u64 v[4:5], v[4:5], 0, v[170:171]
	v_lshl_add_u64 v[4:5], v[4:5], 0, v[172:173]
	v_lshl_add_u64 v[4:5], v[4:5], 0, v[174:175]
	v_lshl_add_u64 v[4:5], v[4:5], 0, v[166:167]
	v_lshl_add_u64 v[4:5], v[4:5], 0, v[178:179]
	v_lshl_add_u64 v[4:5], v[4:5], 0, v[180:181]
	v_lshl_add_u64 v[4:5], v[4:5], 0, v[182:183]
	v_lshl_add_u64 v[4:5], v[4:5], 0, v[18:19]
	v_lshl_add_u64 v[4:5], v[4:5], 0, v[184:185]
	v_lshl_add_u64 v[4:5], v[4:5], 0, v[186:187]
	v_lshl_add_u64 v[4:5], v[4:5], 0, v[188:189]
	v_lshl_add_u64 v[4:5], v[4:5], 0, v[190:191]
	v_lshl_add_u64 v[4:5], v[4:5], 0, v[176:177]
	v_lshl_add_u64 v[4:5], v[4:5], 0, v[192:193]
	v_cndmask_b32_e64 v196, 0, 1, s[4:5]
	v_cmp_ne_u16_e64 s[4:5], 0, v198
	v_lshl_add_u64 v[4:5], v[4:5], 0, v[194:195]
	v_lshl_add_u64 v[4:5], v[4:5], 0, v[196:197]
	v_cndmask_b32_e64 v198, 0, 1, s[4:5]
	s_waitcnt vmcnt(26)
	v_cmp_ne_u16_e64 s[4:5], 0, v200
	v_lshl_add_u64 v[4:5], v[4:5], 0, v[198:199]
	s_waitcnt vmcnt(7)
	v_cmp_ne_u16_e32 vcc, 0, v249
	v_cndmask_b32_e64 v38, 0, 1, s[4:5]
	v_cmp_ne_u16_e64 s[4:5], 0, v201
	v_mov_b32_e32 v201, s3
	v_lshl_add_u64 v[4:5], v[4:5], 0, v[38:39]
	v_cndmask_b32_e64 v200, 0, 1, s[4:5]
	v_cmp_ne_u16_e64 s[4:5], 0, v202
	v_lshl_add_u64 v[4:5], v[4:5], 0, v[200:201]
	v_cndmask_b32_e64 v248, 0, 1, vcc
	v_cndmask_b32_e64 v202, 0, 1, s[4:5]
	v_cmp_ne_u16_e64 s[4:5], 0, v204
	v_lshl_add_u64 v[4:5], v[4:5], 0, v[202:203]
	v_mov_b32_e32 v249, s3
	v_cndmask_b32_e64 v204, 0, 1, s[4:5]
	v_cmp_ne_u16_e64 s[4:5], 0, v206
	v_lshl_add_u64 v[4:5], v[4:5], 0, v[204:205]
	s_waitcnt vmcnt(6)
	v_cmp_ne_u16_e32 vcc, 0, v250
	v_cndmask_b32_e64 v206, 0, 1, s[4:5]
	v_cmp_ne_u16_e64 s[4:5], 0, v208
	v_lshl_add_u64 v[4:5], v[4:5], 0, v[206:207]
	v_cndmask_b32_e64 v250, 0, 1, vcc
	v_cndmask_b32_e64 v208, 0, 1, s[4:5]
	v_cmp_ne_u16_e64 s[4:5], 0, v210
	v_lshl_add_u64 v[4:5], v[4:5], 0, v[208:209]
	v_cmp_ne_u16_e32 vcc, 0, v252
	v_cndmask_b32_e64 v210, 0, 1, s[4:5]
	v_cmp_ne_u16_e64 s[4:5], 0, v212
	v_lshl_add_u64 v[4:5], v[4:5], 0, v[210:211]
	v_cndmask_b32_e64 v6, 0, 1, vcc
	v_cndmask_b32_e64 v212, 0, 1, s[4:5]
	v_cmp_ne_u16_e64 s[4:5], 0, v214
	v_lshl_add_u64 v[4:5], v[4:5], 0, v[212:213]
	v_mbcnt_lo_u32_b32 v1, -1, 0
	v_cndmask_b32_e64 v214, 0, 1, s[4:5]
	v_cmp_ne_u16_e64 s[4:5], 0, v216
	v_lshl_add_u64 v[4:5], v[4:5], 0, v[214:215]
	v_mbcnt_hi_u32_b32 v1, -1, v1
	v_cndmask_b32_e64 v216, 0, 1, s[4:5]
	v_cmp_ne_u16_e64 s[4:5], 0, v218
	v_lshl_add_u64 v[4:5], v[4:5], 0, v[216:217]
	v_cmp_eq_u32_e32 vcc, 0, v1
	v_cndmask_b32_e64 v218, 0, 1, s[4:5]
	v_cmp_ne_u16_e64 s[4:5], 0, v220
	v_lshl_add_u64 v[4:5], v[4:5], 0, v[218:219]
	s_nop 0
	v_cndmask_b32_e64 v220, 0, 1, s[4:5]
	v_cmp_ne_u16_e64 s[4:5], 0, v222
	v_lshl_add_u64 v[4:5], v[4:5], 0, v[220:221]
	s_nop 0
	;; [unrolled: 4-line block ×3, first 2 shown]
	v_cndmask_b32_e64 v224, 0, 1, s[4:5]
	s_waitcnt vmcnt(5)
	v_cmp_ne_u16_e64 s[4:5], 0, v226
	v_lshl_add_u64 v[4:5], v[4:5], 0, v[224:225]
	s_nop 0
	v_cndmask_b32_e64 v226, 0, 1, s[4:5]
	s_waitcnt vmcnt(4)
	v_cmp_ne_u16_e64 s[4:5], 0, v228
	v_lshl_add_u64 v[4:5], v[4:5], 0, v[226:227]
	s_nop 0
	v_cndmask_b32_e64 v228, 0, 1, s[4:5]
	s_waitcnt vmcnt(3)
	v_cmp_ne_u16_e64 s[4:5], 0, v230
	v_lshl_add_u64 v[4:5], v[4:5], 0, v[228:229]
	s_nop 0
	v_cndmask_b32_e64 v230, 0, 1, s[4:5]
	s_waitcnt vmcnt(2)
	v_cmp_ne_u16_e64 s[4:5], 0, v232
	v_lshl_add_u64 v[4:5], v[4:5], 0, v[230:231]
	s_nop 0
	v_cndmask_b32_e64 v232, 0, 1, s[4:5]
	s_waitcnt vmcnt(1)
	v_cmp_ne_u16_e64 s[4:5], 0, v234
	v_lshl_add_u64 v[4:5], v[4:5], 0, v[232:233]
	s_nop 0
	v_cndmask_b32_e64 v234, 0, 1, s[4:5]
	s_waitcnt vmcnt(0)
	v_cmp_ne_u16_e64 s[4:5], 0, v236
	v_lshl_add_u64 v[4:5], v[4:5], 0, v[234:235]
	s_nop 0
	v_cndmask_b32_e64 v236, 0, 1, s[4:5]
	v_cmp_ne_u16_e64 s[4:5], 0, v238
	v_lshl_add_u64 v[4:5], v[4:5], 0, v[236:237]
	s_nop 0
	v_cndmask_b32_e64 v238, 0, 1, s[4:5]
	v_cmp_ne_u16_e64 s[4:5], 0, v240
	v_lshl_add_u64 v[4:5], v[4:5], 0, v[238:239]
	s_nop 0
	;; [unrolled: 4-line block ×5, first 2 shown]
	v_cndmask_b32_e64 v246, 0, 1, s[4:5]
	v_lshl_add_u64 v[4:5], v[4:5], 0, v[246:247]
	v_lshl_add_u64 v[4:5], v[4:5], 0, v[248:249]
	;; [unrolled: 1-line block ×4, first 2 shown]
	v_mov_b32_dpp v7, v3 quad_perm:[1,0,3,2] row_mask:0xf bank_mask:0xf bound_ctrl:1
	v_mov_b32_e32 v6, v3
	v_mov_b32_dpp v2, v4 quad_perm:[1,0,3,2] row_mask:0xf bank_mask:0xf bound_ctrl:1
	v_lshl_add_u64 v[4:5], v[4:5], 0, v[2:3]
	v_lshl_add_u64 v[6:7], v[6:7], 0, v[4:5]
	s_nop 0
	v_mov_b32_dpp v2, v4 quad_perm:[2,3,0,1] row_mask:0xf bank_mask:0xf bound_ctrl:1
	v_mov_b32_dpp v5, v7 quad_perm:[2,3,0,1] row_mask:0xf bank_mask:0xf bound_ctrl:1
	v_mov_b32_e32 v4, v3
	v_lshl_add_u64 v[6:7], v[6:7], 0, v[2:3]
	v_lshl_add_u64 v[4:5], v[6:7], 0, v[4:5]
	s_nop 0
	v_mov_b32_dpp v2, v6 row_ror:4 row_mask:0xf bank_mask:0xf bound_ctrl:1
	v_mov_b32_dpp v7, v5 row_ror:4 row_mask:0xf bank_mask:0xf bound_ctrl:1
	v_mov_b32_e32 v6, v3
	v_lshl_add_u64 v[4:5], v[4:5], 0, v[2:3]
	v_lshl_add_u64 v[6:7], v[4:5], 0, v[6:7]
	s_nop 0
	v_mov_b32_dpp v2, v4 row_ror:8 row_mask:0xf bank_mask:0xf bound_ctrl:1
	v_mov_b32_dpp v5, v7 row_ror:8 row_mask:0xf bank_mask:0xf bound_ctrl:1
	v_mov_b32_e32 v4, v3
	v_lshl_add_u64 v[6:7], v[6:7], 0, v[2:3]
	v_lshl_add_u64 v[4:5], v[6:7], 0, v[4:5]
	s_nop 0
	v_mov_b32_dpp v2, v6 row_bcast:15 row_mask:0xf bank_mask:0xf bound_ctrl:1
	v_mov_b32_dpp v7, v5 row_bcast:15 row_mask:0xf bank_mask:0xf bound_ctrl:1
	v_mov_b32_e32 v6, v3
	v_lshl_add_u64 v[4:5], v[4:5], 0, v[2:3]
	v_lshl_add_u64 v[6:7], v[4:5], 0, v[6:7]
	s_nop 0
	v_mov_b32_dpp v2, v4 row_bcast:31 row_mask:0xf bank_mask:0xf bound_ctrl:1
	v_lshl_add_u64 v[2:3], v[6:7], 0, v[2:3]
	v_lshlrev_b32_e32 v4, 2, v1
	v_or_b32_e32 v5, 0xfc, v4
	v_add_u32_dpp v3, v7, v3 row_bcast:31 row_mask:0xf bank_mask:0xf bound_ctrl:1
	ds_bpermute_b32 v2, v5, v2
	ds_bpermute_b32 v3, v5, v3
	s_and_saveexec_b64 s[4:5], vcc
	s_cbranch_execz .LBB108_7
; %bb.6:
	v_lshrrev_b32_e32 v5, 3, v0
	v_and_b32_e32 v5, 24, v5
	s_waitcnt lgkmcnt(0)
	ds_write_b64 v5, v[2:3]
.LBB108_7:
	s_or_b64 exec, exec, s[4:5]
	v_cmp_gt_u32_e32 vcc, 64, v0
	s_waitcnt lgkmcnt(0)
	s_barrier
	s_and_saveexec_b64 s[4:5], vcc
	s_cbranch_execz .LBB108_9
; %bb.8:
	v_and_b32_e32 v5, 3, v1
	v_lshlrev_b32_e32 v2, 3, v5
	ds_read_b64 v[2:3], v2
	v_cmp_ne_u32_e32 vcc, 3, v5
	v_mov_b32_e32 v8, 0
	v_mov_b32_e32 v7, v8
	v_addc_co_u32_e32 v1, vcc, 0, v1, vcc
	v_lshlrev_b32_e32 v1, 2, v1
	s_waitcnt lgkmcnt(0)
	ds_bpermute_b32 v6, v1, v2
	ds_bpermute_b32 v9, v1, v3
	v_or_b32_e32 v1, 8, v4
	s_waitcnt lgkmcnt(1)
	v_lshl_add_u64 v[2:3], v[2:3], 0, v[6:7]
	s_waitcnt lgkmcnt(0)
	v_lshl_add_u64 v[4:5], v[8:9], 0, v[2:3]
	ds_bpermute_b32 v2, v1, v2
	ds_bpermute_b32 v9, v1, v5
	v_mov_b32_e32 v3, v8
	s_waitcnt lgkmcnt(1)
	v_lshl_add_u64 v[2:3], v[4:5], 0, v[2:3]
	s_waitcnt lgkmcnt(0)
	v_lshl_add_u64 v[2:3], v[2:3], 0, v[8:9]
.LBB108_9:
	s_or_b64 exec, exec, s[4:5]
	s_mov_b64 s[4:5], 0
	s_branch .LBB108_22
.LBB108_10:
	s_mov_b64 s[4:5], 0
                                        ; implicit-def: $vgpr2_vgpr3
                                        ; implicit-def: $vgpr4_vgpr5
	s_cbranch_execnz .LBB108_568
	s_branch .LBB108_683
.LBB108_11:
	s_mov_b64 s[4:5], 0
                                        ; implicit-def: $vgpr2_vgpr3
                                        ; implicit-def: $vgpr4_vgpr5
	s_cbranch_execnz .LBB108_430
	s_branch .LBB108_567
.LBB108_12:
	s_mov_b64 s[6:7], -1
	s_mov_b64 s[4:5], 0
                                        ; implicit-def: $vgpr2_vgpr3
                                        ; implicit-def: $vgpr4_vgpr5
.LBB108_13:
	s_and_b64 vcc, exec, s[6:7]
	s_cbranch_vccz .LBB108_429
.LBB108_14:
	s_cmp_eq_u32 s33, 64
                                        ; implicit-def: $vgpr2_vgpr3
                                        ; implicit-def: $vgpr4_vgpr5
	s_cbranch_scc0 .LBB108_429
; %bb.15:
	s_mov_b32 s3, 0
	s_lshl_b32 s6, s2, 14
	s_mov_b32 s7, s3
	s_lshr_b64 s[8:9], s[36:37], 14
	s_lshl_b64 s[4:5], s[6:7], 1
	s_add_u32 s4, s40, s4
	s_addc_u32 s5, s41, s5
	s_cmp_lg_u64 s[8:9], s[2:3]
	s_cbranch_scc0 .LBB108_289
; %bb.16:
	v_lshlrev_b32_e32 v2, 1, v0
	s_waitcnt lgkmcnt(1)
	global_load_ushort v1, v2, s[4:5] offset:1536
	global_load_ushort v8, v2, s[4:5] offset:2048
	v_mov_b32_e32 v3, 0
	v_lshl_add_u64 v[26:27], s[4:5], 0, v[2:3]
	s_movk_i32 s8, 0x2000
	v_add_co_u32_e32 v6, vcc, s8, v26
	s_movk_i32 s7, 0x1000
	s_waitcnt lgkmcnt(0)
	v_addc_co_u32_e32 v7, vcc, 0, v27, vcc
	global_load_ushort v10, v2, s[4:5] offset:2560
	global_load_ushort v12, v2, s[4:5] offset:3072
	;; [unrolled: 1-line block ×3, first 2 shown]
	global_load_ushort v16, v[6:7], off offset:-4096
	v_add_co_u32_e32 v4, vcc, s7, v26
	s_movk_i32 s7, 0x4000
	s_nop 0
	v_addc_co_u32_e32 v5, vcc, 0, v27, vcc
	global_load_ushort v18, v[4:5], off offset:512
	global_load_ushort v20, v[4:5], off offset:1024
	;; [unrolled: 1-line block ×7, first 2 shown]
	global_load_ushort v33, v[6:7], off
	global_load_ushort v34, v[6:7], off offset:512
	global_load_ushort v36, v[6:7], off offset:1024
	;; [unrolled: 1-line block ×7, first 2 shown]
	v_add_co_u32_e32 v50, vcc, s7, v26
	s_movk_i32 s7, 0x3000
	s_nop 0
	v_addc_co_u32_e32 v51, vcc, 0, v27, vcc
	global_load_ushort v48, v[50:51], off offset:-4096
	v_add_co_u32_e32 v30, vcc, s7, v26
	s_movk_i32 s8, 0x6000
	s_nop 0
	v_addc_co_u32_e32 v31, vcc, 0, v27, vcc
	global_load_ushort v56, v[30:31], off offset:512
	global_load_ushort v57, v[30:31], off offset:1024
	;; [unrolled: 1-line block ×6, first 2 shown]
	s_movk_i32 s7, 0x5000
	v_mov_b32_e32 v5, s3
	v_mov_b32_e32 v7, s3
	;; [unrolled: 1-line block ×48, first 2 shown]
	s_waitcnt vmcnt(27)
	v_cmp_ne_u16_e32 vcc, 0, v1
	global_load_ushort v1, v[30:31], off offset:3584
	global_load_ushort v66, v[50:51], off
	global_load_ushort v68, v[50:51], off offset:512
	global_load_ushort v69, v[50:51], off offset:1024
	;; [unrolled: 1-line block ×4, first 2 shown]
	v_cndmask_b32_e64 v4, 0, 1, vcc
	s_waitcnt vmcnt(32)
	v_cmp_ne_u16_e32 vcc, 0, v8
	global_load_ushort v74, v[50:51], off offset:2560
	global_load_ushort v75, v[50:51], off offset:3072
	v_cndmask_b32_e64 v6, 0, 1, vcc
	s_waitcnt vmcnt(33)
	v_cmp_ne_u16_e32 vcc, 0, v10
	v_mov_b32_e32 v31, s3
	v_mov_b32_e32 v123, s3
	v_cndmask_b32_e64 v8, 0, 1, vcc
	s_waitcnt vmcnt(32)
	v_cmp_ne_u16_e32 vcc, 0, v12
	v_mov_b32_e32 v125, s3
	s_nop 0
	v_cndmask_b32_e64 v10, 0, 1, vcc
	s_waitcnt vmcnt(31)
	v_cmp_ne_u16_e32 vcc, 0, v14
	s_nop 1
	v_cndmask_b32_e64 v12, 0, 1, vcc
	s_waitcnt vmcnt(30)
	v_cmp_ne_u16_e32 vcc, 0, v16
	;; [unrolled: 4-line block ×8, first 2 shown]
	v_mov_b32_e32 v29, s3
	s_nop 0
	v_cndmask_b32_e64 v28, 0, 1, vcc
	s_waitcnt vmcnt(23)
	v_cmp_ne_u16_e32 vcc, 0, v32
	s_nop 1
	v_cndmask_b32_e64 v30, 0, 1, vcc
	s_waitcnt vmcnt(22)
	v_cmp_ne_u16_e32 vcc, 0, v33
	v_mov_b32_e32 v33, s3
	s_nop 0
	v_cndmask_b32_e64 v32, 0, 1, vcc
	s_waitcnt vmcnt(21)
	v_cmp_ne_u16_e32 vcc, 0, v34
	s_nop 1
	v_cndmask_b32_e64 v34, 0, 1, vcc
	s_waitcnt vmcnt(20)
	v_cmp_ne_u16_e32 vcc, 0, v36
	;; [unrolled: 4-line block ×8, first 2 shown]
	s_nop 1
	v_cndmask_b32_e64 v48, 0, 1, vcc
	v_add_co_u32_e32 v52, vcc, s8, v26
	s_nop 1
	v_addc_co_u32_e32 v53, vcc, 0, v27, vcc
	v_add_co_u32_e32 v54, vcc, s7, v26
	global_load_ushort v76, v[50:51], off offset:3584
	global_load_ushort v78, v[52:53], off offset:-4096
	v_addc_co_u32_e32 v55, vcc, 0, v27, vcc
	global_load_ushort v80, v[54:55], off offset:512
	global_load_ushort v82, v[54:55], off offset:1024
	;; [unrolled: 1-line block ×7, first 2 shown]
	s_waitcnt vmcnt(22)
	v_cmp_ne_u16_e32 vcc, 0, v56
	global_load_ushort v94, v[52:53], off
	global_load_ushort v96, v[52:53], off offset:512
	global_load_ushort v98, v[52:53], off offset:1024
	;; [unrolled: 1-line block ×4, first 2 shown]
	v_cndmask_b32_e64 v50, 0, 1, vcc
	s_waitcnt vmcnt(26)
	v_cmp_ne_u16_e32 vcc, 0, v57
	s_movk_i32 s7, 0x7000
	v_mov_b32_e32 v51, s3
	v_cndmask_b32_e64 v56, 0, 1, vcc
	s_waitcnt vmcnt(25)
	v_cmp_ne_u16_e32 vcc, 0, v58
	v_mov_b32_e32 v57, s3
	v_mov_b32_e32 v55, s3
	v_cndmask_b32_e64 v58, 0, 1, vcc
	s_waitcnt vmcnt(24)
	v_cmp_ne_u16_e32 vcc, 0, v60
	s_nop 1
	v_cndmask_b32_e64 v60, 0, 1, vcc
	s_waitcnt vmcnt(23)
	v_cmp_ne_u16_e32 vcc, 0, v62
	s_nop 1
	v_cndmask_b32_e64 v54, 0, 1, vcc
	s_waitcnt vmcnt(22)
	v_cmp_ne_u16_e32 vcc, 0, v63
	v_mov_b32_e32 v63, s3
	s_nop 0
	v_cndmask_b32_e64 v62, 0, 1, vcc
	s_waitcnt vmcnt(21)
	v_cmp_ne_u16_e32 vcc, 0, v1
	global_load_ushort v1, v[52:53], off offset:2048
	global_load_ushort v106, v[52:53], off offset:3072
	;; [unrolled: 1-line block ×3, first 2 shown]
	v_cndmask_b32_e64 v64, 0, 1, vcc
	s_waitcnt vmcnt(23)
	v_cmp_ne_u16_e32 vcc, 0, v66
	v_mov_b32_e32 v53, s3
	s_nop 0
	v_cndmask_b32_e64 v66, 0, 1, vcc
	v_add_co_u32_e32 v26, vcc, s7, v26
	s_nop 1
	v_addc_co_u32_e32 v27, vcc, 0, v27, vcc
	global_load_ushort v110, v[26:27], off
	global_load_ushort v112, v[26:27], off offset:512
	global_load_ushort v114, v[26:27], off offset:1024
	;; [unrolled: 1-line block ×5, first 2 shown]
	global_load_ushort v126, v2, s[4:5]
	global_load_ushort v122, v[26:27], off offset:3072
	global_load_ushort v127, v2, s[4:5] offset:512
	global_load_ushort v128, v2, s[4:5] offset:1024
	global_load_ushort v124, v[26:27], off offset:3584
	s_waitcnt vmcnt(33)
	v_cmp_ne_u16_e32 vcc, 0, v68
	v_mov_b32_e32 v27, s3
	s_nop 0
	v_cndmask_b32_e64 v52, 0, 1, vcc
	s_waitcnt vmcnt(32)
	v_cmp_ne_u16_e32 vcc, 0, v69
	v_mov_b32_e32 v69, s3
	s_nop 0
	v_cndmask_b32_e64 v68, 0, 1, vcc
	s_waitcnt vmcnt(31)
	v_cmp_ne_u16_e32 vcc, 0, v70
	s_nop 1
	v_cndmask_b32_e64 v70, 0, 1, vcc
	s_waitcnt vmcnt(30)
	v_cmp_ne_u16_e32 vcc, 0, v72
	;; [unrolled: 4-line block ×4, first 2 shown]
	v_mov_b32_e32 v75, s3
	s_nop 0
	v_cndmask_b32_e64 v74, 0, 1, vcc
	s_waitcnt vmcnt(27)
	v_cmp_ne_u16_e32 vcc, 0, v76
	s_nop 1
	v_cndmask_b32_e64 v76, 0, 1, vcc
	s_waitcnt vmcnt(26)
	v_cmp_ne_u16_e32 vcc, 0, v78
	;; [unrolled: 4-line block ×14, first 2 shown]
	s_nop 1
	v_cndmask_b32_e64 v102, 0, 1, vcc
	v_cmp_ne_u16_e32 vcc, 0, v104
	s_nop 1
	v_cndmask_b32_e64 v104, 0, 1, vcc
	s_waitcnt vmcnt(12)
	v_cmp_ne_u16_e32 vcc, 0, v106
	s_nop 1
	v_cndmask_b32_e64 v106, 0, 1, vcc
	s_waitcnt vmcnt(11)
	;; [unrolled: 4-line block ×10, first 2 shown]
	v_cmp_ne_u16_e32 vcc, 0, v124
	s_nop 1
	v_cndmask_b32_e64 v124, 0, 1, vcc
	v_cmp_ne_u16_e32 vcc, 0, v127
	s_nop 1
	v_cndmask_b32_e64 v1, 0, 1, vcc
	v_cmp_ne_u16_e32 vcc, 0, v126
	s_nop 1
	v_cndmask_b32_e64 v2, 0, 1, vcc
	v_cmp_ne_u16_e32 vcc, 0, v128
	s_nop 1
	v_addc_co_u32_e32 v2, vcc, v1, v2, vcc
	v_lshl_add_u64 v[4:5], v[2:3], 0, v[4:5]
	v_lshl_add_u64 v[4:5], v[4:5], 0, v[6:7]
	;; [unrolled: 1-line block ×61, first 2 shown]
	v_mov_b32_dpp v7, v3 quad_perm:[1,0,3,2] row_mask:0xf bank_mask:0xf bound_ctrl:1
	v_mov_b32_e32 v6, v3
	v_mov_b32_dpp v2, v4 quad_perm:[1,0,3,2] row_mask:0xf bank_mask:0xf bound_ctrl:1
	v_lshl_add_u64 v[4:5], v[4:5], 0, v[2:3]
	v_lshl_add_u64 v[6:7], v[6:7], 0, v[4:5]
	v_mbcnt_lo_u32_b32 v1, -1, 0
	v_mov_b32_dpp v2, v4 quad_perm:[2,3,0,1] row_mask:0xf bank_mask:0xf bound_ctrl:1
	v_mov_b32_dpp v5, v7 quad_perm:[2,3,0,1] row_mask:0xf bank_mask:0xf bound_ctrl:1
	v_mov_b32_e32 v4, v3
	v_lshl_add_u64 v[6:7], v[6:7], 0, v[2:3]
	v_lshl_add_u64 v[4:5], v[6:7], 0, v[4:5]
	v_mbcnt_hi_u32_b32 v1, -1, v1
	v_mov_b32_dpp v2, v6 row_ror:4 row_mask:0xf bank_mask:0xf bound_ctrl:1
	v_mov_b32_dpp v7, v5 row_ror:4 row_mask:0xf bank_mask:0xf bound_ctrl:1
	v_mov_b32_e32 v6, v3
	v_lshl_add_u64 v[4:5], v[4:5], 0, v[2:3]
	v_lshl_add_u64 v[6:7], v[4:5], 0, v[6:7]
	v_cmp_eq_u32_e32 vcc, 0, v1
	v_mov_b32_dpp v2, v4 row_ror:8 row_mask:0xf bank_mask:0xf bound_ctrl:1
	v_mov_b32_dpp v5, v7 row_ror:8 row_mask:0xf bank_mask:0xf bound_ctrl:1
	v_mov_b32_e32 v4, v3
	v_lshl_add_u64 v[6:7], v[6:7], 0, v[2:3]
	v_lshl_add_u64 v[4:5], v[6:7], 0, v[4:5]
	s_nop 0
	v_mov_b32_dpp v2, v6 row_bcast:15 row_mask:0xf bank_mask:0xf bound_ctrl:1
	v_mov_b32_dpp v7, v5 row_bcast:15 row_mask:0xf bank_mask:0xf bound_ctrl:1
	v_mov_b32_e32 v6, v3
	v_lshl_add_u64 v[4:5], v[4:5], 0, v[2:3]
	v_lshl_add_u64 v[6:7], v[4:5], 0, v[6:7]
	s_nop 0
	v_mov_b32_dpp v2, v4 row_bcast:31 row_mask:0xf bank_mask:0xf bound_ctrl:1
	v_lshl_add_u64 v[2:3], v[6:7], 0, v[2:3]
	v_lshlrev_b32_e32 v4, 2, v1
	v_or_b32_e32 v5, 0xfc, v4
	v_add_u32_dpp v3, v7, v3 row_bcast:31 row_mask:0xf bank_mask:0xf bound_ctrl:1
	ds_bpermute_b32 v2, v5, v2
	ds_bpermute_b32 v3, v5, v3
	s_and_saveexec_b64 s[8:9], vcc
	s_cbranch_execz .LBB108_18
; %bb.17:
	v_lshrrev_b32_e32 v5, 3, v0
	v_and_b32_e32 v5, 24, v5
	s_waitcnt lgkmcnt(0)
	ds_write_b64 v5, v[2:3] offset:192
.LBB108_18:
	s_or_b64 exec, exec, s[8:9]
	v_cmp_gt_u32_e32 vcc, 64, v0
	s_waitcnt lgkmcnt(0)
	s_barrier
	s_and_saveexec_b64 s[8:9], vcc
	s_cbranch_execz .LBB108_20
; %bb.19:
	v_and_b32_e32 v5, 3, v1
	v_lshlrev_b32_e32 v2, 3, v5
	ds_read_b64 v[2:3], v2 offset:192
	v_cmp_ne_u32_e32 vcc, 3, v5
	v_mov_b32_e32 v8, 0
	v_mov_b32_e32 v7, v8
	v_addc_co_u32_e32 v1, vcc, 0, v1, vcc
	v_lshlrev_b32_e32 v1, 2, v1
	s_waitcnt lgkmcnt(0)
	ds_bpermute_b32 v6, v1, v2
	ds_bpermute_b32 v9, v1, v3
	v_or_b32_e32 v1, 8, v4
	s_waitcnt lgkmcnt(1)
	v_lshl_add_u64 v[2:3], v[2:3], 0, v[6:7]
	s_waitcnt lgkmcnt(0)
	v_lshl_add_u64 v[4:5], v[8:9], 0, v[2:3]
	ds_bpermute_b32 v2, v1, v2
	ds_bpermute_b32 v9, v1, v5
	v_mov_b32_e32 v3, v8
	s_waitcnt lgkmcnt(1)
	v_lshl_add_u64 v[2:3], v[4:5], 0, v[2:3]
	s_waitcnt lgkmcnt(0)
	v_lshl_add_u64 v[2:3], v[2:3], 0, v[8:9]
.LBB108_20:
	s_or_b64 exec, exec, s[8:9]
	s_mov_b64 s[8:9], 0
	s_branch .LBB108_290
.LBB108_21:
	s_mov_b64 s[4:5], -1
                                        ; implicit-def: $vgpr2_vgpr3
.LBB108_22:
	s_and_b64 vcc, exec, s[4:5]
	s_cbranch_vccz .LBB108_288
; %bb.23:
	s_sub_i32 s10, s36, s10
	v_cmp_gt_u32_e32 vcc, s10, v0
                                        ; implicit-def: $vgpr4_vgpr5
	s_and_saveexec_b64 s[4:5], vcc
	s_cbranch_execz .LBB108_25
; %bb.24:
	v_lshlrev_b32_e32 v1, 1, v0
	global_load_ushort v1, v1, s[8:9]
	s_mov_b32 s11, 0
	v_mov_b32_e32 v5, s11
	s_waitcnt vmcnt(0)
	v_cmp_ne_u16_e32 vcc, 0, v1
	s_nop 1
	v_cndmask_b32_e64 v4, 0, 1, vcc
.LBB108_25:
	s_or_b64 exec, exec, s[4:5]
	v_or_b32_e32 v1, 0x100, v0
	v_cmp_gt_u32_e32 vcc, s10, v1
	v_mov_b64_e32 v[2:3], 0
	v_mov_b64_e32 v[6:7], 0
	s_and_saveexec_b64 s[4:5], vcc
	s_cbranch_execz .LBB108_27
; %bb.26:
	v_lshlrev_b32_e32 v1, 1, v0
	global_load_ushort v1, v1, s[8:9] offset:512
	s_mov_b32 s11, 0
	v_mov_b32_e32 v7, s11
	s_waitcnt vmcnt(0)
	v_cmp_ne_u16_e32 vcc, 0, v1
	s_nop 1
	v_cndmask_b32_e64 v6, 0, 1, vcc
.LBB108_27:
	s_or_b64 exec, exec, s[4:5]
	v_or_b32_e32 v1, 0x200, v0
	v_cmp_gt_u32_e32 vcc, s10, v1
	s_and_saveexec_b64 s[4:5], vcc
	s_cbranch_execz .LBB108_29
; %bb.28:
	v_lshlrev_b32_e32 v1, 1, v0
	global_load_ushort v1, v1, s[8:9] offset:1024
	s_mov_b32 s11, 0
	v_mov_b32_e32 v3, s11
	s_waitcnt vmcnt(0)
	v_cmp_ne_u16_e32 vcc, 0, v1
	s_nop 1
	v_cndmask_b32_e64 v2, 0, 1, vcc
.LBB108_29:
	s_or_b64 exec, exec, s[4:5]
	v_or_b32_e32 v1, 0x300, v0
	v_cmp_gt_u32_e32 vcc, s10, v1
	v_mov_b64_e32 v[8:9], 0
	v_mov_b64_e32 v[10:11], 0
	s_and_saveexec_b64 s[4:5], vcc
	s_cbranch_execz .LBB108_31
; %bb.30:
	v_lshlrev_b32_e32 v1, 1, v0
	global_load_ushort v1, v1, s[8:9] offset:1536
	s_mov_b32 s11, 0
	v_mov_b32_e32 v11, s11
	s_waitcnt vmcnt(0)
	v_cmp_ne_u16_e32 vcc, 0, v1
	s_nop 1
	v_cndmask_b32_e64 v10, 0, 1, vcc
.LBB108_31:
	s_or_b64 exec, exec, s[4:5]
	v_or_b32_e32 v1, 0x400, v0
	v_cmp_gt_u32_e32 vcc, s10, v1
	s_and_saveexec_b64 s[4:5], vcc
	s_cbranch_execz .LBB108_33
; %bb.32:
	v_lshlrev_b32_e32 v1, 1, v0
	global_load_ushort v1, v1, s[8:9] offset:2048
	s_mov_b32 s11, 0
	v_mov_b32_e32 v9, s11
	s_waitcnt vmcnt(0)
	v_cmp_ne_u16_e32 vcc, 0, v1
	s_nop 1
	v_cndmask_b32_e64 v8, 0, 1, vcc
.LBB108_33:
	;; [unrolled: 32-line block ×3, first 2 shown]
	s_or_b64 exec, exec, s[4:5]
	v_or_b32_e32 v1, 0x700, v0
	v_cmp_gt_u32_e32 vcc, s10, v1
	v_mov_b64_e32 v[16:17], 0
	v_mov_b64_e32 v[18:19], 0
	s_and_saveexec_b64 s[4:5], vcc
	s_cbranch_execz .LBB108_39
; %bb.38:
	v_lshlrev_b32_e32 v1, 1, v0
	global_load_ushort v1, v1, s[8:9] offset:3584
	s_mov_b32 s11, 0
	v_mov_b32_e32 v19, s11
	s_waitcnt vmcnt(0)
	v_cmp_ne_u16_e32 vcc, 0, v1
	s_nop 1
	v_cndmask_b32_e64 v18, 0, 1, vcc
.LBB108_39:
	s_or_b64 exec, exec, s[4:5]
	v_or_b32_e32 v1, 0x800, v0
	v_cmp_gt_u32_e32 vcc, s10, v1
	s_and_saveexec_b64 s[4:5], vcc
	s_cbranch_execz .LBB108_41
; %bb.40:
	v_lshlrev_b32_e32 v1, 1, v1
	global_load_ushort v1, v1, s[8:9]
	s_mov_b32 s11, 0
	v_mov_b32_e32 v17, s11
	s_waitcnt vmcnt(0)
	v_cmp_ne_u16_e32 vcc, 0, v1
	s_nop 1
	v_cndmask_b32_e64 v16, 0, 1, vcc
.LBB108_41:
	s_or_b64 exec, exec, s[4:5]
	v_or_b32_e32 v1, 0x900, v0
	v_cmp_gt_u32_e32 vcc, s10, v1
	v_mov_b64_e32 v[20:21], 0
	v_mov_b64_e32 v[22:23], 0
	s_and_saveexec_b64 s[4:5], vcc
	s_cbranch_execz .LBB108_43
; %bb.42:
	v_lshlrev_b32_e32 v1, 1, v1
	global_load_ushort v1, v1, s[8:9]
	s_mov_b32 s11, 0
	v_mov_b32_e32 v23, s11
	s_waitcnt vmcnt(0)
	v_cmp_ne_u16_e32 vcc, 0, v1
	s_nop 1
	v_cndmask_b32_e64 v22, 0, 1, vcc
.LBB108_43:
	s_or_b64 exec, exec, s[4:5]
	v_or_b32_e32 v1, 0xa00, v0
	v_cmp_gt_u32_e32 vcc, s10, v1
	s_and_saveexec_b64 s[4:5], vcc
	s_cbranch_execz .LBB108_45
; %bb.44:
	v_lshlrev_b32_e32 v1, 1, v1
	global_load_ushort v1, v1, s[8:9]
	s_mov_b32 s11, 0
	v_mov_b32_e32 v21, s11
	s_waitcnt vmcnt(0)
	v_cmp_ne_u16_e32 vcc, 0, v1
	s_nop 1
	v_cndmask_b32_e64 v20, 0, 1, vcc
.LBB108_45:
	s_or_b64 exec, exec, s[4:5]
	v_or_b32_e32 v1, 0xb00, v0
	v_cmp_gt_u32_e32 vcc, s10, v1
	v_mov_b64_e32 v[24:25], 0
	v_mov_b64_e32 v[26:27], 0
	s_and_saveexec_b64 s[4:5], vcc
	s_cbranch_execz .LBB108_47
; %bb.46:
	v_lshlrev_b32_e32 v1, 1, v1
	global_load_ushort v1, v1, s[8:9]
	s_mov_b32 s11, 0
	v_mov_b32_e32 v27, s11
	s_waitcnt vmcnt(0)
	v_cmp_ne_u16_e32 vcc, 0, v1
	s_nop 1
	v_cndmask_b32_e64 v26, 0, 1, vcc
.LBB108_47:
	s_or_b64 exec, exec, s[4:5]
	v_or_b32_e32 v1, 0xc00, v0
	v_cmp_gt_u32_e32 vcc, s10, v1
	s_and_saveexec_b64 s[4:5], vcc
	s_cbranch_execz .LBB108_49
; %bb.48:
	v_lshlrev_b32_e32 v1, 1, v1
	global_load_ushort v1, v1, s[8:9]
	s_mov_b32 s11, 0
	v_mov_b32_e32 v25, s11
	s_waitcnt vmcnt(0)
	v_cmp_ne_u16_e32 vcc, 0, v1
	s_nop 1
	v_cndmask_b32_e64 v24, 0, 1, vcc
.LBB108_49:
	s_or_b64 exec, exec, s[4:5]
	v_or_b32_e32 v1, 0xd00, v0
	v_cmp_gt_u32_e32 vcc, s10, v1
	v_mov_b64_e32 v[28:29], 0
	v_mov_b64_e32 v[30:31], 0
	s_and_saveexec_b64 s[4:5], vcc
	s_cbranch_execz .LBB108_51
; %bb.50:
	v_lshlrev_b32_e32 v1, 1, v1
	global_load_ushort v1, v1, s[8:9]
	s_mov_b32 s11, 0
	v_mov_b32_e32 v31, s11
	s_waitcnt vmcnt(0)
	v_cmp_ne_u16_e32 vcc, 0, v1
	s_nop 1
	v_cndmask_b32_e64 v30, 0, 1, vcc
.LBB108_51:
	s_or_b64 exec, exec, s[4:5]
	v_or_b32_e32 v1, 0xe00, v0
	v_cmp_gt_u32_e32 vcc, s10, v1
	s_and_saveexec_b64 s[4:5], vcc
	s_cbranch_execz .LBB108_53
; %bb.52:
	v_lshlrev_b32_e32 v1, 1, v1
	global_load_ushort v1, v1, s[8:9]
	s_mov_b32 s11, 0
	v_mov_b32_e32 v29, s11
	s_waitcnt vmcnt(0)
	v_cmp_ne_u16_e32 vcc, 0, v1
	s_nop 1
	v_cndmask_b32_e64 v28, 0, 1, vcc
.LBB108_53:
	s_or_b64 exec, exec, s[4:5]
	v_or_b32_e32 v1, 0xf00, v0
	v_cmp_gt_u32_e32 vcc, s10, v1
	v_mov_b64_e32 v[32:33], 0
	v_mov_b64_e32 v[34:35], 0
	s_and_saveexec_b64 s[4:5], vcc
	s_cbranch_execz .LBB108_55
; %bb.54:
	v_lshlrev_b32_e32 v1, 1, v1
	global_load_ushort v1, v1, s[8:9]
	s_mov_b32 s11, 0
	v_mov_b32_e32 v35, s11
	s_waitcnt vmcnt(0)
	v_cmp_ne_u16_e32 vcc, 0, v1
	s_nop 1
	v_cndmask_b32_e64 v34, 0, 1, vcc
.LBB108_55:
	s_or_b64 exec, exec, s[4:5]
	v_or_b32_e32 v1, 0x1000, v0
	v_cmp_gt_u32_e32 vcc, s10, v1
	s_and_saveexec_b64 s[4:5], vcc
	s_cbranch_execz .LBB108_57
; %bb.56:
	v_lshlrev_b32_e32 v1, 1, v1
	global_load_ushort v1, v1, s[8:9]
	s_mov_b32 s11, 0
	v_mov_b32_e32 v33, s11
	s_waitcnt vmcnt(0)
	v_cmp_ne_u16_e32 vcc, 0, v1
	s_nop 1
	v_cndmask_b32_e64 v32, 0, 1, vcc
.LBB108_57:
	s_or_b64 exec, exec, s[4:5]
	v_or_b32_e32 v1, 0x1100, v0
	v_cmp_gt_u32_e32 vcc, s10, v1
	v_mov_b64_e32 v[36:37], 0
	v_mov_b64_e32 v[38:39], 0
	s_and_saveexec_b64 s[4:5], vcc
	s_cbranch_execz .LBB108_59
; %bb.58:
	v_lshlrev_b32_e32 v1, 1, v1
	global_load_ushort v1, v1, s[8:9]
	s_mov_b32 s11, 0
	v_mov_b32_e32 v39, s11
	s_waitcnt vmcnt(0)
	v_cmp_ne_u16_e32 vcc, 0, v1
	s_nop 1
	v_cndmask_b32_e64 v38, 0, 1, vcc
.LBB108_59:
	s_or_b64 exec, exec, s[4:5]
	v_or_b32_e32 v1, 0x1200, v0
	v_cmp_gt_u32_e32 vcc, s10, v1
	s_and_saveexec_b64 s[4:5], vcc
	s_cbranch_execz .LBB108_61
; %bb.60:
	v_lshlrev_b32_e32 v1, 1, v1
	global_load_ushort v1, v1, s[8:9]
	s_mov_b32 s11, 0
	v_mov_b32_e32 v37, s11
	s_waitcnt vmcnt(0)
	v_cmp_ne_u16_e32 vcc, 0, v1
	s_nop 1
	v_cndmask_b32_e64 v36, 0, 1, vcc
.LBB108_61:
	s_or_b64 exec, exec, s[4:5]
	v_or_b32_e32 v1, 0x1300, v0
	v_cmp_gt_u32_e32 vcc, s10, v1
	v_mov_b64_e32 v[40:41], 0
	v_mov_b64_e32 v[42:43], 0
	s_and_saveexec_b64 s[4:5], vcc
	s_cbranch_execz .LBB108_63
; %bb.62:
	v_lshlrev_b32_e32 v1, 1, v1
	global_load_ushort v1, v1, s[8:9]
	s_mov_b32 s11, 0
	v_mov_b32_e32 v43, s11
	s_waitcnt vmcnt(0)
	v_cmp_ne_u16_e32 vcc, 0, v1
	s_nop 1
	v_cndmask_b32_e64 v42, 0, 1, vcc
.LBB108_63:
	s_or_b64 exec, exec, s[4:5]
	v_or_b32_e32 v1, 0x1400, v0
	v_cmp_gt_u32_e32 vcc, s10, v1
	s_and_saveexec_b64 s[4:5], vcc
	s_cbranch_execz .LBB108_65
; %bb.64:
	v_lshlrev_b32_e32 v1, 1, v1
	global_load_ushort v1, v1, s[8:9]
	s_mov_b32 s11, 0
	v_mov_b32_e32 v41, s11
	s_waitcnt vmcnt(0)
	v_cmp_ne_u16_e32 vcc, 0, v1
	s_nop 1
	v_cndmask_b32_e64 v40, 0, 1, vcc
.LBB108_65:
	s_or_b64 exec, exec, s[4:5]
	v_or_b32_e32 v1, 0x1500, v0
	v_cmp_gt_u32_e32 vcc, s10, v1
	v_mov_b64_e32 v[44:45], 0
	v_mov_b64_e32 v[46:47], 0
	s_and_saveexec_b64 s[4:5], vcc
	s_cbranch_execz .LBB108_67
; %bb.66:
	v_lshlrev_b32_e32 v1, 1, v1
	global_load_ushort v1, v1, s[8:9]
	s_mov_b32 s11, 0
	v_mov_b32_e32 v47, s11
	s_waitcnt vmcnt(0)
	v_cmp_ne_u16_e32 vcc, 0, v1
	s_nop 1
	v_cndmask_b32_e64 v46, 0, 1, vcc
.LBB108_67:
	s_or_b64 exec, exec, s[4:5]
	v_or_b32_e32 v1, 0x1600, v0
	v_cmp_gt_u32_e32 vcc, s10, v1
	s_and_saveexec_b64 s[4:5], vcc
	s_cbranch_execz .LBB108_69
; %bb.68:
	v_lshlrev_b32_e32 v1, 1, v1
	global_load_ushort v1, v1, s[8:9]
	s_mov_b32 s11, 0
	v_mov_b32_e32 v45, s11
	s_waitcnt vmcnt(0)
	v_cmp_ne_u16_e32 vcc, 0, v1
	s_nop 1
	v_cndmask_b32_e64 v44, 0, 1, vcc
.LBB108_69:
	s_or_b64 exec, exec, s[4:5]
	v_or_b32_e32 v1, 0x1700, v0
	v_cmp_gt_u32_e32 vcc, s10, v1
	v_mov_b64_e32 v[48:49], 0
	v_mov_b64_e32 v[50:51], 0
	s_and_saveexec_b64 s[4:5], vcc
	s_cbranch_execz .LBB108_71
; %bb.70:
	v_lshlrev_b32_e32 v1, 1, v1
	global_load_ushort v1, v1, s[8:9]
	s_mov_b32 s11, 0
	v_mov_b32_e32 v51, s11
	s_waitcnt vmcnt(0)
	v_cmp_ne_u16_e32 vcc, 0, v1
	s_nop 1
	v_cndmask_b32_e64 v50, 0, 1, vcc
.LBB108_71:
	s_or_b64 exec, exec, s[4:5]
	v_or_b32_e32 v1, 0x1800, v0
	v_cmp_gt_u32_e32 vcc, s10, v1
	s_and_saveexec_b64 s[4:5], vcc
	s_cbranch_execz .LBB108_73
; %bb.72:
	v_lshlrev_b32_e32 v1, 1, v1
	global_load_ushort v1, v1, s[8:9]
	s_mov_b32 s11, 0
	v_mov_b32_e32 v49, s11
	s_waitcnt vmcnt(0)
	v_cmp_ne_u16_e32 vcc, 0, v1
	s_nop 1
	v_cndmask_b32_e64 v48, 0, 1, vcc
.LBB108_73:
	s_or_b64 exec, exec, s[4:5]
	v_or_b32_e32 v1, 0x1900, v0
	v_cmp_gt_u32_e32 vcc, s10, v1
	v_mov_b64_e32 v[52:53], 0
	v_mov_b64_e32 v[54:55], 0
	s_and_saveexec_b64 s[4:5], vcc
	s_cbranch_execz .LBB108_75
; %bb.74:
	v_lshlrev_b32_e32 v1, 1, v1
	global_load_ushort v1, v1, s[8:9]
	s_mov_b32 s11, 0
	v_mov_b32_e32 v55, s11
	s_waitcnt vmcnt(0)
	v_cmp_ne_u16_e32 vcc, 0, v1
	s_nop 1
	v_cndmask_b32_e64 v54, 0, 1, vcc
.LBB108_75:
	s_or_b64 exec, exec, s[4:5]
	v_or_b32_e32 v1, 0x1a00, v0
	v_cmp_gt_u32_e32 vcc, s10, v1
	s_and_saveexec_b64 s[4:5], vcc
	s_cbranch_execz .LBB108_77
; %bb.76:
	v_lshlrev_b32_e32 v1, 1, v1
	global_load_ushort v1, v1, s[8:9]
	s_mov_b32 s11, 0
	v_mov_b32_e32 v53, s11
	s_waitcnt vmcnt(0)
	v_cmp_ne_u16_e32 vcc, 0, v1
	s_nop 1
	v_cndmask_b32_e64 v52, 0, 1, vcc
.LBB108_77:
	s_or_b64 exec, exec, s[4:5]
	v_or_b32_e32 v1, 0x1b00, v0
	v_cmp_gt_u32_e32 vcc, s10, v1
	v_mov_b64_e32 v[56:57], 0
	v_mov_b64_e32 v[58:59], 0
	s_and_saveexec_b64 s[4:5], vcc
	s_cbranch_execz .LBB108_79
; %bb.78:
	v_lshlrev_b32_e32 v1, 1, v1
	global_load_ushort v1, v1, s[8:9]
	s_mov_b32 s11, 0
	v_mov_b32_e32 v59, s11
	s_waitcnt vmcnt(0)
	v_cmp_ne_u16_e32 vcc, 0, v1
	s_nop 1
	v_cndmask_b32_e64 v58, 0, 1, vcc
.LBB108_79:
	s_or_b64 exec, exec, s[4:5]
	v_or_b32_e32 v1, 0x1c00, v0
	v_cmp_gt_u32_e32 vcc, s10, v1
	s_and_saveexec_b64 s[4:5], vcc
	s_cbranch_execz .LBB108_81
; %bb.80:
	v_lshlrev_b32_e32 v1, 1, v1
	global_load_ushort v1, v1, s[8:9]
	s_mov_b32 s11, 0
	v_mov_b32_e32 v57, s11
	s_waitcnt vmcnt(0)
	v_cmp_ne_u16_e32 vcc, 0, v1
	s_nop 1
	v_cndmask_b32_e64 v56, 0, 1, vcc
.LBB108_81:
	s_or_b64 exec, exec, s[4:5]
	v_or_b32_e32 v1, 0x1d00, v0
	v_cmp_gt_u32_e32 vcc, s10, v1
	v_mov_b64_e32 v[60:61], 0
	v_mov_b64_e32 v[62:63], 0
	s_and_saveexec_b64 s[4:5], vcc
	s_cbranch_execz .LBB108_83
; %bb.82:
	v_lshlrev_b32_e32 v1, 1, v1
	global_load_ushort v1, v1, s[8:9]
	s_mov_b32 s11, 0
	v_mov_b32_e32 v63, s11
	s_waitcnt vmcnt(0)
	v_cmp_ne_u16_e32 vcc, 0, v1
	s_nop 1
	v_cndmask_b32_e64 v62, 0, 1, vcc
.LBB108_83:
	s_or_b64 exec, exec, s[4:5]
	v_or_b32_e32 v1, 0x1e00, v0
	v_cmp_gt_u32_e32 vcc, s10, v1
	s_and_saveexec_b64 s[4:5], vcc
	s_cbranch_execz .LBB108_85
; %bb.84:
	v_lshlrev_b32_e32 v1, 1, v1
	global_load_ushort v1, v1, s[8:9]
	s_mov_b32 s11, 0
	v_mov_b32_e32 v61, s11
	s_waitcnt vmcnt(0)
	v_cmp_ne_u16_e32 vcc, 0, v1
	s_nop 1
	v_cndmask_b32_e64 v60, 0, 1, vcc
.LBB108_85:
	s_or_b64 exec, exec, s[4:5]
	v_or_b32_e32 v1, 0x1f00, v0
	v_cmp_gt_u32_e32 vcc, s10, v1
	v_mov_b64_e32 v[64:65], 0
	v_mov_b64_e32 v[66:67], 0
	s_and_saveexec_b64 s[4:5], vcc
	s_cbranch_execz .LBB108_87
; %bb.86:
	v_lshlrev_b32_e32 v1, 1, v1
	global_load_ushort v1, v1, s[8:9]
	s_mov_b32 s11, 0
	v_mov_b32_e32 v67, s11
	s_waitcnt vmcnt(0)
	v_cmp_ne_u16_e32 vcc, 0, v1
	s_nop 1
	v_cndmask_b32_e64 v66, 0, 1, vcc
.LBB108_87:
	s_or_b64 exec, exec, s[4:5]
	v_or_b32_e32 v1, 0x2000, v0
	v_cmp_gt_u32_e32 vcc, s10, v1
	s_and_saveexec_b64 s[4:5], vcc
	s_cbranch_execz .LBB108_89
; %bb.88:
	v_lshlrev_b32_e32 v1, 1, v1
	global_load_ushort v1, v1, s[8:9]
	s_mov_b32 s11, 0
	v_mov_b32_e32 v65, s11
	s_waitcnt vmcnt(0)
	v_cmp_ne_u16_e32 vcc, 0, v1
	s_nop 1
	v_cndmask_b32_e64 v64, 0, 1, vcc
.LBB108_89:
	s_or_b64 exec, exec, s[4:5]
	v_or_b32_e32 v1, 0x2100, v0
	v_cmp_gt_u32_e32 vcc, s10, v1
	v_mov_b64_e32 v[68:69], 0
	v_mov_b64_e32 v[70:71], 0
	s_and_saveexec_b64 s[4:5], vcc
	s_cbranch_execz .LBB108_91
; %bb.90:
	v_lshlrev_b32_e32 v1, 1, v1
	global_load_ushort v1, v1, s[8:9]
	s_mov_b32 s11, 0
	v_mov_b32_e32 v71, s11
	s_waitcnt vmcnt(0)
	v_cmp_ne_u16_e32 vcc, 0, v1
	s_nop 1
	v_cndmask_b32_e64 v70, 0, 1, vcc
.LBB108_91:
	s_or_b64 exec, exec, s[4:5]
	v_or_b32_e32 v1, 0x2200, v0
	v_cmp_gt_u32_e32 vcc, s10, v1
	s_and_saveexec_b64 s[4:5], vcc
	s_cbranch_execz .LBB108_93
; %bb.92:
	v_lshlrev_b32_e32 v1, 1, v1
	global_load_ushort v1, v1, s[8:9]
	s_mov_b32 s11, 0
	v_mov_b32_e32 v69, s11
	s_waitcnt vmcnt(0)
	v_cmp_ne_u16_e32 vcc, 0, v1
	s_nop 1
	v_cndmask_b32_e64 v68, 0, 1, vcc
.LBB108_93:
	s_or_b64 exec, exec, s[4:5]
	v_or_b32_e32 v1, 0x2300, v0
	v_cmp_gt_u32_e32 vcc, s10, v1
	v_mov_b64_e32 v[72:73], 0
	v_mov_b64_e32 v[74:75], 0
	s_and_saveexec_b64 s[4:5], vcc
	s_cbranch_execz .LBB108_95
; %bb.94:
	v_lshlrev_b32_e32 v1, 1, v1
	global_load_ushort v1, v1, s[8:9]
	s_mov_b32 s11, 0
	v_mov_b32_e32 v75, s11
	s_waitcnt vmcnt(0)
	v_cmp_ne_u16_e32 vcc, 0, v1
	s_nop 1
	v_cndmask_b32_e64 v74, 0, 1, vcc
.LBB108_95:
	s_or_b64 exec, exec, s[4:5]
	v_or_b32_e32 v1, 0x2400, v0
	v_cmp_gt_u32_e32 vcc, s10, v1
	s_and_saveexec_b64 s[4:5], vcc
	s_cbranch_execz .LBB108_97
; %bb.96:
	v_lshlrev_b32_e32 v1, 1, v1
	global_load_ushort v1, v1, s[8:9]
	s_mov_b32 s11, 0
	v_mov_b32_e32 v73, s11
	s_waitcnt vmcnt(0)
	v_cmp_ne_u16_e32 vcc, 0, v1
	s_nop 1
	v_cndmask_b32_e64 v72, 0, 1, vcc
.LBB108_97:
	s_or_b64 exec, exec, s[4:5]
	v_or_b32_e32 v1, 0x2500, v0
	v_cmp_gt_u32_e32 vcc, s10, v1
	v_mov_b64_e32 v[76:77], 0
	v_mov_b64_e32 v[78:79], 0
	s_and_saveexec_b64 s[4:5], vcc
	s_cbranch_execz .LBB108_99
; %bb.98:
	v_lshlrev_b32_e32 v1, 1, v1
	global_load_ushort v1, v1, s[8:9]
	s_mov_b32 s11, 0
	v_mov_b32_e32 v79, s11
	s_waitcnt vmcnt(0)
	v_cmp_ne_u16_e32 vcc, 0, v1
	s_nop 1
	v_cndmask_b32_e64 v78, 0, 1, vcc
.LBB108_99:
	s_or_b64 exec, exec, s[4:5]
	v_or_b32_e32 v1, 0x2600, v0
	v_cmp_gt_u32_e32 vcc, s10, v1
	s_and_saveexec_b64 s[4:5], vcc
	s_cbranch_execz .LBB108_101
; %bb.100:
	v_lshlrev_b32_e32 v1, 1, v1
	global_load_ushort v1, v1, s[8:9]
	s_mov_b32 s11, 0
	v_mov_b32_e32 v77, s11
	s_waitcnt vmcnt(0)
	v_cmp_ne_u16_e32 vcc, 0, v1
	s_nop 1
	v_cndmask_b32_e64 v76, 0, 1, vcc
.LBB108_101:
	s_or_b64 exec, exec, s[4:5]
	v_or_b32_e32 v1, 0x2700, v0
	v_cmp_gt_u32_e32 vcc, s10, v1
	v_mov_b64_e32 v[80:81], 0
	v_mov_b64_e32 v[82:83], 0
	s_and_saveexec_b64 s[4:5], vcc
	s_cbranch_execz .LBB108_103
; %bb.102:
	v_lshlrev_b32_e32 v1, 1, v1
	global_load_ushort v1, v1, s[8:9]
	s_mov_b32 s11, 0
	v_mov_b32_e32 v83, s11
	s_waitcnt vmcnt(0)
	v_cmp_ne_u16_e32 vcc, 0, v1
	s_nop 1
	v_cndmask_b32_e64 v82, 0, 1, vcc
.LBB108_103:
	s_or_b64 exec, exec, s[4:5]
	v_or_b32_e32 v1, 0x2800, v0
	v_cmp_gt_u32_e32 vcc, s10, v1
	s_and_saveexec_b64 s[4:5], vcc
	s_cbranch_execz .LBB108_105
; %bb.104:
	v_lshlrev_b32_e32 v1, 1, v1
	global_load_ushort v1, v1, s[8:9]
	s_mov_b32 s11, 0
	v_mov_b32_e32 v81, s11
	s_waitcnt vmcnt(0)
	v_cmp_ne_u16_e32 vcc, 0, v1
	s_nop 1
	v_cndmask_b32_e64 v80, 0, 1, vcc
.LBB108_105:
	s_or_b64 exec, exec, s[4:5]
	v_or_b32_e32 v1, 0x2900, v0
	v_cmp_gt_u32_e32 vcc, s10, v1
	v_mov_b64_e32 v[84:85], 0
	v_mov_b64_e32 v[86:87], 0
	s_and_saveexec_b64 s[4:5], vcc
	s_cbranch_execz .LBB108_107
; %bb.106:
	v_lshlrev_b32_e32 v1, 1, v1
	global_load_ushort v1, v1, s[8:9]
	s_mov_b32 s11, 0
	v_mov_b32_e32 v87, s11
	s_waitcnt vmcnt(0)
	v_cmp_ne_u16_e32 vcc, 0, v1
	s_nop 1
	v_cndmask_b32_e64 v86, 0, 1, vcc
.LBB108_107:
	s_or_b64 exec, exec, s[4:5]
	v_or_b32_e32 v1, 0x2a00, v0
	v_cmp_gt_u32_e32 vcc, s10, v1
	s_and_saveexec_b64 s[4:5], vcc
	s_cbranch_execz .LBB108_109
; %bb.108:
	v_lshlrev_b32_e32 v1, 1, v1
	global_load_ushort v1, v1, s[8:9]
	s_mov_b32 s11, 0
	v_mov_b32_e32 v85, s11
	s_waitcnt vmcnt(0)
	v_cmp_ne_u16_e32 vcc, 0, v1
	s_nop 1
	v_cndmask_b32_e64 v84, 0, 1, vcc
.LBB108_109:
	s_or_b64 exec, exec, s[4:5]
	v_or_b32_e32 v1, 0x2b00, v0
	v_cmp_gt_u32_e32 vcc, s10, v1
	v_mov_b64_e32 v[88:89], 0
	v_mov_b64_e32 v[90:91], 0
	s_and_saveexec_b64 s[4:5], vcc
	s_cbranch_execz .LBB108_111
; %bb.110:
	v_lshlrev_b32_e32 v1, 1, v1
	global_load_ushort v1, v1, s[8:9]
	s_mov_b32 s11, 0
	v_mov_b32_e32 v91, s11
	s_waitcnt vmcnt(0)
	v_cmp_ne_u16_e32 vcc, 0, v1
	s_nop 1
	v_cndmask_b32_e64 v90, 0, 1, vcc
.LBB108_111:
	s_or_b64 exec, exec, s[4:5]
	v_or_b32_e32 v1, 0x2c00, v0
	v_cmp_gt_u32_e32 vcc, s10, v1
	s_and_saveexec_b64 s[4:5], vcc
	s_cbranch_execz .LBB108_113
; %bb.112:
	v_lshlrev_b32_e32 v1, 1, v1
	global_load_ushort v1, v1, s[8:9]
	s_mov_b32 s11, 0
	v_mov_b32_e32 v89, s11
	s_waitcnt vmcnt(0)
	v_cmp_ne_u16_e32 vcc, 0, v1
	s_nop 1
	v_cndmask_b32_e64 v88, 0, 1, vcc
.LBB108_113:
	s_or_b64 exec, exec, s[4:5]
	v_or_b32_e32 v1, 0x2d00, v0
	v_cmp_gt_u32_e32 vcc, s10, v1
	v_mov_b64_e32 v[92:93], 0
	v_mov_b64_e32 v[94:95], 0
	s_and_saveexec_b64 s[4:5], vcc
	s_cbranch_execz .LBB108_115
; %bb.114:
	v_lshlrev_b32_e32 v1, 1, v1
	global_load_ushort v1, v1, s[8:9]
	s_mov_b32 s11, 0
	v_mov_b32_e32 v95, s11
	s_waitcnt vmcnt(0)
	v_cmp_ne_u16_e32 vcc, 0, v1
	s_nop 1
	v_cndmask_b32_e64 v94, 0, 1, vcc
.LBB108_115:
	s_or_b64 exec, exec, s[4:5]
	v_or_b32_e32 v1, 0x2e00, v0
	v_cmp_gt_u32_e32 vcc, s10, v1
	s_and_saveexec_b64 s[4:5], vcc
	s_cbranch_execz .LBB108_117
; %bb.116:
	v_lshlrev_b32_e32 v1, 1, v1
	global_load_ushort v1, v1, s[8:9]
	s_mov_b32 s11, 0
	v_mov_b32_e32 v93, s11
	s_waitcnt vmcnt(0)
	v_cmp_ne_u16_e32 vcc, 0, v1
	s_nop 1
	v_cndmask_b32_e64 v92, 0, 1, vcc
.LBB108_117:
	s_or_b64 exec, exec, s[4:5]
	v_or_b32_e32 v1, 0x2f00, v0
	v_cmp_gt_u32_e32 vcc, s10, v1
	v_mov_b64_e32 v[96:97], 0
	v_mov_b64_e32 v[98:99], 0
	s_and_saveexec_b64 s[4:5], vcc
	s_cbranch_execz .LBB108_119
; %bb.118:
	v_lshlrev_b32_e32 v1, 1, v1
	global_load_ushort v1, v1, s[8:9]
	s_mov_b32 s11, 0
	v_mov_b32_e32 v99, s11
	s_waitcnt vmcnt(0)
	v_cmp_ne_u16_e32 vcc, 0, v1
	s_nop 1
	v_cndmask_b32_e64 v98, 0, 1, vcc
.LBB108_119:
	s_or_b64 exec, exec, s[4:5]
	v_or_b32_e32 v1, 0x3000, v0
	v_cmp_gt_u32_e32 vcc, s10, v1
	s_and_saveexec_b64 s[4:5], vcc
	s_cbranch_execz .LBB108_121
; %bb.120:
	v_lshlrev_b32_e32 v1, 1, v1
	global_load_ushort v1, v1, s[8:9]
	s_mov_b32 s11, 0
	v_mov_b32_e32 v97, s11
	s_waitcnt vmcnt(0)
	v_cmp_ne_u16_e32 vcc, 0, v1
	s_nop 1
	v_cndmask_b32_e64 v96, 0, 1, vcc
.LBB108_121:
	s_or_b64 exec, exec, s[4:5]
	v_or_b32_e32 v1, 0x3100, v0
	v_cmp_gt_u32_e32 vcc, s10, v1
	v_mov_b64_e32 v[100:101], 0
	v_mov_b64_e32 v[102:103], 0
	s_and_saveexec_b64 s[4:5], vcc
	s_cbranch_execz .LBB108_123
; %bb.122:
	v_lshlrev_b32_e32 v1, 1, v1
	global_load_ushort v1, v1, s[8:9]
	s_mov_b32 s11, 0
	v_mov_b32_e32 v103, s11
	s_waitcnt vmcnt(0)
	v_cmp_ne_u16_e32 vcc, 0, v1
	s_nop 1
	v_cndmask_b32_e64 v102, 0, 1, vcc
.LBB108_123:
	s_or_b64 exec, exec, s[4:5]
	v_or_b32_e32 v1, 0x3200, v0
	v_cmp_gt_u32_e32 vcc, s10, v1
	s_and_saveexec_b64 s[4:5], vcc
	s_cbranch_execz .LBB108_125
; %bb.124:
	v_lshlrev_b32_e32 v1, 1, v1
	global_load_ushort v1, v1, s[8:9]
	s_mov_b32 s11, 0
	v_mov_b32_e32 v101, s11
	s_waitcnt vmcnt(0)
	v_cmp_ne_u16_e32 vcc, 0, v1
	s_nop 1
	v_cndmask_b32_e64 v100, 0, 1, vcc
.LBB108_125:
	s_or_b64 exec, exec, s[4:5]
	v_or_b32_e32 v1, 0x3300, v0
	v_cmp_gt_u32_e32 vcc, s10, v1
	v_mov_b64_e32 v[104:105], 0
	v_mov_b64_e32 v[106:107], 0
	s_and_saveexec_b64 s[4:5], vcc
	s_cbranch_execz .LBB108_127
; %bb.126:
	v_lshlrev_b32_e32 v1, 1, v1
	global_load_ushort v1, v1, s[8:9]
	s_mov_b32 s11, 0
	v_mov_b32_e32 v107, s11
	s_waitcnt vmcnt(0)
	v_cmp_ne_u16_e32 vcc, 0, v1
	s_nop 1
	v_cndmask_b32_e64 v106, 0, 1, vcc
.LBB108_127:
	s_or_b64 exec, exec, s[4:5]
	v_or_b32_e32 v1, 0x3400, v0
	v_cmp_gt_u32_e32 vcc, s10, v1
	s_and_saveexec_b64 s[4:5], vcc
	s_cbranch_execz .LBB108_129
; %bb.128:
	v_lshlrev_b32_e32 v1, 1, v1
	global_load_ushort v1, v1, s[8:9]
	s_mov_b32 s11, 0
	v_mov_b32_e32 v105, s11
	s_waitcnt vmcnt(0)
	v_cmp_ne_u16_e32 vcc, 0, v1
	s_nop 1
	v_cndmask_b32_e64 v104, 0, 1, vcc
.LBB108_129:
	s_or_b64 exec, exec, s[4:5]
	v_or_b32_e32 v1, 0x3500, v0
	v_cmp_gt_u32_e32 vcc, s10, v1
	v_mov_b64_e32 v[108:109], 0
	v_mov_b64_e32 v[110:111], 0
	s_and_saveexec_b64 s[4:5], vcc
	s_cbranch_execz .LBB108_131
; %bb.130:
	v_lshlrev_b32_e32 v1, 1, v1
	global_load_ushort v1, v1, s[8:9]
	s_mov_b32 s11, 0
	v_mov_b32_e32 v111, s11
	s_waitcnt vmcnt(0)
	v_cmp_ne_u16_e32 vcc, 0, v1
	s_nop 1
	v_cndmask_b32_e64 v110, 0, 1, vcc
.LBB108_131:
	s_or_b64 exec, exec, s[4:5]
	v_or_b32_e32 v1, 0x3600, v0
	v_cmp_gt_u32_e32 vcc, s10, v1
	s_and_saveexec_b64 s[4:5], vcc
	s_cbranch_execz .LBB108_133
; %bb.132:
	v_lshlrev_b32_e32 v1, 1, v1
	global_load_ushort v1, v1, s[8:9]
	s_mov_b32 s11, 0
	v_mov_b32_e32 v109, s11
	s_waitcnt vmcnt(0)
	v_cmp_ne_u16_e32 vcc, 0, v1
	s_nop 1
	v_cndmask_b32_e64 v108, 0, 1, vcc
.LBB108_133:
	s_or_b64 exec, exec, s[4:5]
	v_or_b32_e32 v1, 0x3700, v0
	v_cmp_gt_u32_e32 vcc, s10, v1
	v_mov_b64_e32 v[112:113], 0
	v_mov_b64_e32 v[114:115], 0
	s_and_saveexec_b64 s[4:5], vcc
	s_cbranch_execz .LBB108_135
; %bb.134:
	v_lshlrev_b32_e32 v1, 1, v1
	global_load_ushort v1, v1, s[8:9]
	s_mov_b32 s11, 0
	v_mov_b32_e32 v115, s11
	s_waitcnt vmcnt(0)
	v_cmp_ne_u16_e32 vcc, 0, v1
	s_nop 1
	v_cndmask_b32_e64 v114, 0, 1, vcc
.LBB108_135:
	s_or_b64 exec, exec, s[4:5]
	v_or_b32_e32 v1, 0x3800, v0
	v_cmp_gt_u32_e32 vcc, s10, v1
	s_and_saveexec_b64 s[4:5], vcc
	s_cbranch_execz .LBB108_137
; %bb.136:
	v_lshlrev_b32_e32 v1, 1, v1
	global_load_ushort v1, v1, s[8:9]
	s_mov_b32 s11, 0
	v_mov_b32_e32 v113, s11
	s_waitcnt vmcnt(0)
	v_cmp_ne_u16_e32 vcc, 0, v1
	s_nop 1
	v_cndmask_b32_e64 v112, 0, 1, vcc
.LBB108_137:
	s_or_b64 exec, exec, s[4:5]
	v_or_b32_e32 v1, 0x3900, v0
	v_cmp_gt_u32_e32 vcc, s10, v1
	v_mov_b64_e32 v[116:117], 0
	v_mov_b64_e32 v[118:119], 0
	s_and_saveexec_b64 s[4:5], vcc
	s_cbranch_execz .LBB108_139
; %bb.138:
	v_lshlrev_b32_e32 v1, 1, v1
	global_load_ushort v1, v1, s[8:9]
	s_mov_b32 s11, 0
	v_mov_b32_e32 v119, s11
	s_waitcnt vmcnt(0)
	v_cmp_ne_u16_e32 vcc, 0, v1
	s_nop 1
	v_cndmask_b32_e64 v118, 0, 1, vcc
.LBB108_139:
	s_or_b64 exec, exec, s[4:5]
	v_or_b32_e32 v1, 0x3a00, v0
	v_cmp_gt_u32_e32 vcc, s10, v1
	s_and_saveexec_b64 s[4:5], vcc
	s_cbranch_execz .LBB108_141
; %bb.140:
	v_lshlrev_b32_e32 v1, 1, v1
	global_load_ushort v1, v1, s[8:9]
	s_mov_b32 s11, 0
	v_mov_b32_e32 v117, s11
	s_waitcnt vmcnt(0)
	v_cmp_ne_u16_e32 vcc, 0, v1
	s_nop 1
	v_cndmask_b32_e64 v116, 0, 1, vcc
.LBB108_141:
	s_or_b64 exec, exec, s[4:5]
	v_or_b32_e32 v1, 0x3b00, v0
	v_cmp_gt_u32_e32 vcc, s10, v1
	v_mov_b64_e32 v[120:121], 0
	v_mov_b64_e32 v[122:123], 0
	s_and_saveexec_b64 s[4:5], vcc
	s_cbranch_execz .LBB108_143
; %bb.142:
	v_lshlrev_b32_e32 v1, 1, v1
	global_load_ushort v1, v1, s[8:9]
	s_mov_b32 s11, 0
	v_mov_b32_e32 v123, s11
	s_waitcnt vmcnt(0)
	v_cmp_ne_u16_e32 vcc, 0, v1
	s_nop 1
	v_cndmask_b32_e64 v122, 0, 1, vcc
.LBB108_143:
	s_or_b64 exec, exec, s[4:5]
	v_or_b32_e32 v1, 0x3c00, v0
	v_cmp_gt_u32_e32 vcc, s10, v1
	s_and_saveexec_b64 s[4:5], vcc
	s_cbranch_execz .LBB108_145
; %bb.144:
	v_lshlrev_b32_e32 v1, 1, v1
	global_load_ushort v1, v1, s[8:9]
	s_mov_b32 s11, 0
	v_mov_b32_e32 v121, s11
	s_waitcnt vmcnt(0)
	v_cmp_ne_u16_e32 vcc, 0, v1
	s_nop 1
	v_cndmask_b32_e64 v120, 0, 1, vcc
.LBB108_145:
	s_or_b64 exec, exec, s[4:5]
	v_or_b32_e32 v1, 0x3d00, v0
	v_cmp_gt_u32_e32 vcc, s10, v1
	v_mov_b64_e32 v[124:125], 0
	v_mov_b64_e32 v[126:127], 0
	s_and_saveexec_b64 s[4:5], vcc
	s_cbranch_execz .LBB108_147
; %bb.146:
	v_lshlrev_b32_e32 v1, 1, v1
	global_load_ushort v1, v1, s[8:9]
	s_mov_b32 s11, 0
	v_mov_b32_e32 v127, s11
	s_waitcnt vmcnt(0)
	v_cmp_ne_u16_e32 vcc, 0, v1
	s_nop 1
	v_cndmask_b32_e64 v126, 0, 1, vcc
.LBB108_147:
	s_or_b64 exec, exec, s[4:5]
	v_or_b32_e32 v1, 0x3e00, v0
	v_cmp_gt_u32_e32 vcc, s10, v1
	s_and_saveexec_b64 s[4:5], vcc
	s_cbranch_execz .LBB108_149
; %bb.148:
	v_lshlrev_b32_e32 v1, 1, v1
	global_load_ushort v1, v1, s[8:9]
	s_mov_b32 s11, 0
	v_mov_b32_e32 v125, s11
	s_waitcnt vmcnt(0)
	v_cmp_ne_u16_e32 vcc, 0, v1
	s_nop 1
	v_cndmask_b32_e64 v124, 0, 1, vcc
.LBB108_149:
	s_or_b64 exec, exec, s[4:5]
	v_or_b32_e32 v1, 0x3f00, v0
	v_cmp_gt_u32_e32 vcc, s10, v1
	v_mov_b64_e32 v[128:129], 0
	v_mov_b64_e32 v[130:131], 0
	s_and_saveexec_b64 s[4:5], vcc
	s_cbranch_execz .LBB108_151
; %bb.150:
	v_lshlrev_b32_e32 v1, 1, v1
	global_load_ushort v1, v1, s[8:9]
	s_mov_b32 s11, 0
	v_mov_b32_e32 v131, s11
	s_waitcnt vmcnt(0)
	v_cmp_ne_u16_e32 vcc, 0, v1
	s_nop 1
	v_cndmask_b32_e64 v130, 0, 1, vcc
.LBB108_151:
	s_or_b64 exec, exec, s[4:5]
	v_or_b32_e32 v1, 0x4000, v0
	v_cmp_gt_u32_e32 vcc, s10, v1
	s_and_saveexec_b64 s[4:5], vcc
	s_cbranch_execz .LBB108_153
; %bb.152:
	v_lshlrev_b32_e32 v1, 1, v1
	global_load_ushort v1, v1, s[8:9]
	s_mov_b32 s11, 0
	v_mov_b32_e32 v129, s11
	s_waitcnt vmcnt(0)
	v_cmp_ne_u16_e32 vcc, 0, v1
	s_nop 1
	v_cndmask_b32_e64 v128, 0, 1, vcc
.LBB108_153:
	s_or_b64 exec, exec, s[4:5]
	v_or_b32_e32 v1, 0x4100, v0
	v_cmp_gt_u32_e32 vcc, s10, v1
	v_mov_b64_e32 v[132:133], 0
	v_mov_b64_e32 v[134:135], 0
	s_and_saveexec_b64 s[4:5], vcc
	s_cbranch_execz .LBB108_155
; %bb.154:
	v_lshlrev_b32_e32 v1, 1, v1
	global_load_ushort v1, v1, s[8:9]
	s_mov_b32 s11, 0
	v_mov_b32_e32 v135, s11
	s_waitcnt vmcnt(0)
	v_cmp_ne_u16_e32 vcc, 0, v1
	s_nop 1
	v_cndmask_b32_e64 v134, 0, 1, vcc
.LBB108_155:
	s_or_b64 exec, exec, s[4:5]
	v_or_b32_e32 v1, 0x4200, v0
	v_cmp_gt_u32_e32 vcc, s10, v1
	s_and_saveexec_b64 s[4:5], vcc
	s_cbranch_execz .LBB108_157
; %bb.156:
	v_lshlrev_b32_e32 v1, 1, v1
	global_load_ushort v1, v1, s[8:9]
	s_mov_b32 s11, 0
	v_mov_b32_e32 v133, s11
	s_waitcnt vmcnt(0)
	v_cmp_ne_u16_e32 vcc, 0, v1
	s_nop 1
	v_cndmask_b32_e64 v132, 0, 1, vcc
.LBB108_157:
	s_or_b64 exec, exec, s[4:5]
	v_or_b32_e32 v1, 0x4300, v0
	v_cmp_gt_u32_e32 vcc, s10, v1
	v_mov_b64_e32 v[136:137], 0
	v_mov_b64_e32 v[138:139], 0
	s_and_saveexec_b64 s[4:5], vcc
	s_cbranch_execz .LBB108_159
; %bb.158:
	v_lshlrev_b32_e32 v1, 1, v1
	global_load_ushort v1, v1, s[8:9]
	s_mov_b32 s11, 0
	v_mov_b32_e32 v139, s11
	s_waitcnt vmcnt(0)
	v_cmp_ne_u16_e32 vcc, 0, v1
	s_nop 1
	v_cndmask_b32_e64 v138, 0, 1, vcc
.LBB108_159:
	s_or_b64 exec, exec, s[4:5]
	v_or_b32_e32 v1, 0x4400, v0
	v_cmp_gt_u32_e32 vcc, s10, v1
	s_and_saveexec_b64 s[4:5], vcc
	s_cbranch_execz .LBB108_161
; %bb.160:
	v_lshlrev_b32_e32 v1, 1, v1
	global_load_ushort v1, v1, s[8:9]
	s_mov_b32 s11, 0
	v_mov_b32_e32 v137, s11
	s_waitcnt vmcnt(0)
	v_cmp_ne_u16_e32 vcc, 0, v1
	s_nop 1
	v_cndmask_b32_e64 v136, 0, 1, vcc
.LBB108_161:
	s_or_b64 exec, exec, s[4:5]
	v_or_b32_e32 v1, 0x4500, v0
	v_cmp_gt_u32_e32 vcc, s10, v1
	v_mov_b64_e32 v[140:141], 0
	v_mov_b64_e32 v[142:143], 0
	s_and_saveexec_b64 s[4:5], vcc
	s_cbranch_execz .LBB108_163
; %bb.162:
	v_lshlrev_b32_e32 v1, 1, v1
	global_load_ushort v1, v1, s[8:9]
	s_mov_b32 s11, 0
	v_mov_b32_e32 v143, s11
	s_waitcnt vmcnt(0)
	v_cmp_ne_u16_e32 vcc, 0, v1
	s_nop 1
	v_cndmask_b32_e64 v142, 0, 1, vcc
.LBB108_163:
	s_or_b64 exec, exec, s[4:5]
	v_or_b32_e32 v1, 0x4600, v0
	v_cmp_gt_u32_e32 vcc, s10, v1
	s_and_saveexec_b64 s[4:5], vcc
	s_cbranch_execz .LBB108_165
; %bb.164:
	v_lshlrev_b32_e32 v1, 1, v1
	global_load_ushort v1, v1, s[8:9]
	s_mov_b32 s11, 0
	v_mov_b32_e32 v141, s11
	s_waitcnt vmcnt(0)
	v_cmp_ne_u16_e32 vcc, 0, v1
	s_nop 1
	v_cndmask_b32_e64 v140, 0, 1, vcc
.LBB108_165:
	s_or_b64 exec, exec, s[4:5]
	v_or_b32_e32 v1, 0x4700, v0
	v_cmp_gt_u32_e32 vcc, s10, v1
	v_mov_b64_e32 v[144:145], 0
	v_mov_b64_e32 v[146:147], 0
	s_and_saveexec_b64 s[4:5], vcc
	s_cbranch_execz .LBB108_167
; %bb.166:
	v_lshlrev_b32_e32 v1, 1, v1
	global_load_ushort v1, v1, s[8:9]
	s_mov_b32 s11, 0
	v_mov_b32_e32 v147, s11
	s_waitcnt vmcnt(0)
	v_cmp_ne_u16_e32 vcc, 0, v1
	s_nop 1
	v_cndmask_b32_e64 v146, 0, 1, vcc
.LBB108_167:
	s_or_b64 exec, exec, s[4:5]
	v_or_b32_e32 v1, 0x4800, v0
	v_cmp_gt_u32_e32 vcc, s10, v1
	s_and_saveexec_b64 s[4:5], vcc
	s_cbranch_execz .LBB108_169
; %bb.168:
	v_lshlrev_b32_e32 v1, 1, v1
	global_load_ushort v1, v1, s[8:9]
	s_mov_b32 s11, 0
	v_mov_b32_e32 v145, s11
	s_waitcnt vmcnt(0)
	v_cmp_ne_u16_e32 vcc, 0, v1
	s_nop 1
	v_cndmask_b32_e64 v144, 0, 1, vcc
.LBB108_169:
	s_or_b64 exec, exec, s[4:5]
	v_or_b32_e32 v1, 0x4900, v0
	v_cmp_gt_u32_e32 vcc, s10, v1
	v_mov_b64_e32 v[148:149], 0
	v_mov_b64_e32 v[150:151], 0
	s_and_saveexec_b64 s[4:5], vcc
	s_cbranch_execz .LBB108_171
; %bb.170:
	v_lshlrev_b32_e32 v1, 1, v1
	global_load_ushort v1, v1, s[8:9]
	s_mov_b32 s11, 0
	v_mov_b32_e32 v151, s11
	s_waitcnt vmcnt(0)
	v_cmp_ne_u16_e32 vcc, 0, v1
	s_nop 1
	v_cndmask_b32_e64 v150, 0, 1, vcc
.LBB108_171:
	s_or_b64 exec, exec, s[4:5]
	v_or_b32_e32 v1, 0x4a00, v0
	v_cmp_gt_u32_e32 vcc, s10, v1
	s_and_saveexec_b64 s[4:5], vcc
	s_cbranch_execz .LBB108_173
; %bb.172:
	v_lshlrev_b32_e32 v1, 1, v1
	global_load_ushort v1, v1, s[8:9]
	s_mov_b32 s11, 0
	v_mov_b32_e32 v149, s11
	s_waitcnt vmcnt(0)
	v_cmp_ne_u16_e32 vcc, 0, v1
	s_nop 1
	v_cndmask_b32_e64 v148, 0, 1, vcc
.LBB108_173:
	s_or_b64 exec, exec, s[4:5]
	v_or_b32_e32 v1, 0x4b00, v0
	v_cmp_gt_u32_e32 vcc, s10, v1
	v_mov_b64_e32 v[152:153], 0
	v_mov_b64_e32 v[154:155], 0
	s_and_saveexec_b64 s[4:5], vcc
	s_cbranch_execz .LBB108_175
; %bb.174:
	v_lshlrev_b32_e32 v1, 1, v1
	global_load_ushort v1, v1, s[8:9]
	s_mov_b32 s11, 0
	v_mov_b32_e32 v155, s11
	s_waitcnt vmcnt(0)
	v_cmp_ne_u16_e32 vcc, 0, v1
	s_nop 1
	v_cndmask_b32_e64 v154, 0, 1, vcc
.LBB108_175:
	s_or_b64 exec, exec, s[4:5]
	v_or_b32_e32 v1, 0x4c00, v0
	v_cmp_gt_u32_e32 vcc, s10, v1
	s_and_saveexec_b64 s[4:5], vcc
	s_cbranch_execz .LBB108_177
; %bb.176:
	v_lshlrev_b32_e32 v1, 1, v1
	global_load_ushort v1, v1, s[8:9]
	s_mov_b32 s11, 0
	v_mov_b32_e32 v153, s11
	s_waitcnt vmcnt(0)
	v_cmp_ne_u16_e32 vcc, 0, v1
	s_nop 1
	v_cndmask_b32_e64 v152, 0, 1, vcc
.LBB108_177:
	s_or_b64 exec, exec, s[4:5]
	v_or_b32_e32 v1, 0x4d00, v0
	v_cmp_gt_u32_e32 vcc, s10, v1
	v_mov_b64_e32 v[156:157], 0
	v_mov_b64_e32 v[158:159], 0
	s_and_saveexec_b64 s[4:5], vcc
	s_cbranch_execz .LBB108_179
; %bb.178:
	v_lshlrev_b32_e32 v1, 1, v1
	global_load_ushort v1, v1, s[8:9]
	s_mov_b32 s11, 0
	v_mov_b32_e32 v159, s11
	s_waitcnt vmcnt(0)
	v_cmp_ne_u16_e32 vcc, 0, v1
	s_nop 1
	v_cndmask_b32_e64 v158, 0, 1, vcc
.LBB108_179:
	s_or_b64 exec, exec, s[4:5]
	v_or_b32_e32 v1, 0x4e00, v0
	v_cmp_gt_u32_e32 vcc, s10, v1
	s_and_saveexec_b64 s[4:5], vcc
	s_cbranch_execz .LBB108_181
; %bb.180:
	v_lshlrev_b32_e32 v1, 1, v1
	global_load_ushort v1, v1, s[8:9]
	s_mov_b32 s11, 0
	v_mov_b32_e32 v157, s11
	s_waitcnt vmcnt(0)
	v_cmp_ne_u16_e32 vcc, 0, v1
	s_nop 1
	v_cndmask_b32_e64 v156, 0, 1, vcc
.LBB108_181:
	s_or_b64 exec, exec, s[4:5]
	v_or_b32_e32 v1, 0x4f00, v0
	v_cmp_gt_u32_e32 vcc, s10, v1
	v_mov_b64_e32 v[160:161], 0
	v_mov_b64_e32 v[162:163], 0
	s_and_saveexec_b64 s[4:5], vcc
	s_cbranch_execz .LBB108_183
; %bb.182:
	v_lshlrev_b32_e32 v1, 1, v1
	global_load_ushort v1, v1, s[8:9]
	s_mov_b32 s11, 0
	v_mov_b32_e32 v163, s11
	s_waitcnt vmcnt(0)
	v_cmp_ne_u16_e32 vcc, 0, v1
	s_nop 1
	v_cndmask_b32_e64 v162, 0, 1, vcc
.LBB108_183:
	s_or_b64 exec, exec, s[4:5]
	v_or_b32_e32 v1, 0x5000, v0
	v_cmp_gt_u32_e32 vcc, s10, v1
	s_and_saveexec_b64 s[4:5], vcc
	s_cbranch_execz .LBB108_185
; %bb.184:
	v_lshlrev_b32_e32 v1, 1, v1
	global_load_ushort v1, v1, s[8:9]
	s_mov_b32 s11, 0
	v_mov_b32_e32 v161, s11
	s_waitcnt vmcnt(0)
	v_cmp_ne_u16_e32 vcc, 0, v1
	s_nop 1
	v_cndmask_b32_e64 v160, 0, 1, vcc
.LBB108_185:
	s_or_b64 exec, exec, s[4:5]
	v_or_b32_e32 v1, 0x5100, v0
	v_cmp_gt_u32_e32 vcc, s10, v1
	v_mov_b64_e32 v[164:165], 0
	v_mov_b64_e32 v[166:167], 0
	s_and_saveexec_b64 s[4:5], vcc
	s_cbranch_execz .LBB108_187
; %bb.186:
	v_lshlrev_b32_e32 v1, 1, v1
	global_load_ushort v1, v1, s[8:9]
	s_mov_b32 s11, 0
	v_mov_b32_e32 v167, s11
	s_waitcnt vmcnt(0)
	v_cmp_ne_u16_e32 vcc, 0, v1
	s_nop 1
	v_cndmask_b32_e64 v166, 0, 1, vcc
.LBB108_187:
	s_or_b64 exec, exec, s[4:5]
	v_or_b32_e32 v1, 0x5200, v0
	v_cmp_gt_u32_e32 vcc, s10, v1
	s_and_saveexec_b64 s[4:5], vcc
	s_cbranch_execz .LBB108_189
; %bb.188:
	v_lshlrev_b32_e32 v1, 1, v1
	global_load_ushort v1, v1, s[8:9]
	s_mov_b32 s11, 0
	v_mov_b32_e32 v165, s11
	s_waitcnt vmcnt(0)
	v_cmp_ne_u16_e32 vcc, 0, v1
	s_nop 1
	v_cndmask_b32_e64 v164, 0, 1, vcc
.LBB108_189:
	s_or_b64 exec, exec, s[4:5]
	v_or_b32_e32 v1, 0x5300, v0
	v_cmp_gt_u32_e32 vcc, s10, v1
	v_mov_b64_e32 v[168:169], 0
	v_mov_b64_e32 v[170:171], 0
	s_and_saveexec_b64 s[4:5], vcc
	s_cbranch_execz .LBB108_191
; %bb.190:
	v_lshlrev_b32_e32 v1, 1, v1
	global_load_ushort v1, v1, s[8:9]
	s_mov_b32 s11, 0
	v_mov_b32_e32 v171, s11
	s_waitcnt vmcnt(0)
	v_cmp_ne_u16_e32 vcc, 0, v1
	s_nop 1
	v_cndmask_b32_e64 v170, 0, 1, vcc
.LBB108_191:
	s_or_b64 exec, exec, s[4:5]
	v_or_b32_e32 v1, 0x5400, v0
	v_cmp_gt_u32_e32 vcc, s10, v1
	s_and_saveexec_b64 s[4:5], vcc
	s_cbranch_execz .LBB108_193
; %bb.192:
	v_lshlrev_b32_e32 v1, 1, v1
	global_load_ushort v1, v1, s[8:9]
	s_mov_b32 s11, 0
	v_mov_b32_e32 v169, s11
	s_waitcnt vmcnt(0)
	v_cmp_ne_u16_e32 vcc, 0, v1
	s_nop 1
	v_cndmask_b32_e64 v168, 0, 1, vcc
.LBB108_193:
	s_or_b64 exec, exec, s[4:5]
	v_or_b32_e32 v1, 0x5500, v0
	v_cmp_gt_u32_e32 vcc, s10, v1
	v_mov_b64_e32 v[172:173], 0
	v_mov_b64_e32 v[174:175], 0
	s_and_saveexec_b64 s[4:5], vcc
	s_cbranch_execz .LBB108_195
; %bb.194:
	v_lshlrev_b32_e32 v1, 1, v1
	global_load_ushort v1, v1, s[8:9]
	s_mov_b32 s11, 0
	v_mov_b32_e32 v175, s11
	s_waitcnt vmcnt(0)
	v_cmp_ne_u16_e32 vcc, 0, v1
	s_nop 1
	v_cndmask_b32_e64 v174, 0, 1, vcc
.LBB108_195:
	s_or_b64 exec, exec, s[4:5]
	v_or_b32_e32 v1, 0x5600, v0
	v_cmp_gt_u32_e32 vcc, s10, v1
	s_and_saveexec_b64 s[4:5], vcc
	s_cbranch_execz .LBB108_197
; %bb.196:
	v_lshlrev_b32_e32 v1, 1, v1
	global_load_ushort v1, v1, s[8:9]
	s_mov_b32 s11, 0
	v_mov_b32_e32 v173, s11
	s_waitcnt vmcnt(0)
	v_cmp_ne_u16_e32 vcc, 0, v1
	s_nop 1
	v_cndmask_b32_e64 v172, 0, 1, vcc
.LBB108_197:
	s_or_b64 exec, exec, s[4:5]
	v_or_b32_e32 v1, 0x5700, v0
	v_cmp_gt_u32_e32 vcc, s10, v1
	v_mov_b64_e32 v[176:177], 0
	v_mov_b64_e32 v[178:179], 0
	s_and_saveexec_b64 s[4:5], vcc
	s_cbranch_execz .LBB108_199
; %bb.198:
	v_lshlrev_b32_e32 v1, 1, v1
	global_load_ushort v1, v1, s[8:9]
	s_mov_b32 s11, 0
	v_mov_b32_e32 v179, s11
	s_waitcnt vmcnt(0)
	v_cmp_ne_u16_e32 vcc, 0, v1
	s_nop 1
	v_cndmask_b32_e64 v178, 0, 1, vcc
.LBB108_199:
	s_or_b64 exec, exec, s[4:5]
	v_or_b32_e32 v1, 0x5800, v0
	v_cmp_gt_u32_e32 vcc, s10, v1
	s_and_saveexec_b64 s[4:5], vcc
	s_cbranch_execz .LBB108_201
; %bb.200:
	v_lshlrev_b32_e32 v1, 1, v1
	global_load_ushort v1, v1, s[8:9]
	s_mov_b32 s11, 0
	v_mov_b32_e32 v177, s11
	s_waitcnt vmcnt(0)
	v_cmp_ne_u16_e32 vcc, 0, v1
	s_nop 1
	v_cndmask_b32_e64 v176, 0, 1, vcc
.LBB108_201:
	s_or_b64 exec, exec, s[4:5]
	v_or_b32_e32 v1, 0x5900, v0
	v_cmp_gt_u32_e32 vcc, s10, v1
	v_mov_b64_e32 v[180:181], 0
	v_mov_b64_e32 v[182:183], 0
	s_and_saveexec_b64 s[4:5], vcc
	s_cbranch_execz .LBB108_203
; %bb.202:
	v_lshlrev_b32_e32 v1, 1, v1
	global_load_ushort v1, v1, s[8:9]
	s_mov_b32 s11, 0
	v_mov_b32_e32 v183, s11
	s_waitcnt vmcnt(0)
	v_cmp_ne_u16_e32 vcc, 0, v1
	s_nop 1
	v_cndmask_b32_e64 v182, 0, 1, vcc
.LBB108_203:
	s_or_b64 exec, exec, s[4:5]
	v_or_b32_e32 v1, 0x5a00, v0
	v_cmp_gt_u32_e32 vcc, s10, v1
	s_and_saveexec_b64 s[4:5], vcc
	s_cbranch_execz .LBB108_205
; %bb.204:
	v_lshlrev_b32_e32 v1, 1, v1
	global_load_ushort v1, v1, s[8:9]
	s_mov_b32 s11, 0
	v_mov_b32_e32 v181, s11
	s_waitcnt vmcnt(0)
	v_cmp_ne_u16_e32 vcc, 0, v1
	s_nop 1
	v_cndmask_b32_e64 v180, 0, 1, vcc
.LBB108_205:
	s_or_b64 exec, exec, s[4:5]
	v_or_b32_e32 v1, 0x5b00, v0
	v_cmp_gt_u32_e32 vcc, s10, v1
	v_mov_b64_e32 v[184:185], 0
	v_mov_b64_e32 v[186:187], 0
	s_and_saveexec_b64 s[4:5], vcc
	s_cbranch_execz .LBB108_207
; %bb.206:
	v_lshlrev_b32_e32 v1, 1, v1
	global_load_ushort v1, v1, s[8:9]
	s_mov_b32 s11, 0
	v_mov_b32_e32 v187, s11
	s_waitcnt vmcnt(0)
	v_cmp_ne_u16_e32 vcc, 0, v1
	s_nop 1
	v_cndmask_b32_e64 v186, 0, 1, vcc
.LBB108_207:
	s_or_b64 exec, exec, s[4:5]
	v_or_b32_e32 v1, 0x5c00, v0
	v_cmp_gt_u32_e32 vcc, s10, v1
	s_and_saveexec_b64 s[4:5], vcc
	s_cbranch_execz .LBB108_209
; %bb.208:
	v_lshlrev_b32_e32 v1, 1, v1
	global_load_ushort v1, v1, s[8:9]
	s_mov_b32 s11, 0
	v_mov_b32_e32 v185, s11
	s_waitcnt vmcnt(0)
	v_cmp_ne_u16_e32 vcc, 0, v1
	s_nop 1
	v_cndmask_b32_e64 v184, 0, 1, vcc
.LBB108_209:
	s_or_b64 exec, exec, s[4:5]
	v_or_b32_e32 v1, 0x5d00, v0
	v_cmp_gt_u32_e32 vcc, s10, v1
	v_mov_b64_e32 v[188:189], 0
	v_mov_b64_e32 v[190:191], 0
	s_and_saveexec_b64 s[4:5], vcc
	s_cbranch_execz .LBB108_211
; %bb.210:
	v_lshlrev_b32_e32 v1, 1, v1
	global_load_ushort v1, v1, s[8:9]
	s_mov_b32 s11, 0
	v_mov_b32_e32 v191, s11
	s_waitcnt vmcnt(0)
	v_cmp_ne_u16_e32 vcc, 0, v1
	s_nop 1
	v_cndmask_b32_e64 v190, 0, 1, vcc
.LBB108_211:
	s_or_b64 exec, exec, s[4:5]
	v_or_b32_e32 v1, 0x5e00, v0
	v_cmp_gt_u32_e32 vcc, s10, v1
	s_and_saveexec_b64 s[4:5], vcc
	s_cbranch_execz .LBB108_213
; %bb.212:
	v_lshlrev_b32_e32 v1, 1, v1
	global_load_ushort v1, v1, s[8:9]
	s_mov_b32 s11, 0
	v_mov_b32_e32 v189, s11
	s_waitcnt vmcnt(0)
	v_cmp_ne_u16_e32 vcc, 0, v1
	s_nop 1
	v_cndmask_b32_e64 v188, 0, 1, vcc
.LBB108_213:
	s_or_b64 exec, exec, s[4:5]
	v_or_b32_e32 v1, 0x5f00, v0
	v_cmp_gt_u32_e32 vcc, s10, v1
	v_mov_b64_e32 v[192:193], 0
	v_mov_b64_e32 v[194:195], 0
	s_and_saveexec_b64 s[4:5], vcc
	s_cbranch_execz .LBB108_215
; %bb.214:
	v_lshlrev_b32_e32 v1, 1, v1
	global_load_ushort v1, v1, s[8:9]
	s_mov_b32 s11, 0
	v_mov_b32_e32 v195, s11
	s_waitcnt vmcnt(0)
	v_cmp_ne_u16_e32 vcc, 0, v1
	s_nop 1
	v_cndmask_b32_e64 v194, 0, 1, vcc
.LBB108_215:
	s_or_b64 exec, exec, s[4:5]
	v_or_b32_e32 v1, 0x6000, v0
	v_cmp_gt_u32_e32 vcc, s10, v1
	s_and_saveexec_b64 s[4:5], vcc
	s_cbranch_execz .LBB108_217
; %bb.216:
	v_lshlrev_b32_e32 v1, 1, v1
	global_load_ushort v1, v1, s[8:9]
	s_mov_b32 s11, 0
	v_mov_b32_e32 v193, s11
	s_waitcnt vmcnt(0)
	v_cmp_ne_u16_e32 vcc, 0, v1
	s_nop 1
	v_cndmask_b32_e64 v192, 0, 1, vcc
.LBB108_217:
	s_or_b64 exec, exec, s[4:5]
	v_or_b32_e32 v1, 0x6100, v0
	v_cmp_gt_u32_e32 vcc, s10, v1
	v_mov_b64_e32 v[196:197], 0
	v_mov_b64_e32 v[198:199], 0
	s_and_saveexec_b64 s[4:5], vcc
	s_cbranch_execz .LBB108_219
; %bb.218:
	v_lshlrev_b32_e32 v1, 1, v1
	global_load_ushort v1, v1, s[8:9]
	s_mov_b32 s11, 0
	v_mov_b32_e32 v199, s11
	s_waitcnt vmcnt(0)
	v_cmp_ne_u16_e32 vcc, 0, v1
	s_nop 1
	v_cndmask_b32_e64 v198, 0, 1, vcc
.LBB108_219:
	s_or_b64 exec, exec, s[4:5]
	v_or_b32_e32 v1, 0x6200, v0
	v_cmp_gt_u32_e32 vcc, s10, v1
	s_and_saveexec_b64 s[4:5], vcc
	s_cbranch_execz .LBB108_221
; %bb.220:
	v_lshlrev_b32_e32 v1, 1, v1
	global_load_ushort v1, v1, s[8:9]
	s_mov_b32 s11, 0
	v_mov_b32_e32 v197, s11
	s_waitcnt vmcnt(0)
	v_cmp_ne_u16_e32 vcc, 0, v1
	s_nop 1
	v_cndmask_b32_e64 v196, 0, 1, vcc
.LBB108_221:
	s_or_b64 exec, exec, s[4:5]
	v_or_b32_e32 v1, 0x6300, v0
	v_cmp_gt_u32_e32 vcc, s10, v1
	v_mov_b64_e32 v[200:201], 0
	v_mov_b64_e32 v[202:203], 0
	s_and_saveexec_b64 s[4:5], vcc
	s_cbranch_execz .LBB108_223
; %bb.222:
	v_lshlrev_b32_e32 v1, 1, v1
	global_load_ushort v1, v1, s[8:9]
	s_mov_b32 s11, 0
	v_mov_b32_e32 v203, s11
	s_waitcnt vmcnt(0)
	v_cmp_ne_u16_e32 vcc, 0, v1
	s_nop 1
	v_cndmask_b32_e64 v202, 0, 1, vcc
.LBB108_223:
	s_or_b64 exec, exec, s[4:5]
	v_or_b32_e32 v1, 0x6400, v0
	v_cmp_gt_u32_e32 vcc, s10, v1
	s_and_saveexec_b64 s[4:5], vcc
	s_cbranch_execz .LBB108_225
; %bb.224:
	v_lshlrev_b32_e32 v1, 1, v1
	global_load_ushort v1, v1, s[8:9]
	s_mov_b32 s11, 0
	v_mov_b32_e32 v201, s11
	s_waitcnt vmcnt(0)
	v_cmp_ne_u16_e32 vcc, 0, v1
	s_nop 1
	v_cndmask_b32_e64 v200, 0, 1, vcc
.LBB108_225:
	s_or_b64 exec, exec, s[4:5]
	v_or_b32_e32 v1, 0x6500, v0
	v_cmp_gt_u32_e32 vcc, s10, v1
	v_mov_b64_e32 v[204:205], 0
	v_mov_b64_e32 v[206:207], 0
	s_and_saveexec_b64 s[4:5], vcc
	s_cbranch_execz .LBB108_227
; %bb.226:
	v_lshlrev_b32_e32 v1, 1, v1
	global_load_ushort v1, v1, s[8:9]
	s_mov_b32 s11, 0
	v_mov_b32_e32 v207, s11
	s_waitcnt vmcnt(0)
	v_cmp_ne_u16_e32 vcc, 0, v1
	s_nop 1
	v_cndmask_b32_e64 v206, 0, 1, vcc
.LBB108_227:
	s_or_b64 exec, exec, s[4:5]
	v_or_b32_e32 v1, 0x6600, v0
	v_cmp_gt_u32_e32 vcc, s10, v1
	s_and_saveexec_b64 s[4:5], vcc
	s_cbranch_execz .LBB108_229
; %bb.228:
	v_lshlrev_b32_e32 v1, 1, v1
	global_load_ushort v1, v1, s[8:9]
	s_mov_b32 s11, 0
	v_mov_b32_e32 v205, s11
	s_waitcnt vmcnt(0)
	v_cmp_ne_u16_e32 vcc, 0, v1
	s_nop 1
	v_cndmask_b32_e64 v204, 0, 1, vcc
.LBB108_229:
	s_or_b64 exec, exec, s[4:5]
	v_or_b32_e32 v1, 0x6700, v0
	v_cmp_gt_u32_e32 vcc, s10, v1
	v_mov_b64_e32 v[208:209], 0
	v_mov_b64_e32 v[210:211], 0
	s_and_saveexec_b64 s[4:5], vcc
	s_cbranch_execz .LBB108_231
; %bb.230:
	v_lshlrev_b32_e32 v1, 1, v1
	global_load_ushort v1, v1, s[8:9]
	s_mov_b32 s11, 0
	v_mov_b32_e32 v211, s11
	s_waitcnt vmcnt(0)
	v_cmp_ne_u16_e32 vcc, 0, v1
	s_nop 1
	v_cndmask_b32_e64 v210, 0, 1, vcc
.LBB108_231:
	s_or_b64 exec, exec, s[4:5]
	v_or_b32_e32 v1, 0x6800, v0
	v_cmp_gt_u32_e32 vcc, s10, v1
	s_and_saveexec_b64 s[4:5], vcc
	s_cbranch_execz .LBB108_233
; %bb.232:
	v_lshlrev_b32_e32 v1, 1, v1
	global_load_ushort v1, v1, s[8:9]
	s_mov_b32 s11, 0
	v_mov_b32_e32 v209, s11
	s_waitcnt vmcnt(0)
	v_cmp_ne_u16_e32 vcc, 0, v1
	s_nop 1
	v_cndmask_b32_e64 v208, 0, 1, vcc
.LBB108_233:
	s_or_b64 exec, exec, s[4:5]
	v_or_b32_e32 v1, 0x6900, v0
	v_cmp_gt_u32_e32 vcc, s10, v1
	v_mov_b64_e32 v[212:213], 0
	v_mov_b64_e32 v[214:215], 0
	s_and_saveexec_b64 s[4:5], vcc
	s_cbranch_execz .LBB108_235
; %bb.234:
	v_lshlrev_b32_e32 v1, 1, v1
	global_load_ushort v1, v1, s[8:9]
	s_mov_b32 s11, 0
	v_mov_b32_e32 v215, s11
	s_waitcnt vmcnt(0)
	v_cmp_ne_u16_e32 vcc, 0, v1
	s_nop 1
	v_cndmask_b32_e64 v214, 0, 1, vcc
.LBB108_235:
	s_or_b64 exec, exec, s[4:5]
	v_or_b32_e32 v1, 0x6a00, v0
	v_cmp_gt_u32_e32 vcc, s10, v1
	s_and_saveexec_b64 s[4:5], vcc
	s_cbranch_execz .LBB108_237
; %bb.236:
	v_lshlrev_b32_e32 v1, 1, v1
	global_load_ushort v1, v1, s[8:9]
	s_mov_b32 s11, 0
	v_mov_b32_e32 v213, s11
	s_waitcnt vmcnt(0)
	v_cmp_ne_u16_e32 vcc, 0, v1
	s_nop 1
	v_cndmask_b32_e64 v212, 0, 1, vcc
.LBB108_237:
	s_or_b64 exec, exec, s[4:5]
	v_or_b32_e32 v1, 0x6b00, v0
	v_cmp_gt_u32_e32 vcc, s10, v1
	v_mov_b64_e32 v[216:217], 0
	v_mov_b64_e32 v[218:219], 0
	s_and_saveexec_b64 s[4:5], vcc
	s_cbranch_execz .LBB108_239
; %bb.238:
	v_lshlrev_b32_e32 v1, 1, v1
	global_load_ushort v1, v1, s[8:9]
	s_mov_b32 s11, 0
	v_mov_b32_e32 v219, s11
	s_waitcnt vmcnt(0)
	v_cmp_ne_u16_e32 vcc, 0, v1
	s_nop 1
	v_cndmask_b32_e64 v218, 0, 1, vcc
.LBB108_239:
	s_or_b64 exec, exec, s[4:5]
	v_or_b32_e32 v1, 0x6c00, v0
	v_cmp_gt_u32_e32 vcc, s10, v1
	s_and_saveexec_b64 s[4:5], vcc
	s_cbranch_execz .LBB108_241
; %bb.240:
	v_lshlrev_b32_e32 v1, 1, v1
	global_load_ushort v1, v1, s[8:9]
	s_mov_b32 s11, 0
	v_mov_b32_e32 v217, s11
	s_waitcnt vmcnt(0)
	v_cmp_ne_u16_e32 vcc, 0, v1
	s_nop 1
	v_cndmask_b32_e64 v216, 0, 1, vcc
.LBB108_241:
	s_or_b64 exec, exec, s[4:5]
	v_or_b32_e32 v1, 0x6d00, v0
	v_cmp_gt_u32_e32 vcc, s10, v1
	v_mov_b64_e32 v[220:221], 0
	v_mov_b64_e32 v[222:223], 0
	s_and_saveexec_b64 s[4:5], vcc
	s_cbranch_execz .LBB108_243
; %bb.242:
	v_lshlrev_b32_e32 v1, 1, v1
	global_load_ushort v1, v1, s[8:9]
	s_mov_b32 s11, 0
	v_mov_b32_e32 v223, s11
	s_waitcnt vmcnt(0)
	v_cmp_ne_u16_e32 vcc, 0, v1
	s_nop 1
	v_cndmask_b32_e64 v222, 0, 1, vcc
.LBB108_243:
	s_or_b64 exec, exec, s[4:5]
	v_or_b32_e32 v1, 0x6e00, v0
	v_cmp_gt_u32_e32 vcc, s10, v1
	s_and_saveexec_b64 s[4:5], vcc
	s_cbranch_execz .LBB108_245
; %bb.244:
	v_lshlrev_b32_e32 v1, 1, v1
	global_load_ushort v1, v1, s[8:9]
	s_mov_b32 s11, 0
	v_mov_b32_e32 v221, s11
	s_waitcnt vmcnt(0)
	v_cmp_ne_u16_e32 vcc, 0, v1
	s_nop 1
	v_cndmask_b32_e64 v220, 0, 1, vcc
.LBB108_245:
	s_or_b64 exec, exec, s[4:5]
	v_or_b32_e32 v1, 0x6f00, v0
	v_cmp_gt_u32_e32 vcc, s10, v1
	v_mov_b64_e32 v[224:225], 0
	v_mov_b64_e32 v[226:227], 0
	s_and_saveexec_b64 s[4:5], vcc
	s_cbranch_execz .LBB108_247
; %bb.246:
	v_lshlrev_b32_e32 v1, 1, v1
	global_load_ushort v1, v1, s[8:9]
	s_mov_b32 s11, 0
	v_mov_b32_e32 v227, s11
	s_waitcnt vmcnt(0)
	v_cmp_ne_u16_e32 vcc, 0, v1
	s_nop 1
	v_cndmask_b32_e64 v226, 0, 1, vcc
.LBB108_247:
	s_or_b64 exec, exec, s[4:5]
	v_or_b32_e32 v1, 0x7000, v0
	v_cmp_gt_u32_e32 vcc, s10, v1
	s_and_saveexec_b64 s[4:5], vcc
	s_cbranch_execz .LBB108_249
; %bb.248:
	v_lshlrev_b32_e32 v1, 1, v1
	global_load_ushort v1, v1, s[8:9]
	s_mov_b32 s11, 0
	v_mov_b32_e32 v225, s11
	s_waitcnt vmcnt(0)
	v_cmp_ne_u16_e32 vcc, 0, v1
	s_nop 1
	v_cndmask_b32_e64 v224, 0, 1, vcc
.LBB108_249:
	s_or_b64 exec, exec, s[4:5]
	v_or_b32_e32 v1, 0x7100, v0
	v_cmp_gt_u32_e32 vcc, s10, v1
	v_mov_b64_e32 v[228:229], 0
	v_mov_b64_e32 v[230:231], 0
	s_and_saveexec_b64 s[4:5], vcc
	s_cbranch_execz .LBB108_251
; %bb.250:
	v_lshlrev_b32_e32 v1, 1, v1
	global_load_ushort v1, v1, s[8:9]
	s_mov_b32 s11, 0
	v_mov_b32_e32 v231, s11
	s_waitcnt vmcnt(0)
	v_cmp_ne_u16_e32 vcc, 0, v1
	s_nop 1
	v_cndmask_b32_e64 v230, 0, 1, vcc
.LBB108_251:
	s_or_b64 exec, exec, s[4:5]
	v_or_b32_e32 v1, 0x7200, v0
	v_cmp_gt_u32_e32 vcc, s10, v1
	s_and_saveexec_b64 s[4:5], vcc
	s_cbranch_execz .LBB108_253
; %bb.252:
	v_lshlrev_b32_e32 v1, 1, v1
	global_load_ushort v1, v1, s[8:9]
	s_mov_b32 s11, 0
	v_mov_b32_e32 v229, s11
	s_waitcnt vmcnt(0)
	v_cmp_ne_u16_e32 vcc, 0, v1
	s_nop 1
	v_cndmask_b32_e64 v228, 0, 1, vcc
.LBB108_253:
	s_or_b64 exec, exec, s[4:5]
	v_or_b32_e32 v1, 0x7300, v0
	v_cmp_gt_u32_e32 vcc, s10, v1
	v_mov_b64_e32 v[232:233], 0
	v_mov_b64_e32 v[234:235], 0
	s_and_saveexec_b64 s[4:5], vcc
	s_cbranch_execz .LBB108_255
; %bb.254:
	v_lshlrev_b32_e32 v1, 1, v1
	global_load_ushort v1, v1, s[8:9]
	s_mov_b32 s11, 0
	v_mov_b32_e32 v235, s11
	s_waitcnt vmcnt(0)
	v_cmp_ne_u16_e32 vcc, 0, v1
	s_nop 1
	v_cndmask_b32_e64 v234, 0, 1, vcc
.LBB108_255:
	s_or_b64 exec, exec, s[4:5]
	v_or_b32_e32 v1, 0x7400, v0
	v_cmp_gt_u32_e32 vcc, s10, v1
	s_and_saveexec_b64 s[4:5], vcc
	s_cbranch_execz .LBB108_257
; %bb.256:
	v_lshlrev_b32_e32 v1, 1, v1
	global_load_ushort v1, v1, s[8:9]
	s_mov_b32 s11, 0
	v_mov_b32_e32 v233, s11
	s_waitcnt vmcnt(0)
	v_cmp_ne_u16_e32 vcc, 0, v1
	s_nop 1
	v_cndmask_b32_e64 v232, 0, 1, vcc
.LBB108_257:
	s_or_b64 exec, exec, s[4:5]
	v_or_b32_e32 v1, 0x7500, v0
	v_cmp_gt_u32_e32 vcc, s10, v1
	v_mov_b64_e32 v[236:237], 0
	v_mov_b64_e32 v[238:239], 0
	s_and_saveexec_b64 s[4:5], vcc
	s_cbranch_execz .LBB108_259
; %bb.258:
	v_lshlrev_b32_e32 v1, 1, v1
	global_load_ushort v1, v1, s[8:9]
	s_mov_b32 s11, 0
	v_mov_b32_e32 v239, s11
	s_waitcnt vmcnt(0)
	v_cmp_ne_u16_e32 vcc, 0, v1
	s_nop 1
	v_cndmask_b32_e64 v238, 0, 1, vcc
.LBB108_259:
	s_or_b64 exec, exec, s[4:5]
	v_or_b32_e32 v1, 0x7600, v0
	v_cmp_gt_u32_e32 vcc, s10, v1
	s_and_saveexec_b64 s[4:5], vcc
	s_cbranch_execz .LBB108_261
; %bb.260:
	v_lshlrev_b32_e32 v1, 1, v1
	global_load_ushort v1, v1, s[8:9]
	s_mov_b32 s11, 0
	v_mov_b32_e32 v237, s11
	s_waitcnt vmcnt(0)
	v_cmp_ne_u16_e32 vcc, 0, v1
	s_nop 1
	v_cndmask_b32_e64 v236, 0, 1, vcc
.LBB108_261:
	s_or_b64 exec, exec, s[4:5]
	v_or_b32_e32 v1, 0x7700, v0
	v_cmp_gt_u32_e32 vcc, s10, v1
	v_mov_b64_e32 v[240:241], 0
	v_mov_b64_e32 v[242:243], 0
	s_and_saveexec_b64 s[4:5], vcc
	s_cbranch_execz .LBB108_263
; %bb.262:
	v_lshlrev_b32_e32 v1, 1, v1
	global_load_ushort v1, v1, s[8:9]
	s_mov_b32 s11, 0
	v_mov_b32_e32 v243, s11
	s_waitcnt vmcnt(0)
	v_cmp_ne_u16_e32 vcc, 0, v1
	s_nop 1
	v_cndmask_b32_e64 v242, 0, 1, vcc
.LBB108_263:
	s_or_b64 exec, exec, s[4:5]
	v_or_b32_e32 v1, 0x7800, v0
	v_cmp_gt_u32_e32 vcc, s10, v1
	s_and_saveexec_b64 s[4:5], vcc
	s_cbranch_execz .LBB108_265
; %bb.264:
	v_lshlrev_b32_e32 v1, 1, v1
	global_load_ushort v1, v1, s[8:9]
	s_mov_b32 s11, 0
	v_mov_b32_e32 v241, s11
	s_waitcnt vmcnt(0)
	v_cmp_ne_u16_e32 vcc, 0, v1
	s_nop 1
	v_cndmask_b32_e64 v240, 0, 1, vcc
.LBB108_265:
	s_or_b64 exec, exec, s[4:5]
	v_or_b32_e32 v1, 0x7900, v0
	v_cmp_gt_u32_e32 vcc, s10, v1
	v_mov_b64_e32 v[244:245], 0
	v_mov_b64_e32 v[246:247], 0
	s_and_saveexec_b64 s[4:5], vcc
	s_cbranch_execz .LBB108_267
; %bb.266:
	v_lshlrev_b32_e32 v1, 1, v1
	global_load_ushort v1, v1, s[8:9]
	s_mov_b32 s11, 0
	v_mov_b32_e32 v247, s11
	s_waitcnt vmcnt(0)
	v_cmp_ne_u16_e32 vcc, 0, v1
	s_nop 1
	v_cndmask_b32_e64 v246, 0, 1, vcc
.LBB108_267:
	s_or_b64 exec, exec, s[4:5]
	v_or_b32_e32 v1, 0x7a00, v0
	v_cmp_gt_u32_e32 vcc, s10, v1
	s_and_saveexec_b64 s[4:5], vcc
	s_cbranch_execz .LBB108_269
; %bb.268:
	v_lshlrev_b32_e32 v1, 1, v1
	global_load_ushort v1, v1, s[8:9]
	s_mov_b32 s11, 0
	v_mov_b32_e32 v245, s11
	s_waitcnt vmcnt(0)
	v_cmp_ne_u16_e32 vcc, 0, v1
	s_nop 1
	v_cndmask_b32_e64 v244, 0, 1, vcc
.LBB108_269:
	s_or_b64 exec, exec, s[4:5]
	v_or_b32_e32 v1, 0x7b00, v0
	v_cmp_gt_u32_e32 vcc, s10, v1
	v_mov_b64_e32 v[248:249], 0
	v_mov_b64_e32 v[250:251], 0
	s_and_saveexec_b64 s[4:5], vcc
	s_cbranch_execz .LBB108_271
; %bb.270:
	v_lshlrev_b32_e32 v1, 1, v1
	global_load_ushort v1, v1, s[8:9]
	s_mov_b32 s11, 0
	v_mov_b32_e32 v251, s11
	s_waitcnt vmcnt(0)
	v_cmp_ne_u16_e32 vcc, 0, v1
	s_nop 1
	v_cndmask_b32_e64 v250, 0, 1, vcc
.LBB108_271:
	s_or_b64 exec, exec, s[4:5]
	v_or_b32_e32 v1, 0x7c00, v0
	v_cmp_gt_u32_e32 vcc, s10, v1
	s_and_saveexec_b64 s[4:5], vcc
	s_cbranch_execz .LBB108_273
; %bb.272:
	v_lshlrev_b32_e32 v1, 1, v1
	global_load_ushort v1, v1, s[8:9]
	s_mov_b32 s11, 0
	v_mov_b32_e32 v249, s11
	s_waitcnt vmcnt(0)
	v_cmp_ne_u16_e32 vcc, 0, v1
	s_nop 1
	v_cndmask_b32_e64 v248, 0, 1, vcc
.LBB108_273:
	s_or_b64 exec, exec, s[4:5]
	v_or_b32_e32 v1, 0x7d00, v0
	v_cmp_gt_u32_e32 vcc, s10, v1
	v_mov_b64_e32 v[252:253], 0
	v_mov_b64_e32 v[254:255], 0
	s_and_saveexec_b64 s[4:5], vcc
	s_cbranch_execz .LBB108_275
; %bb.274:
	v_lshlrev_b32_e32 v1, 1, v1
	global_load_ushort v1, v1, s[8:9]
	s_mov_b32 s11, 0
	v_mov_b32_e32 v255, s11
	s_waitcnt vmcnt(0)
	v_cmp_ne_u16_e32 vcc, 0, v1
	s_nop 1
	v_cndmask_b32_e64 v254, 0, 1, vcc
.LBB108_275:
	s_or_b64 exec, exec, s[4:5]
	v_or_b32_e32 v1, 0x7e00, v0
	v_cmp_gt_u32_e32 vcc, s10, v1
	s_and_saveexec_b64 s[4:5], vcc
	s_cbranch_execz .LBB108_277
; %bb.276:
	v_lshlrev_b32_e32 v1, 1, v1
	global_load_ushort v1, v1, s[8:9]
	s_mov_b32 s11, 0
	v_mov_b32_e32 v253, s11
	s_waitcnt vmcnt(0)
	v_cmp_ne_u16_e32 vcc, 0, v1
	s_nop 1
	v_cndmask_b32_e64 v252, 0, 1, vcc
.LBB108_277:
	s_or_b64 exec, exec, s[4:5]
	v_accvgpr_write_b32 a2, v2
	v_or_b32_e32 v1, 0x7f00, v0
	v_accvgpr_write_b32 a3, v3
	v_cmp_gt_u32_e32 vcc, s10, v1
	v_mov_b64_e32 v[2:3], 0
	s_and_saveexec_b64 s[4:5], vcc
	s_cbranch_execz .LBB108_279
; %bb.278:
	v_lshlrev_b32_e32 v1, 1, v1
	global_load_ushort v1, v1, s[8:9]
	s_mov_b32 s8, 0
	v_mov_b32_e32 v3, s8
	s_waitcnt vmcnt(0)
	v_cmp_ne_u16_e32 vcc, 0, v1
	s_nop 1
	v_cndmask_b32_e64 v2, 0, 1, vcc
.LBB108_279:
	s_or_b64 exec, exec, s[4:5]
	v_lshl_add_u64 v[6:7], v[6:7], 0, v[4:5]
	v_accvgpr_read_b32 v5, a3
	v_accvgpr_read_b32 v4, a2
	v_lshl_add_u64 v[4:5], v[6:7], 0, v[4:5]
	v_lshl_add_u64 v[4:5], v[4:5], 0, v[10:11]
	;; [unrolled: 1-line block ×123, first 2 shown]
	v_mbcnt_lo_u32_b32 v1, -1, 0
	v_lshl_add_u64 v[4:5], v[4:5], 0, v[254:255]
	v_mbcnt_hi_u32_b32 v1, -1, v1
	v_lshl_add_u64 v[4:5], v[4:5], 0, v[252:253]
	v_and_b32_e32 v9, 63, v1
	v_lshl_add_u64 v[2:3], v[4:5], 0, v[2:3]
	s_min_u32 s10, s10, 0x100
	v_and_b32_e32 v4, 0xc0, v0
	v_cmp_ne_u32_e32 vcc, 63, v9
	v_sub_u32_e64 v8, s10, v4 clamp
	v_add_u32_e32 v5, 1, v9
	v_addc_co_u32_e32 v4, vcc, 0, v1, vcc
	v_lshlrev_b32_e32 v6, 2, v4
	ds_bpermute_b32 v4, v6, v2
	ds_bpermute_b32 v7, v6, v3
	v_mov_b32_e32 v6, 0
	v_cmp_lt_u32_e32 vcc, v5, v8
	v_mov_b32_e32 v5, v6
	s_waitcnt lgkmcnt(1)
	v_lshl_add_u64 v[4:5], v[2:3], 0, v[4:5]
	s_waitcnt lgkmcnt(0)
	v_lshl_add_u64 v[6:7], v[6:7], 0, v[4:5]
	v_cmp_gt_u32_e64 s[4:5], 62, v9
	v_cndmask_b32_e32 v10, v2, v4, vcc
	v_cndmask_b32_e32 v4, v2, v6, vcc
	v_cndmask_b32_e64 v6, 0, 2, s[4:5]
	v_cndmask_b32_e32 v5, v3, v7, vcc
	v_add_lshl_u32 v7, v6, v1, 2
	ds_bpermute_b32 v6, v7, v10
	ds_bpermute_b32 v7, v7, v5
	v_add_u32_e32 v11, 2, v9
	v_cmp_lt_u32_e64 s[4:5], v11, v8
	v_add_u32_e32 v11, 4, v9
	s_waitcnt lgkmcnt(0)
	v_lshl_add_u64 v[6:7], v[6:7], 0, v[4:5]
	v_cndmask_b32_e64 v10, v10, v6, s[4:5]
	v_cndmask_b32_e64 v5, v5, v7, s[4:5]
	v_cndmask_b32_e64 v4, v4, v6, s[4:5]
	v_cmp_gt_u32_e64 s[4:5], 60, v9
	s_nop 1
	v_cndmask_b32_e64 v6, 0, 4, s[4:5]
	v_add_lshl_u32 v7, v6, v1, 2
	ds_bpermute_b32 v6, v7, v10
	ds_bpermute_b32 v7, v7, v5
	v_cmp_lt_u32_e64 s[4:5], v11, v8
	v_add_u32_e32 v11, 8, v9
	s_waitcnt lgkmcnt(0)
	v_lshl_add_u64 v[6:7], v[6:7], 0, v[4:5]
	v_cndmask_b32_e64 v10, v10, v6, s[4:5]
	v_cndmask_b32_e64 v5, v5, v7, s[4:5]
	v_cndmask_b32_e64 v4, v4, v6, s[4:5]
	v_cmp_gt_u32_e64 s[4:5], 56, v9
	s_nop 1
	v_cndmask_b32_e64 v6, 0, 8, s[4:5]
	v_add_lshl_u32 v7, v6, v1, 2
	ds_bpermute_b32 v6, v7, v10
	ds_bpermute_b32 v7, v7, v5
	;; [unrolled: 13-line block ×3, first 2 shown]
	v_cmp_lt_u32_e64 s[4:5], v11, v8
	s_waitcnt lgkmcnt(0)
	v_lshl_add_u64 v[6:7], v[6:7], 0, v[4:5]
	v_cndmask_b32_e64 v11, v10, v6, s[4:5]
	v_lshlrev_b32_e32 v10, 2, v1
	v_cndmask_b32_e64 v12, v5, v7, s[4:5]
	v_or_b32_e32 v13, 0x80, v10
	ds_bpermute_b32 v11, v13, v11
	ds_bpermute_b32 v12, v13, v12
	s_and_saveexec_b64 s[8:9], vcc
	s_cbranch_execz .LBB108_281
; %bb.280:
	v_add_u32_e32 v9, 32, v9
	v_cmp_lt_u32_e32 vcc, v9, v8
	v_cndmask_b32_e64 v3, v5, v7, s[4:5]
	v_cndmask_b32_e64 v2, v4, v6, s[4:5]
	s_waitcnt lgkmcnt(0)
	v_cndmask_b32_e32 v5, 0, v12, vcc
	v_cndmask_b32_e32 v4, 0, v11, vcc
	v_lshl_add_u64 v[2:3], v[4:5], 0, v[2:3]
.LBB108_281:
	s_or_b64 exec, exec, s[8:9]
	v_cmp_eq_u32_e32 vcc, 0, v1
	s_and_saveexec_b64 s[4:5], vcc
; %bb.282:
	v_lshrrev_b32_e32 v4, 3, v0
	v_and_b32_e32 v4, 24, v4
	ds_write_b64 v4, v[2:3] offset:256
; %bb.283:
	s_or_b64 exec, exec, s[4:5]
	v_cmp_gt_u32_e32 vcc, 4, v0
	s_waitcnt lgkmcnt(0)
	s_barrier
	s_and_saveexec_b64 s[4:5], vcc
	s_cbranch_execz .LBB108_287
; %bb.284:
	v_lshlrev_b32_e32 v2, 3, v1
	ds_read_b64 v[2:3], v2 offset:256
	v_and_b32_e32 v6, 3, v1
	v_cmp_ne_u32_e32 vcc, 3, v6
	v_mov_b32_e32 v8, 0
	s_add_i32 s10, s10, 63
	v_addc_co_u32_e32 v1, vcc, 0, v1, vcc
	v_lshlrev_b32_e32 v1, 2, v1
	s_waitcnt lgkmcnt(0)
	ds_bpermute_b32 v4, v1, v2
	ds_bpermute_b32 v9, v1, v3
	v_mov_b32_e32 v5, v8
	s_lshr_b32 s10, s10, 6
	v_add_u32_e32 v1, 1, v6
	s_waitcnt lgkmcnt(1)
	v_lshl_add_u64 v[12:13], v[2:3], 0, v[4:5]
	s_waitcnt lgkmcnt(0)
	v_lshl_add_u64 v[4:5], v[8:9], 0, v[12:13]
	v_cmp_gt_u32_e32 vcc, s10, v1
	v_or_b32_e32 v8, 8, v10
	s_nop 0
	v_cndmask_b32_e32 v7, v3, v5, vcc
	v_cndmask_b32_e32 v1, v2, v12, vcc
	ds_bpermute_b32 v1, v8, v1
	ds_bpermute_b32 v7, v8, v7
	s_and_saveexec_b64 s[8:9], vcc
	s_cbranch_execz .LBB108_286
; %bb.285:
	v_add_u32_e32 v2, 2, v6
	v_cmp_gt_u32_e32 vcc, s10, v2
	s_waitcnt lgkmcnt(0)
	s_nop 0
	v_cndmask_b32_e32 v3, 0, v7, vcc
	v_cndmask_b32_e32 v2, 0, v1, vcc
	v_lshl_add_u64 v[2:3], v[2:3], 0, v[4:5]
.LBB108_286:
	s_or_b64 exec, exec, s[8:9]
.LBB108_287:
	s_or_b64 exec, exec, s[4:5]
.LBB108_288:
	v_cmp_eq_u32_e64 s[4:5], 0, v0
	v_mov_b64_e32 v[4:5], s[2:3]
	s_and_b64 vcc, exec, s[6:7]
	s_cbranch_vccnz .LBB108_14
	s_branch .LBB108_429
.LBB108_289:
	s_mov_b64 s[8:9], -1
                                        ; implicit-def: $vgpr2_vgpr3
.LBB108_290:
	s_and_b64 vcc, exec, s[8:9]
	s_cbranch_vccz .LBB108_428
; %bb.291:
	s_sub_i32 s8, s36, s6
	v_cmp_gt_u32_e32 vcc, s8, v0
                                        ; implicit-def: $vgpr2_vgpr3
	s_and_saveexec_b64 s[6:7], vcc
	s_cbranch_execz .LBB108_293
; %bb.292:
	s_waitcnt lgkmcnt(1)
	v_lshlrev_b32_e32 v1, 1, v0
	global_load_ushort v1, v1, s[4:5]
	s_mov_b32 s9, 0
	v_mov_b32_e32 v3, s9
	s_waitcnt vmcnt(0)
	v_cmp_ne_u16_e32 vcc, 0, v1
	s_nop 1
	v_cndmask_b32_e64 v2, 0, 1, vcc
.LBB108_293:
	s_or_b64 exec, exec, s[6:7]
	s_waitcnt lgkmcnt(1)
	v_or_b32_e32 v1, 0x100, v0
	v_cmp_gt_u32_e32 vcc, s8, v1
	v_mov_b64_e32 v[4:5], 0
	s_waitcnt lgkmcnt(0)
	v_mov_b64_e32 v[6:7], 0
	s_and_saveexec_b64 s[6:7], vcc
	s_cbranch_execz .LBB108_295
; %bb.294:
	v_lshlrev_b32_e32 v1, 1, v0
	global_load_ushort v1, v1, s[4:5] offset:512
	s_mov_b32 s9, 0
	v_mov_b32_e32 v7, s9
	s_waitcnt vmcnt(0)
	v_cmp_ne_u16_e32 vcc, 0, v1
	s_nop 1
	v_cndmask_b32_e64 v6, 0, 1, vcc
.LBB108_295:
	s_or_b64 exec, exec, s[6:7]
	v_or_b32_e32 v1, 0x200, v0
	v_cmp_gt_u32_e32 vcc, s8, v1
	s_and_saveexec_b64 s[6:7], vcc
	s_cbranch_execz .LBB108_297
; %bb.296:
	v_lshlrev_b32_e32 v1, 1, v0
	global_load_ushort v1, v1, s[4:5] offset:1024
	s_mov_b32 s9, 0
	v_mov_b32_e32 v5, s9
	s_waitcnt vmcnt(0)
	v_cmp_ne_u16_e32 vcc, 0, v1
	s_nop 1
	v_cndmask_b32_e64 v4, 0, 1, vcc
.LBB108_297:
	s_or_b64 exec, exec, s[6:7]
	v_or_b32_e32 v1, 0x300, v0
	v_cmp_gt_u32_e32 vcc, s8, v1
	v_mov_b64_e32 v[8:9], 0
	v_mov_b64_e32 v[10:11], 0
	s_and_saveexec_b64 s[6:7], vcc
	s_cbranch_execz .LBB108_299
; %bb.298:
	v_lshlrev_b32_e32 v1, 1, v0
	global_load_ushort v1, v1, s[4:5] offset:1536
	s_mov_b32 s9, 0
	v_mov_b32_e32 v11, s9
	s_waitcnt vmcnt(0)
	v_cmp_ne_u16_e32 vcc, 0, v1
	s_nop 1
	v_cndmask_b32_e64 v10, 0, 1, vcc
.LBB108_299:
	s_or_b64 exec, exec, s[6:7]
	v_or_b32_e32 v1, 0x400, v0
	v_cmp_gt_u32_e32 vcc, s8, v1
	s_and_saveexec_b64 s[6:7], vcc
	s_cbranch_execz .LBB108_301
; %bb.300:
	v_lshlrev_b32_e32 v1, 1, v0
	global_load_ushort v1, v1, s[4:5] offset:2048
	s_mov_b32 s9, 0
	v_mov_b32_e32 v9, s9
	s_waitcnt vmcnt(0)
	v_cmp_ne_u16_e32 vcc, 0, v1
	s_nop 1
	v_cndmask_b32_e64 v8, 0, 1, vcc
.LBB108_301:
	s_or_b64 exec, exec, s[6:7]
	v_or_b32_e32 v1, 0x500, v0
	v_cmp_gt_u32_e32 vcc, s8, v1
	v_mov_b64_e32 v[12:13], 0
	;; [unrolled: 32-line block ×3, first 2 shown]
	v_mov_b64_e32 v[18:19], 0
	s_and_saveexec_b64 s[6:7], vcc
	s_cbranch_execz .LBB108_307
; %bb.306:
	v_lshlrev_b32_e32 v1, 1, v0
	global_load_ushort v1, v1, s[4:5] offset:3584
	s_mov_b32 s9, 0
	v_mov_b32_e32 v19, s9
	s_waitcnt vmcnt(0)
	v_cmp_ne_u16_e32 vcc, 0, v1
	s_nop 1
	v_cndmask_b32_e64 v18, 0, 1, vcc
.LBB108_307:
	s_or_b64 exec, exec, s[6:7]
	v_or_b32_e32 v1, 0x800, v0
	v_cmp_gt_u32_e32 vcc, s8, v1
	s_and_saveexec_b64 s[6:7], vcc
	s_cbranch_execz .LBB108_309
; %bb.308:
	v_lshlrev_b32_e32 v1, 1, v1
	global_load_ushort v1, v1, s[4:5]
	s_mov_b32 s9, 0
	v_mov_b32_e32 v17, s9
	s_waitcnt vmcnt(0)
	v_cmp_ne_u16_e32 vcc, 0, v1
	s_nop 1
	v_cndmask_b32_e64 v16, 0, 1, vcc
.LBB108_309:
	s_or_b64 exec, exec, s[6:7]
	v_or_b32_e32 v1, 0x900, v0
	v_cmp_gt_u32_e32 vcc, s8, v1
	v_mov_b64_e32 v[20:21], 0
	v_mov_b64_e32 v[22:23], 0
	s_and_saveexec_b64 s[6:7], vcc
	s_cbranch_execz .LBB108_311
; %bb.310:
	v_lshlrev_b32_e32 v1, 1, v1
	global_load_ushort v1, v1, s[4:5]
	s_mov_b32 s9, 0
	v_mov_b32_e32 v23, s9
	s_waitcnt vmcnt(0)
	v_cmp_ne_u16_e32 vcc, 0, v1
	s_nop 1
	v_cndmask_b32_e64 v22, 0, 1, vcc
.LBB108_311:
	s_or_b64 exec, exec, s[6:7]
	v_or_b32_e32 v1, 0xa00, v0
	v_cmp_gt_u32_e32 vcc, s8, v1
	s_and_saveexec_b64 s[6:7], vcc
	s_cbranch_execz .LBB108_313
; %bb.312:
	v_lshlrev_b32_e32 v1, 1, v1
	global_load_ushort v1, v1, s[4:5]
	s_mov_b32 s9, 0
	v_mov_b32_e32 v21, s9
	s_waitcnt vmcnt(0)
	v_cmp_ne_u16_e32 vcc, 0, v1
	s_nop 1
	v_cndmask_b32_e64 v20, 0, 1, vcc
.LBB108_313:
	s_or_b64 exec, exec, s[6:7]
	v_or_b32_e32 v1, 0xb00, v0
	v_cmp_gt_u32_e32 vcc, s8, v1
	v_mov_b64_e32 v[24:25], 0
	v_mov_b64_e32 v[26:27], 0
	s_and_saveexec_b64 s[6:7], vcc
	s_cbranch_execz .LBB108_315
; %bb.314:
	v_lshlrev_b32_e32 v1, 1, v1
	global_load_ushort v1, v1, s[4:5]
	s_mov_b32 s9, 0
	v_mov_b32_e32 v27, s9
	s_waitcnt vmcnt(0)
	v_cmp_ne_u16_e32 vcc, 0, v1
	s_nop 1
	v_cndmask_b32_e64 v26, 0, 1, vcc
.LBB108_315:
	;; [unrolled: 32-line block ×27, first 2 shown]
	s_or_b64 exec, exec, s[6:7]
	v_or_b32_e32 v1, 0x3e00, v0
	v_cmp_gt_u32_e32 vcc, s8, v1
	s_and_saveexec_b64 s[6:7], vcc
	s_cbranch_execz .LBB108_417
; %bb.416:
	v_lshlrev_b32_e32 v1, 1, v1
	global_load_ushort v1, v1, s[4:5]
	s_mov_b32 s9, 0
	v_mov_b32_e32 v125, s9
	s_waitcnt vmcnt(0)
	v_cmp_ne_u16_e32 vcc, 0, v1
	s_nop 1
	v_cndmask_b32_e64 v124, 0, 1, vcc
.LBB108_417:
	s_or_b64 exec, exec, s[6:7]
	v_or_b32_e32 v1, 0x3f00, v0
	v_cmp_gt_u32_e32 vcc, s8, v1
	v_mov_b64_e32 v[128:129], 0
	s_and_saveexec_b64 s[6:7], vcc
	s_cbranch_execz .LBB108_419
; %bb.418:
	v_lshlrev_b32_e32 v1, 1, v1
	global_load_ushort v1, v1, s[4:5]
	s_mov_b32 s4, 0
	v_mov_b32_e32 v129, s4
	s_waitcnt vmcnt(0)
	v_cmp_ne_u16_e32 vcc, 0, v1
	s_nop 1
	v_cndmask_b32_e64 v128, 0, 1, vcc
.LBB108_419:
	s_or_b64 exec, exec, s[6:7]
	v_lshl_add_u64 v[2:3], v[6:7], 0, v[2:3]
	v_lshl_add_u64 v[2:3], v[2:3], 0, v[4:5]
	;; [unrolled: 1-line block ×58, first 2 shown]
	v_mbcnt_lo_u32_b32 v1, -1, 0
	v_lshl_add_u64 v[2:3], v[2:3], 0, v[122:123]
	v_mbcnt_hi_u32_b32 v1, -1, v1
	v_lshl_add_u64 v[2:3], v[2:3], 0, v[120:121]
	v_and_b32_e32 v9, 63, v1
	v_lshl_add_u64 v[2:3], v[2:3], 0, v[126:127]
	s_min_u32 s8, s8, 0x100
	v_and_b32_e32 v4, 0xc0, v0
	v_cmp_ne_u32_e32 vcc, 63, v9
	v_lshl_add_u64 v[2:3], v[2:3], 0, v[124:125]
	v_sub_u32_e64 v8, s8, v4 clamp
	v_addc_co_u32_e32 v4, vcc, 0, v1, vcc
	v_lshl_add_u64 v[2:3], v[2:3], 0, v[128:129]
	v_lshlrev_b32_e32 v5, 2, v4
	ds_bpermute_b32 v4, v5, v2
	ds_bpermute_b32 v7, v5, v3
	v_mov_b32_e32 v6, 0
	v_add_u32_e32 v10, 1, v9
	v_mov_b32_e32 v5, v6
	s_waitcnt lgkmcnt(1)
	v_lshl_add_u64 v[4:5], v[2:3], 0, v[4:5]
	v_cmp_lt_u32_e64 s[4:5], v10, v8
	v_cmp_gt_u32_e32 vcc, 62, v9
	s_waitcnt lgkmcnt(0)
	v_lshl_add_u64 v[6:7], v[6:7], 0, v[4:5]
	v_cndmask_b32_e64 v12, v2, v4, s[4:5]
	v_cndmask_b32_e64 v4, 0, 2, vcc
	v_cndmask_b32_e64 v5, v3, v7, s[4:5]
	v_add_lshl_u32 v4, v4, v1, 2
	ds_bpermute_b32 v10, v4, v12
	ds_bpermute_b32 v11, v4, v5
	v_cndmask_b32_e64 v4, v2, v6, s[4:5]
	v_add_u32_e32 v13, 2, v9
	v_cmp_lt_u32_e32 vcc, v13, v8
	v_cmp_gt_u32_e64 s[6:7], 60, v9
	s_waitcnt lgkmcnt(0)
	v_lshl_add_u64 v[6:7], v[10:11], 0, v[4:5]
	v_cndmask_b32_e32 v5, v5, v7, vcc
	v_cndmask_b32_e64 v7, 0, 4, s[6:7]
	v_cndmask_b32_e32 v12, v12, v6, vcc
	v_add_lshl_u32 v7, v7, v1, 2
	ds_bpermute_b32 v10, v7, v12
	ds_bpermute_b32 v11, v7, v5
	v_cndmask_b32_e32 v4, v4, v6, vcc
	v_add_u32_e32 v13, 4, v9
	v_cmp_lt_u32_e32 vcc, v13, v8
	v_cmp_gt_u32_e64 s[6:7], 56, v9
	s_waitcnt lgkmcnt(0)
	v_lshl_add_u64 v[6:7], v[10:11], 0, v[4:5]
	v_cndmask_b32_e32 v5, v5, v7, vcc
	v_cndmask_b32_e64 v7, 0, 8, s[6:7]
	v_cndmask_b32_e32 v12, v12, v6, vcc
	v_add_lshl_u32 v7, v7, v1, 2
	ds_bpermute_b32 v10, v7, v12
	ds_bpermute_b32 v11, v7, v5
	v_cndmask_b32_e32 v4, v4, v6, vcc
	;; [unrolled: 12-line block ×3, first 2 shown]
	v_add_u32_e32 v13, 16, v9
	v_cmp_lt_u32_e32 vcc, v13, v8
	s_waitcnt lgkmcnt(0)
	v_lshl_add_u64 v[6:7], v[10:11], 0, v[4:5]
	v_lshlrev_b32_e32 v10, 2, v1
	v_cndmask_b32_e32 v13, v5, v7, vcc
	v_cndmask_b32_e32 v11, v12, v6, vcc
	v_or_b32_e32 v12, 0x80, v10
	ds_bpermute_b32 v11, v12, v11
	ds_bpermute_b32 v12, v12, v13
	s_and_saveexec_b64 s[6:7], s[4:5]
	s_cbranch_execz .LBB108_421
; %bb.420:
	v_add_u32_e32 v9, 32, v9
	v_cndmask_b32_e32 v3, v5, v7, vcc
	v_cndmask_b32_e32 v2, v4, v6, vcc
	v_cmp_lt_u32_e32 vcc, v9, v8
	s_waitcnt lgkmcnt(0)
	s_nop 0
	v_cndmask_b32_e32 v5, 0, v12, vcc
	v_cndmask_b32_e32 v4, 0, v11, vcc
	v_lshl_add_u64 v[2:3], v[4:5], 0, v[2:3]
.LBB108_421:
	s_or_b64 exec, exec, s[6:7]
	v_cmp_eq_u32_e32 vcc, 0, v1
	s_and_saveexec_b64 s[4:5], vcc
; %bb.422:
	v_lshrrev_b32_e32 v4, 3, v0
	v_and_b32_e32 v4, 24, v4
	ds_write_b64 v4, v[2:3] offset:256
; %bb.423:
	s_or_b64 exec, exec, s[4:5]
	v_cmp_gt_u32_e32 vcc, 4, v0
	s_waitcnt lgkmcnt(0)
	s_barrier
	s_and_saveexec_b64 s[4:5], vcc
	s_cbranch_execz .LBB108_427
; %bb.424:
	v_lshlrev_b32_e32 v2, 3, v1
	ds_read_b64 v[2:3], v2 offset:256
	v_and_b32_e32 v6, 3, v1
	v_cmp_ne_u32_e32 vcc, 3, v6
	v_mov_b32_e32 v8, 0
	s_add_i32 s8, s8, 63
	v_addc_co_u32_e32 v1, vcc, 0, v1, vcc
	v_lshlrev_b32_e32 v1, 2, v1
	s_waitcnt lgkmcnt(0)
	ds_bpermute_b32 v4, v1, v2
	ds_bpermute_b32 v9, v1, v3
	v_mov_b32_e32 v5, v8
	s_lshr_b32 s8, s8, 6
	v_add_u32_e32 v1, 1, v6
	s_waitcnt lgkmcnt(1)
	v_lshl_add_u64 v[12:13], v[2:3], 0, v[4:5]
	s_waitcnt lgkmcnt(0)
	v_lshl_add_u64 v[4:5], v[8:9], 0, v[12:13]
	v_cmp_gt_u32_e32 vcc, s8, v1
	v_or_b32_e32 v8, 8, v10
	s_nop 0
	v_cndmask_b32_e32 v7, v3, v5, vcc
	v_cndmask_b32_e32 v1, v2, v12, vcc
	ds_bpermute_b32 v1, v8, v1
	ds_bpermute_b32 v7, v8, v7
	s_and_saveexec_b64 s[6:7], vcc
	s_cbranch_execz .LBB108_426
; %bb.425:
	v_add_u32_e32 v2, 2, v6
	v_cmp_gt_u32_e32 vcc, s8, v2
	s_waitcnt lgkmcnt(0)
	s_nop 0
	v_cndmask_b32_e32 v3, 0, v7, vcc
	v_cndmask_b32_e32 v2, 0, v1, vcc
	v_lshl_add_u64 v[2:3], v[2:3], 0, v[4:5]
.LBB108_426:
	s_or_b64 exec, exec, s[6:7]
.LBB108_427:
	s_or_b64 exec, exec, s[4:5]
.LBB108_428:
	v_cmp_eq_u32_e64 s[4:5], 0, v0
	v_mov_b64_e32 v[4:5], s[2:3]
.LBB108_429:
	s_branch .LBB108_567
.LBB108_430:
	s_cmp_gt_i32 s33, 31
	s_cbranch_scc0 .LBB108_438
; %bb.431:
	s_cmp_eq_u32 s33, 32
                                        ; implicit-def: $vgpr2_vgpr3
                                        ; implicit-def: $vgpr4_vgpr5
	s_cbranch_scc0 .LBB108_439
; %bb.432:
	s_mov_b32 s3, 0
	s_lshl_b32 s6, s2, 13
	s_mov_b32 s7, s3
	s_lshr_b64 s[8:9], s[36:37], 13
	s_lshl_b64 s[4:5], s[6:7], 1
	s_add_u32 s4, s40, s4
	s_addc_u32 s5, s41, s5
	s_cmp_lg_u64 s[8:9], s[2:3]
	s_cbranch_scc0 .LBB108_440
; %bb.433:
	v_lshlrev_b32_e32 v2, 1, v0
	s_waitcnt lgkmcnt(1)
	global_load_ushort v1, v2, s[4:5] offset:1536
	global_load_ushort v10, v2, s[4:5] offset:2048
	v_mov_b32_e32 v3, 0
	v_lshl_add_u64 v[4:5], s[4:5], 0, v[2:3]
	s_movk_i32 s8, 0x2000
	v_add_co_u32_e32 v6, vcc, s8, v4
	s_movk_i32 s7, 0x1000
	s_waitcnt lgkmcnt(0)
	v_addc_co_u32_e32 v7, vcc, 0, v5, vcc
	global_load_ushort v12, v2, s[4:5] offset:2560
	global_load_ushort v14, v2, s[4:5] offset:3072
	;; [unrolled: 1-line block ×3, first 2 shown]
	global_load_ushort v18, v[6:7], off offset:-4096
	v_add_co_u32_e32 v8, vcc, s7, v4
	s_movk_i32 s7, 0x3000
	s_nop 0
	v_addc_co_u32_e32 v9, vcc, 0, v5, vcc
	global_load_ushort v20, v[8:9], off offset:512
	global_load_ushort v22, v[8:9], off offset:1024
	;; [unrolled: 1-line block ×7, first 2 shown]
	global_load_ushort v30, v[6:7], off
	global_load_ushort v32, v[6:7], off offset:512
	global_load_ushort v34, v[6:7], off offset:1024
	global_load_ushort v36, v[6:7], off offset:1536
	global_load_ushort v38, v[6:7], off offset:2048
	global_load_ushort v40, v[6:7], off offset:2560
	global_load_ushort v42, v[6:7], off offset:3072
	global_load_ushort v44, v[6:7], off offset:3584
	v_add_co_u32_e32 v4, vcc, s7, v4
	v_mov_b32_e32 v7, s3
	s_nop 0
	v_addc_co_u32_e32 v5, vcc, 0, v5, vcc
	global_load_ushort v46, v[4:5], off
	global_load_ushort v48, v[4:5], off offset:512
	global_load_ushort v50, v[4:5], off offset:1024
	;; [unrolled: 1-line block ×3, first 2 shown]
	global_load_ushort v62, v2, s[4:5] offset:512
	global_load_ushort v63, v2, s[4:5] offset:1024
	global_load_ushort v54, v[4:5], off offset:2048
	global_load_ushort v56, v[4:5], off offset:2560
	;; [unrolled: 1-line block ×3, first 2 shown]
	global_load_ushort v64, v2, s[4:5]
	global_load_ushort v60, v[4:5], off offset:3584
	v_mov_b32_e32 v9, s3
	v_mov_b32_e32 v11, s3
	;; [unrolled: 1-line block ×26, first 2 shown]
	s_waitcnt vmcnt(31)
	v_cmp_ne_u16_e32 vcc, 0, v1
	s_nop 1
	v_cndmask_b32_e64 v6, 0, 1, vcc
	s_waitcnt vmcnt(30)
	v_cmp_ne_u16_e32 vcc, 0, v10
	s_nop 1
	v_cndmask_b32_e64 v8, 0, 1, vcc
	;; [unrolled: 4-line block ×10, first 2 shown]
	s_waitcnt vmcnt(21)
	v_cmp_ne_u16_e32 vcc, 0, v27
	v_mov_b32_e32 v27, s3
	s_nop 0
	v_cndmask_b32_e64 v24, 0, 1, vcc
	s_waitcnt vmcnt(20)
	v_cmp_ne_u16_e32 vcc, 0, v28
	s_nop 1
	v_cndmask_b32_e64 v26, 0, 1, vcc
	s_waitcnt vmcnt(19)
	v_cmp_ne_u16_e32 vcc, 0, v29
	v_mov_b32_e32 v29, s3
	s_nop 0
	v_cndmask_b32_e64 v28, 0, 1, vcc
	s_waitcnt vmcnt(18)
	v_cmp_ne_u16_e32 vcc, 0, v30
	s_nop 1
	v_cndmask_b32_e64 v30, 0, 1, vcc
	s_waitcnt vmcnt(17)
	v_cmp_ne_u16_e32 vcc, 0, v32
	;; [unrolled: 4-line block ×16, first 2 shown]
	s_nop 1
	v_cndmask_b32_e64 v60, 0, 1, vcc
	v_cmp_ne_u16_e32 vcc, 0, v62
	s_nop 1
	v_cndmask_b32_e64 v1, 0, 1, vcc
	v_cmp_ne_u16_e32 vcc, 0, v64
	;; [unrolled: 3-line block ×3, first 2 shown]
	s_nop 1
	v_addc_co_u32_e32 v2, vcc, v1, v2, vcc
	v_lshl_add_u64 v[6:7], v[2:3], 0, v[6:7]
	v_lshl_add_u64 v[6:7], v[6:7], 0, v[8:9]
	;; [unrolled: 1-line block ×29, first 2 shown]
	v_mov_b32_dpp v7, v3 quad_perm:[1,0,3,2] row_mask:0xf bank_mask:0xf bound_ctrl:1
	v_mov_b32_e32 v6, v3
	v_mov_b32_dpp v2, v4 quad_perm:[1,0,3,2] row_mask:0xf bank_mask:0xf bound_ctrl:1
	v_lshl_add_u64 v[4:5], v[4:5], 0, v[2:3]
	v_lshl_add_u64 v[6:7], v[6:7], 0, v[4:5]
	v_mbcnt_lo_u32_b32 v1, -1, 0
	v_mov_b32_dpp v2, v4 quad_perm:[2,3,0,1] row_mask:0xf bank_mask:0xf bound_ctrl:1
	v_mov_b32_dpp v5, v7 quad_perm:[2,3,0,1] row_mask:0xf bank_mask:0xf bound_ctrl:1
	v_mov_b32_e32 v4, v3
	v_lshl_add_u64 v[6:7], v[6:7], 0, v[2:3]
	v_lshl_add_u64 v[4:5], v[6:7], 0, v[4:5]
	v_mbcnt_hi_u32_b32 v1, -1, v1
	v_mov_b32_dpp v2, v6 row_ror:4 row_mask:0xf bank_mask:0xf bound_ctrl:1
	v_mov_b32_dpp v7, v5 row_ror:4 row_mask:0xf bank_mask:0xf bound_ctrl:1
	v_mov_b32_e32 v6, v3
	v_lshl_add_u64 v[4:5], v[4:5], 0, v[2:3]
	v_lshl_add_u64 v[6:7], v[4:5], 0, v[6:7]
	v_cmp_eq_u32_e32 vcc, 0, v1
	v_mov_b32_dpp v2, v4 row_ror:8 row_mask:0xf bank_mask:0xf bound_ctrl:1
	v_mov_b32_dpp v5, v7 row_ror:8 row_mask:0xf bank_mask:0xf bound_ctrl:1
	v_mov_b32_e32 v4, v3
	v_lshl_add_u64 v[6:7], v[6:7], 0, v[2:3]
	v_lshl_add_u64 v[4:5], v[6:7], 0, v[4:5]
	s_nop 0
	v_mov_b32_dpp v2, v6 row_bcast:15 row_mask:0xf bank_mask:0xf bound_ctrl:1
	v_mov_b32_dpp v7, v5 row_bcast:15 row_mask:0xf bank_mask:0xf bound_ctrl:1
	v_mov_b32_e32 v6, v3
	v_lshl_add_u64 v[4:5], v[4:5], 0, v[2:3]
	v_lshl_add_u64 v[6:7], v[4:5], 0, v[6:7]
	s_nop 0
	v_mov_b32_dpp v2, v4 row_bcast:31 row_mask:0xf bank_mask:0xf bound_ctrl:1
	v_lshl_add_u64 v[2:3], v[6:7], 0, v[2:3]
	v_lshlrev_b32_e32 v4, 2, v1
	v_or_b32_e32 v5, 0xfc, v4
	v_add_u32_dpp v3, v7, v3 row_bcast:31 row_mask:0xf bank_mask:0xf bound_ctrl:1
	ds_bpermute_b32 v2, v5, v2
	ds_bpermute_b32 v3, v5, v3
	s_and_saveexec_b64 s[8:9], vcc
	s_cbranch_execz .LBB108_435
; %bb.434:
	v_lshrrev_b32_e32 v5, 3, v0
	v_and_b32_e32 v5, 24, v5
	s_waitcnt lgkmcnt(0)
	ds_write_b64 v5, v[2:3] offset:128
.LBB108_435:
	s_or_b64 exec, exec, s[8:9]
	v_cmp_gt_u32_e32 vcc, 64, v0
	s_waitcnt lgkmcnt(0)
	s_barrier
	s_and_saveexec_b64 s[8:9], vcc
	s_cbranch_execz .LBB108_437
; %bb.436:
	v_and_b32_e32 v5, 3, v1
	v_lshlrev_b32_e32 v2, 3, v5
	ds_read_b64 v[2:3], v2 offset:128
	v_cmp_ne_u32_e32 vcc, 3, v5
	v_mov_b32_e32 v8, 0
	v_mov_b32_e32 v7, v8
	v_addc_co_u32_e32 v1, vcc, 0, v1, vcc
	v_lshlrev_b32_e32 v1, 2, v1
	s_waitcnt lgkmcnt(0)
	ds_bpermute_b32 v6, v1, v2
	ds_bpermute_b32 v9, v1, v3
	v_or_b32_e32 v1, 8, v4
	s_waitcnt lgkmcnt(1)
	v_lshl_add_u64 v[2:3], v[2:3], 0, v[6:7]
	s_waitcnt lgkmcnt(0)
	v_lshl_add_u64 v[4:5], v[8:9], 0, v[2:3]
	ds_bpermute_b32 v2, v1, v2
	ds_bpermute_b32 v9, v1, v5
	v_mov_b32_e32 v3, v8
	s_waitcnt lgkmcnt(1)
	v_lshl_add_u64 v[2:3], v[4:5], 0, v[2:3]
	s_waitcnt lgkmcnt(0)
	v_lshl_add_u64 v[2:3], v[2:3], 0, v[8:9]
.LBB108_437:
	s_or_b64 exec, exec, s[8:9]
	s_mov_b64 s[8:9], 0
	s_branch .LBB108_441
.LBB108_438:
                                        ; implicit-def: $vgpr2_vgpr3
                                        ; implicit-def: $vgpr4_vgpr5
	s_cbranch_execnz .LBB108_516
	s_branch .LBB108_567
.LBB108_439:
	s_branch .LBB108_567
.LBB108_440:
	s_mov_b64 s[8:9], -1
                                        ; implicit-def: $vgpr2_vgpr3
.LBB108_441:
	s_and_b64 vcc, exec, s[8:9]
	s_cbranch_vccz .LBB108_515
; %bb.442:
	s_sub_i32 s8, s36, s6
	v_cmp_gt_u32_e32 vcc, s8, v0
                                        ; implicit-def: $vgpr2_vgpr3
	s_and_saveexec_b64 s[6:7], vcc
	s_cbranch_execz .LBB108_444
; %bb.443:
	s_waitcnt lgkmcnt(1)
	v_lshlrev_b32_e32 v1, 1, v0
	global_load_ushort v1, v1, s[4:5]
	s_mov_b32 s9, 0
	v_mov_b32_e32 v3, s9
	s_waitcnt vmcnt(0)
	v_cmp_ne_u16_e32 vcc, 0, v1
	s_nop 1
	v_cndmask_b32_e64 v2, 0, 1, vcc
.LBB108_444:
	s_or_b64 exec, exec, s[6:7]
	s_waitcnt lgkmcnt(1)
	v_or_b32_e32 v1, 0x100, v0
	v_cmp_gt_u32_e32 vcc, s8, v1
	v_mov_b64_e32 v[4:5], 0
	s_waitcnt lgkmcnt(0)
	v_mov_b64_e32 v[6:7], 0
	s_and_saveexec_b64 s[6:7], vcc
	s_cbranch_execz .LBB108_446
; %bb.445:
	v_lshlrev_b32_e32 v1, 1, v0
	global_load_ushort v1, v1, s[4:5] offset:512
	s_mov_b32 s9, 0
	v_mov_b32_e32 v7, s9
	s_waitcnt vmcnt(0)
	v_cmp_ne_u16_e32 vcc, 0, v1
	s_nop 1
	v_cndmask_b32_e64 v6, 0, 1, vcc
.LBB108_446:
	s_or_b64 exec, exec, s[6:7]
	v_or_b32_e32 v1, 0x200, v0
	v_cmp_gt_u32_e32 vcc, s8, v1
	s_and_saveexec_b64 s[6:7], vcc
	s_cbranch_execz .LBB108_448
; %bb.447:
	v_lshlrev_b32_e32 v1, 1, v0
	global_load_ushort v1, v1, s[4:5] offset:1024
	s_mov_b32 s9, 0
	v_mov_b32_e32 v5, s9
	s_waitcnt vmcnt(0)
	v_cmp_ne_u16_e32 vcc, 0, v1
	s_nop 1
	v_cndmask_b32_e64 v4, 0, 1, vcc
.LBB108_448:
	s_or_b64 exec, exec, s[6:7]
	v_or_b32_e32 v1, 0x300, v0
	v_cmp_gt_u32_e32 vcc, s8, v1
	v_mov_b64_e32 v[8:9], 0
	v_mov_b64_e32 v[10:11], 0
	s_and_saveexec_b64 s[6:7], vcc
	s_cbranch_execz .LBB108_450
; %bb.449:
	v_lshlrev_b32_e32 v1, 1, v0
	global_load_ushort v1, v1, s[4:5] offset:1536
	s_mov_b32 s9, 0
	v_mov_b32_e32 v11, s9
	s_waitcnt vmcnt(0)
	v_cmp_ne_u16_e32 vcc, 0, v1
	s_nop 1
	v_cndmask_b32_e64 v10, 0, 1, vcc
.LBB108_450:
	s_or_b64 exec, exec, s[6:7]
	v_or_b32_e32 v1, 0x400, v0
	v_cmp_gt_u32_e32 vcc, s8, v1
	s_and_saveexec_b64 s[6:7], vcc
	s_cbranch_execz .LBB108_452
; %bb.451:
	v_lshlrev_b32_e32 v1, 1, v0
	global_load_ushort v1, v1, s[4:5] offset:2048
	s_mov_b32 s9, 0
	v_mov_b32_e32 v9, s9
	s_waitcnt vmcnt(0)
	v_cmp_ne_u16_e32 vcc, 0, v1
	s_nop 1
	v_cndmask_b32_e64 v8, 0, 1, vcc
.LBB108_452:
	s_or_b64 exec, exec, s[6:7]
	v_or_b32_e32 v1, 0x500, v0
	v_cmp_gt_u32_e32 vcc, s8, v1
	v_mov_b64_e32 v[12:13], 0
	v_mov_b64_e32 v[14:15], 0
	s_and_saveexec_b64 s[6:7], vcc
	s_cbranch_execz .LBB108_454
; %bb.453:
	v_lshlrev_b32_e32 v1, 1, v0
	global_load_ushort v1, v1, s[4:5] offset:2560
	s_mov_b32 s9, 0
	v_mov_b32_e32 v15, s9
	s_waitcnt vmcnt(0)
	v_cmp_ne_u16_e32 vcc, 0, v1
	s_nop 1
	v_cndmask_b32_e64 v14, 0, 1, vcc
.LBB108_454:
	s_or_b64 exec, exec, s[6:7]
	v_or_b32_e32 v1, 0x600, v0
	v_cmp_gt_u32_e32 vcc, s8, v1
	s_and_saveexec_b64 s[6:7], vcc
	s_cbranch_execz .LBB108_456
; %bb.455:
	v_lshlrev_b32_e32 v1, 1, v0
	global_load_ushort v1, v1, s[4:5] offset:3072
	s_mov_b32 s9, 0
	v_mov_b32_e32 v13, s9
	s_waitcnt vmcnt(0)
	v_cmp_ne_u16_e32 vcc, 0, v1
	s_nop 1
	v_cndmask_b32_e64 v12, 0, 1, vcc
.LBB108_456:
	s_or_b64 exec, exec, s[6:7]
	v_or_b32_e32 v1, 0x700, v0
	v_cmp_gt_u32_e32 vcc, s8, v1
	v_mov_b64_e32 v[16:17], 0
	v_mov_b64_e32 v[18:19], 0
	s_and_saveexec_b64 s[6:7], vcc
	s_cbranch_execz .LBB108_458
; %bb.457:
	v_lshlrev_b32_e32 v1, 1, v0
	global_load_ushort v1, v1, s[4:5] offset:3584
	s_mov_b32 s9, 0
	v_mov_b32_e32 v19, s9
	s_waitcnt vmcnt(0)
	v_cmp_ne_u16_e32 vcc, 0, v1
	s_nop 1
	v_cndmask_b32_e64 v18, 0, 1, vcc
.LBB108_458:
	s_or_b64 exec, exec, s[6:7]
	v_or_b32_e32 v1, 0x800, v0
	v_cmp_gt_u32_e32 vcc, s8, v1
	s_and_saveexec_b64 s[6:7], vcc
	s_cbranch_execz .LBB108_460
; %bb.459:
	v_lshlrev_b32_e32 v1, 1, v1
	global_load_ushort v1, v1, s[4:5]
	s_mov_b32 s9, 0
	v_mov_b32_e32 v17, s9
	s_waitcnt vmcnt(0)
	v_cmp_ne_u16_e32 vcc, 0, v1
	s_nop 1
	v_cndmask_b32_e64 v16, 0, 1, vcc
.LBB108_460:
	s_or_b64 exec, exec, s[6:7]
	v_or_b32_e32 v1, 0x900, v0
	v_cmp_gt_u32_e32 vcc, s8, v1
	v_mov_b64_e32 v[20:21], 0
	v_mov_b64_e32 v[22:23], 0
	s_and_saveexec_b64 s[6:7], vcc
	s_cbranch_execz .LBB108_462
; %bb.461:
	v_lshlrev_b32_e32 v1, 1, v1
	global_load_ushort v1, v1, s[4:5]
	s_mov_b32 s9, 0
	v_mov_b32_e32 v23, s9
	s_waitcnt vmcnt(0)
	v_cmp_ne_u16_e32 vcc, 0, v1
	s_nop 1
	v_cndmask_b32_e64 v22, 0, 1, vcc
.LBB108_462:
	s_or_b64 exec, exec, s[6:7]
	v_or_b32_e32 v1, 0xa00, v0
	v_cmp_gt_u32_e32 vcc, s8, v1
	s_and_saveexec_b64 s[6:7], vcc
	s_cbranch_execz .LBB108_464
; %bb.463:
	v_lshlrev_b32_e32 v1, 1, v1
	global_load_ushort v1, v1, s[4:5]
	s_mov_b32 s9, 0
	v_mov_b32_e32 v21, s9
	s_waitcnt vmcnt(0)
	v_cmp_ne_u16_e32 vcc, 0, v1
	s_nop 1
	v_cndmask_b32_e64 v20, 0, 1, vcc
.LBB108_464:
	s_or_b64 exec, exec, s[6:7]
	v_or_b32_e32 v1, 0xb00, v0
	v_cmp_gt_u32_e32 vcc, s8, v1
	v_mov_b64_e32 v[24:25], 0
	v_mov_b64_e32 v[26:27], 0
	s_and_saveexec_b64 s[6:7], vcc
	s_cbranch_execz .LBB108_466
; %bb.465:
	v_lshlrev_b32_e32 v1, 1, v1
	global_load_ushort v1, v1, s[4:5]
	s_mov_b32 s9, 0
	v_mov_b32_e32 v27, s9
	s_waitcnt vmcnt(0)
	v_cmp_ne_u16_e32 vcc, 0, v1
	s_nop 1
	v_cndmask_b32_e64 v26, 0, 1, vcc
.LBB108_466:
	;; [unrolled: 32-line block ×11, first 2 shown]
	s_or_b64 exec, exec, s[6:7]
	v_or_b32_e32 v1, 0x1e00, v0
	v_cmp_gt_u32_e32 vcc, s8, v1
	s_and_saveexec_b64 s[6:7], vcc
	s_cbranch_execz .LBB108_504
; %bb.503:
	v_lshlrev_b32_e32 v1, 1, v1
	global_load_ushort v1, v1, s[4:5]
	s_mov_b32 s9, 0
	v_mov_b32_e32 v61, s9
	s_waitcnt vmcnt(0)
	v_cmp_ne_u16_e32 vcc, 0, v1
	s_nop 1
	v_cndmask_b32_e64 v60, 0, 1, vcc
.LBB108_504:
	s_or_b64 exec, exec, s[6:7]
	v_or_b32_e32 v1, 0x1f00, v0
	v_cmp_gt_u32_e32 vcc, s8, v1
	v_mov_b64_e32 v[64:65], 0
	s_and_saveexec_b64 s[6:7], vcc
	s_cbranch_execz .LBB108_506
; %bb.505:
	v_lshlrev_b32_e32 v1, 1, v1
	global_load_ushort v1, v1, s[4:5]
	s_mov_b32 s4, 0
	v_mov_b32_e32 v65, s4
	s_waitcnt vmcnt(0)
	v_cmp_ne_u16_e32 vcc, 0, v1
	s_nop 1
	v_cndmask_b32_e64 v64, 0, 1, vcc
.LBB108_506:
	s_or_b64 exec, exec, s[6:7]
	v_lshl_add_u64 v[2:3], v[6:7], 0, v[2:3]
	v_lshl_add_u64 v[2:3], v[2:3], 0, v[4:5]
	;; [unrolled: 1-line block ×26, first 2 shown]
	v_mbcnt_lo_u32_b32 v1, -1, 0
	v_lshl_add_u64 v[2:3], v[2:3], 0, v[58:59]
	v_mbcnt_hi_u32_b32 v1, -1, v1
	v_lshl_add_u64 v[2:3], v[2:3], 0, v[56:57]
	v_and_b32_e32 v9, 63, v1
	v_lshl_add_u64 v[2:3], v[2:3], 0, v[62:63]
	s_min_u32 s8, s8, 0x100
	v_and_b32_e32 v4, 0xc0, v0
	v_cmp_ne_u32_e32 vcc, 63, v9
	v_lshl_add_u64 v[2:3], v[2:3], 0, v[60:61]
	v_sub_u32_e64 v8, s8, v4 clamp
	v_addc_co_u32_e32 v4, vcc, 0, v1, vcc
	v_lshl_add_u64 v[2:3], v[2:3], 0, v[64:65]
	v_lshlrev_b32_e32 v5, 2, v4
	ds_bpermute_b32 v4, v5, v2
	ds_bpermute_b32 v7, v5, v3
	v_mov_b32_e32 v6, 0
	v_add_u32_e32 v10, 1, v9
	v_mov_b32_e32 v5, v6
	s_waitcnt lgkmcnt(1)
	v_lshl_add_u64 v[4:5], v[2:3], 0, v[4:5]
	v_cmp_lt_u32_e64 s[4:5], v10, v8
	v_cmp_gt_u32_e32 vcc, 62, v9
	s_waitcnt lgkmcnt(0)
	v_lshl_add_u64 v[6:7], v[6:7], 0, v[4:5]
	v_cndmask_b32_e64 v12, v2, v4, s[4:5]
	v_cndmask_b32_e64 v4, 0, 2, vcc
	v_cndmask_b32_e64 v5, v3, v7, s[4:5]
	v_add_lshl_u32 v4, v4, v1, 2
	ds_bpermute_b32 v10, v4, v12
	ds_bpermute_b32 v11, v4, v5
	v_cndmask_b32_e64 v4, v2, v6, s[4:5]
	v_add_u32_e32 v13, 2, v9
	v_cmp_lt_u32_e32 vcc, v13, v8
	v_cmp_gt_u32_e64 s[6:7], 60, v9
	s_waitcnt lgkmcnt(0)
	v_lshl_add_u64 v[6:7], v[10:11], 0, v[4:5]
	v_cndmask_b32_e32 v5, v5, v7, vcc
	v_cndmask_b32_e64 v7, 0, 4, s[6:7]
	v_cndmask_b32_e32 v12, v12, v6, vcc
	v_add_lshl_u32 v7, v7, v1, 2
	ds_bpermute_b32 v10, v7, v12
	ds_bpermute_b32 v11, v7, v5
	v_cndmask_b32_e32 v4, v4, v6, vcc
	v_add_u32_e32 v13, 4, v9
	v_cmp_lt_u32_e32 vcc, v13, v8
	v_cmp_gt_u32_e64 s[6:7], 56, v9
	s_waitcnt lgkmcnt(0)
	v_lshl_add_u64 v[6:7], v[10:11], 0, v[4:5]
	v_cndmask_b32_e32 v5, v5, v7, vcc
	v_cndmask_b32_e64 v7, 0, 8, s[6:7]
	v_cndmask_b32_e32 v12, v12, v6, vcc
	v_add_lshl_u32 v7, v7, v1, 2
	ds_bpermute_b32 v10, v7, v12
	ds_bpermute_b32 v11, v7, v5
	v_cndmask_b32_e32 v4, v4, v6, vcc
	;; [unrolled: 12-line block ×3, first 2 shown]
	v_add_u32_e32 v13, 16, v9
	v_cmp_lt_u32_e32 vcc, v13, v8
	s_waitcnt lgkmcnt(0)
	v_lshl_add_u64 v[6:7], v[10:11], 0, v[4:5]
	v_lshlrev_b32_e32 v10, 2, v1
	v_cndmask_b32_e32 v13, v5, v7, vcc
	v_cndmask_b32_e32 v11, v12, v6, vcc
	v_or_b32_e32 v12, 0x80, v10
	ds_bpermute_b32 v11, v12, v11
	ds_bpermute_b32 v12, v12, v13
	s_and_saveexec_b64 s[6:7], s[4:5]
	s_cbranch_execz .LBB108_508
; %bb.507:
	v_add_u32_e32 v9, 32, v9
	v_cndmask_b32_e32 v3, v5, v7, vcc
	v_cndmask_b32_e32 v2, v4, v6, vcc
	v_cmp_lt_u32_e32 vcc, v9, v8
	s_waitcnt lgkmcnt(0)
	s_nop 0
	v_cndmask_b32_e32 v5, 0, v12, vcc
	v_cndmask_b32_e32 v4, 0, v11, vcc
	v_lshl_add_u64 v[2:3], v[4:5], 0, v[2:3]
.LBB108_508:
	s_or_b64 exec, exec, s[6:7]
	v_cmp_eq_u32_e32 vcc, 0, v1
	s_and_saveexec_b64 s[4:5], vcc
; %bb.509:
	v_lshrrev_b32_e32 v4, 3, v0
	v_and_b32_e32 v4, 24, v4
	ds_write_b64 v4, v[2:3] offset:256
; %bb.510:
	s_or_b64 exec, exec, s[4:5]
	v_cmp_gt_u32_e32 vcc, 4, v0
	s_waitcnt lgkmcnt(0)
	s_barrier
	s_and_saveexec_b64 s[4:5], vcc
	s_cbranch_execz .LBB108_514
; %bb.511:
	v_lshlrev_b32_e32 v2, 3, v1
	ds_read_b64 v[2:3], v2 offset:256
	v_and_b32_e32 v6, 3, v1
	v_cmp_ne_u32_e32 vcc, 3, v6
	v_mov_b32_e32 v8, 0
	s_add_i32 s8, s8, 63
	v_addc_co_u32_e32 v1, vcc, 0, v1, vcc
	v_lshlrev_b32_e32 v1, 2, v1
	s_waitcnt lgkmcnt(0)
	ds_bpermute_b32 v4, v1, v2
	ds_bpermute_b32 v9, v1, v3
	v_mov_b32_e32 v5, v8
	s_lshr_b32 s8, s8, 6
	v_add_u32_e32 v1, 1, v6
	s_waitcnt lgkmcnt(1)
	v_lshl_add_u64 v[12:13], v[2:3], 0, v[4:5]
	s_waitcnt lgkmcnt(0)
	v_lshl_add_u64 v[4:5], v[8:9], 0, v[12:13]
	v_cmp_gt_u32_e32 vcc, s8, v1
	v_or_b32_e32 v8, 8, v10
	s_nop 0
	v_cndmask_b32_e32 v7, v3, v5, vcc
	v_cndmask_b32_e32 v1, v2, v12, vcc
	ds_bpermute_b32 v1, v8, v1
	ds_bpermute_b32 v7, v8, v7
	s_and_saveexec_b64 s[6:7], vcc
	s_cbranch_execz .LBB108_513
; %bb.512:
	v_add_u32_e32 v2, 2, v6
	v_cmp_gt_u32_e32 vcc, s8, v2
	s_waitcnt lgkmcnt(0)
	s_nop 0
	v_cndmask_b32_e32 v3, 0, v7, vcc
	v_cndmask_b32_e32 v2, 0, v1, vcc
	v_lshl_add_u64 v[2:3], v[2:3], 0, v[4:5]
.LBB108_513:
	s_or_b64 exec, exec, s[6:7]
.LBB108_514:
	s_or_b64 exec, exec, s[4:5]
.LBB108_515:
	v_cmp_eq_u32_e64 s[4:5], 0, v0
	v_mov_b64_e32 v[4:5], s[2:3]
	s_branch .LBB108_567
.LBB108_516:
	s_cmp_eq_u32 s33, 16
                                        ; implicit-def: $vgpr2_vgpr3
                                        ; implicit-def: $vgpr4_vgpr5
	s_cbranch_scc0 .LBB108_567
; %bb.517:
	s_mov_b32 s3, 0
	s_lshl_b32 s4, s2, 12
	s_mov_b32 s5, s3
	s_lshr_b64 s[6:7], s[36:37], 12
	s_lshl_b64 s[8:9], s[4:5], 1
	s_add_u32 s34, s40, s8
	s_addc_u32 s35, s41, s9
	s_cmp_lg_u64 s[6:7], s[2:3]
	s_cbranch_scc0 .LBB108_523
; %bb.518:
	v_lshlrev_b32_e32 v2, 1, v0
	global_load_ushort v6, v2, s[34:35] offset:1536
	global_load_ushort v8, v2, s[34:35] offset:2048
	;; [unrolled: 1-line block ×3, first 2 shown]
	global_load_ushort v14, v2, s[34:35]
	global_load_ushort v12, v2, s[34:35] offset:3072
	global_load_ushort v16, v2, s[34:35] offset:512
	;; [unrolled: 1-line block ×4, first 2 shown]
	v_mov_b32_e32 v3, 0
	s_movk_i32 s5, 0x1000
	v_lshl_add_u64 v[4:5], s[34:35], 0, v[2:3]
	v_add_co_u32_e32 v4, vcc, s5, v4
	s_waitcnt lgkmcnt(0)
	v_mov_b32_e32 v7, s3
	v_addc_co_u32_e32 v5, vcc, 0, v5, vcc
	global_load_ushort v22, v[4:5], off
	global_load_ushort v24, v[4:5], off offset:512
	global_load_ushort v26, v[4:5], off offset:1024
	;; [unrolled: 1-line block ×7, first 2 shown]
	v_mov_b32_e32 v5, s3
	v_mov_b32_e32 v9, s3
	;; [unrolled: 1-line block ×12, first 2 shown]
	v_mov_b32_dpp v31, v3 quad_perm:[1,0,3,2] row_mask:0xf bank_mask:0xf bound_ctrl:1
	v_mov_b32_e32 v30, v3
	v_mov_b32_e32 v32, v3
	v_mov_b32_e32 v34, v3
	v_mov_b32_e32 v36, v3
	v_mbcnt_lo_u32_b32 v1, -1, 0
	v_mbcnt_hi_u32_b32 v1, -1, v1
	s_waitcnt vmcnt(15)
	v_cmp_ne_u16_e32 vcc, 0, v6
	s_nop 1
	v_cndmask_b32_e64 v4, 0, 1, vcc
	s_waitcnt vmcnt(14)
	v_cmp_ne_u16_e32 vcc, 0, v8
	s_nop 1
	v_cndmask_b32_e64 v6, 0, 1, vcc
	;; [unrolled: 4-line block ×5, first 2 shown]
	v_cmp_ne_u16_e32 vcc, 0, v16
	s_nop 1
	v_cndmask_b32_e64 v2, 0, 1, vcc
	v_cmp_ne_u16_e32 vcc, 0, v14
	s_nop 1
	v_cndmask_b32_e64 v14, 0, 1, vcc
	s_waitcnt vmcnt(8)
	v_cmp_ne_u16_e32 vcc, 0, v20
	s_nop 1
	v_addc_co_u32_e32 v2, vcc, v2, v14, vcc
	v_lshl_add_u64 v[4:5], v[2:3], 0, v[4:5]
	v_lshl_add_u64 v[4:5], v[4:5], 0, v[6:7]
	v_lshl_add_u64 v[4:5], v[4:5], 0, v[8:9]
	s_waitcnt vmcnt(7)
	v_cmp_ne_u16_e32 vcc, 0, v22
	v_lshl_add_u64 v[4:5], v[4:5], 0, v[10:11]
	v_lshl_add_u64 v[4:5], v[4:5], 0, v[12:13]
	v_cndmask_b32_e64 v14, 0, 1, vcc
	s_waitcnt vmcnt(6)
	v_cmp_ne_u16_e32 vcc, 0, v24
	v_lshl_add_u64 v[4:5], v[4:5], 0, v[14:15]
	s_nop 0
	v_cndmask_b32_e64 v16, 0, 1, vcc
	s_waitcnt vmcnt(5)
	v_cmp_ne_u16_e32 vcc, 0, v26
	v_lshl_add_u64 v[4:5], v[4:5], 0, v[16:17]
	s_nop 0
	;; [unrolled: 5-line block ×7, first 2 shown]
	v_cndmask_b32_e64 v28, 0, 1, vcc
	v_lshl_add_u64 v[4:5], v[4:5], 0, v[28:29]
	v_cmp_eq_u32_e32 vcc, 0, v1
	s_nop 0
	v_mov_b32_dpp v2, v4 quad_perm:[1,0,3,2] row_mask:0xf bank_mask:0xf bound_ctrl:1
	v_lshl_add_u64 v[4:5], v[4:5], 0, v[2:3]
	v_lshl_add_u64 v[6:7], v[30:31], 0, v[4:5]
	s_nop 0
	v_mov_b32_dpp v2, v4 quad_perm:[2,3,0,1] row_mask:0xf bank_mask:0xf bound_ctrl:1
	v_mov_b32_dpp v33, v7 quad_perm:[2,3,0,1] row_mask:0xf bank_mask:0xf bound_ctrl:1
	v_lshl_add_u64 v[4:5], v[6:7], 0, v[2:3]
	v_lshl_add_u64 v[6:7], v[4:5], 0, v[32:33]
	s_nop 0
	v_mov_b32_dpp v2, v4 row_ror:4 row_mask:0xf bank_mask:0xf bound_ctrl:1
	v_mov_b32_dpp v35, v7 row_ror:4 row_mask:0xf bank_mask:0xf bound_ctrl:1
	v_lshl_add_u64 v[4:5], v[6:7], 0, v[2:3]
	v_lshl_add_u64 v[6:7], v[4:5], 0, v[34:35]
	s_nop 0
	v_mov_b32_dpp v2, v4 row_ror:8 row_mask:0xf bank_mask:0xf bound_ctrl:1
	v_mov_b32_dpp v37, v7 row_ror:8 row_mask:0xf bank_mask:0xf bound_ctrl:1
	v_lshl_add_u64 v[4:5], v[6:7], 0, v[2:3]
	v_lshl_add_u64 v[6:7], v[4:5], 0, v[36:37]
	s_nop 0
	v_mov_b32_dpp v2, v4 row_bcast:15 row_mask:0xf bank_mask:0xf bound_ctrl:1
	v_mov_b32_dpp v5, v7 row_bcast:15 row_mask:0xf bank_mask:0xf bound_ctrl:1
	v_mov_b32_e32 v4, v3
	v_lshl_add_u64 v[6:7], v[6:7], 0, v[2:3]
	v_lshl_add_u64 v[4:5], v[6:7], 0, v[4:5]
	s_nop 0
	v_mov_b32_dpp v2, v6 row_bcast:31 row_mask:0xf bank_mask:0xf bound_ctrl:1
	v_lshl_add_u64 v[2:3], v[4:5], 0, v[2:3]
	v_lshlrev_b32_e32 v4, 2, v1
	s_nop 0
	v_add_u32_dpp v3, v5, v3 row_bcast:31 row_mask:0xf bank_mask:0xf bound_ctrl:1
	v_or_b32_e32 v5, 0xfc, v4
	ds_bpermute_b32 v2, v5, v2
	ds_bpermute_b32 v3, v5, v3
	s_and_saveexec_b64 s[6:7], vcc
	s_cbranch_execz .LBB108_520
; %bb.519:
	v_lshrrev_b32_e32 v5, 3, v0
	v_and_b32_e32 v5, 24, v5
	s_waitcnt lgkmcnt(0)
	ds_write_b64 v5, v[2:3] offset:32
.LBB108_520:
	s_or_b64 exec, exec, s[6:7]
	v_cmp_gt_u32_e32 vcc, 64, v0
	s_waitcnt lgkmcnt(0)
	s_barrier
	s_and_saveexec_b64 s[6:7], vcc
	s_cbranch_execz .LBB108_522
; %bb.521:
	v_and_b32_e32 v5, 3, v1
	v_lshlrev_b32_e32 v2, 3, v5
	ds_read_b64 v[2:3], v2 offset:32
	v_cmp_ne_u32_e32 vcc, 3, v5
	v_mov_b32_e32 v8, 0
	v_mov_b32_e32 v7, v8
	v_addc_co_u32_e32 v1, vcc, 0, v1, vcc
	v_lshlrev_b32_e32 v1, 2, v1
	s_waitcnt lgkmcnt(0)
	ds_bpermute_b32 v6, v1, v2
	ds_bpermute_b32 v9, v1, v3
	v_or_b32_e32 v1, 8, v4
	s_waitcnt lgkmcnt(1)
	v_lshl_add_u64 v[2:3], v[2:3], 0, v[6:7]
	s_waitcnt lgkmcnt(0)
	v_lshl_add_u64 v[4:5], v[8:9], 0, v[2:3]
	ds_bpermute_b32 v2, v1, v2
	ds_bpermute_b32 v9, v1, v5
	v_mov_b32_e32 v3, v8
	s_waitcnt lgkmcnt(1)
	v_lshl_add_u64 v[2:3], v[4:5], 0, v[2:3]
	s_waitcnt lgkmcnt(0)
	v_lshl_add_u64 v[2:3], v[2:3], 0, v[8:9]
.LBB108_522:
	s_or_b64 exec, exec, s[6:7]
	s_mov_b64 s[6:7], 0
	s_branch .LBB108_524
.LBB108_523:
	s_mov_b64 s[6:7], -1
                                        ; implicit-def: $vgpr2_vgpr3
.LBB108_524:
	s_and_b64 vcc, exec, s[6:7]
	s_cbranch_vccz .LBB108_566
; %bb.525:
	s_sub_i32 s44, s36, s4
	v_mov_b32_e32 v2, 0
	v_cmp_gt_u32_e32 vcc, s44, v0
	v_mov_b32_e32 v3, v2
	v_mov_b32_e32 v4, v2
	v_mov_b32_e32 v5, v2
	v_mov_b32_e32 v6, v2
	s_waitcnt lgkmcnt(0)
	v_mov_b32_e32 v7, v2
	v_mov_b32_e32 v8, v2
	;; [unrolled: 1-line block ×27, first 2 shown]
	s_and_saveexec_b64 s[4:5], vcc
	s_cbranch_execz .LBB108_527
; %bb.526:
	v_lshlrev_b32_e32 v1, 1, v0
	global_load_ushort v1, v1, s[34:35]
	v_mov_b32_e32 v3, v2
	v_mov_b32_e32 v4, v2
	;; [unrolled: 1-line block ×31, first 2 shown]
	s_waitcnt vmcnt(0)
	v_cmp_ne_u16_e32 vcc, 0, v1
	s_nop 1
	v_cndmask_b32_e64 v2, 0, 1, vcc
.LBB108_527:
	s_or_b64 exec, exec, s[4:5]
	v_or_b32_e32 v1, 0x100, v0
	v_cmp_gt_u32_e32 vcc, s44, v1
	s_and_saveexec_b64 s[6:7], vcc
	s_cbranch_execz .LBB108_529
; %bb.528:
	v_lshlrev_b32_e32 v1, 1, v0
	global_load_ushort v1, v1, s[34:35] offset:512
	s_mov_b32 s8, 0
	v_mov_b32_e32 v5, s8
	s_waitcnt vmcnt(0)
	v_cmp_ne_u16_e64 s[4:5], 0, v1
	s_nop 1
	v_cndmask_b32_e64 v4, 0, 1, s[4:5]
.LBB108_529:
	s_or_b64 exec, exec, s[6:7]
	v_or_b32_e32 v1, 0x200, v0
	v_cmp_gt_u32_e64 s[4:5], s44, v1
	s_and_saveexec_b64 s[8:9], s[4:5]
	s_cbranch_execz .LBB108_531
; %bb.530:
	v_lshlrev_b32_e32 v1, 1, v0
	global_load_ushort v1, v1, s[34:35] offset:1024
	s_mov_b32 s10, 0
	v_mov_b32_e32 v7, s10
	s_waitcnt vmcnt(0)
	v_cmp_ne_u16_e64 s[6:7], 0, v1
	s_nop 1
	v_cndmask_b32_e64 v6, 0, 1, s[6:7]
.LBB108_531:
	s_or_b64 exec, exec, s[8:9]
	v_or_b32_e32 v1, 0x300, v0
	v_cmp_gt_u32_e64 s[6:7], s44, v1
	s_and_saveexec_b64 s[10:11], s[6:7]
	;; [unrolled: 15-line block ×7, first 2 shown]
	s_cbranch_execz .LBB108_543
; %bb.542:
	v_lshlrev_b32_e32 v1, 1, v1
	global_load_ushort v1, v1, s[34:35]
	s_mov_b32 s22, 0
	v_mov_b32_e32 v19, s22
	s_waitcnt vmcnt(0)
	v_cmp_ne_u16_e64 s[18:19], 0, v1
	s_nop 1
	v_cndmask_b32_e64 v18, 0, 1, s[18:19]
.LBB108_543:
	s_or_b64 exec, exec, s[20:21]
	v_or_b32_e32 v1, 0x900, v0
	v_cmp_gt_u32_e64 s[18:19], s44, v1
	s_and_saveexec_b64 s[22:23], s[18:19]
	s_cbranch_execz .LBB108_545
; %bb.544:
	v_lshlrev_b32_e32 v1, 1, v1
	global_load_ushort v1, v1, s[34:35]
	s_mov_b32 s24, 0
	v_mov_b32_e32 v21, s24
	s_waitcnt vmcnt(0)
	v_cmp_ne_u16_e64 s[20:21], 0, v1
	s_nop 1
	v_cndmask_b32_e64 v20, 0, 1, s[20:21]
.LBB108_545:
	s_or_b64 exec, exec, s[22:23]
	v_or_b32_e32 v1, 0xa00, v0
	v_cmp_gt_u32_e64 s[20:21], s44, v1
	s_and_saveexec_b64 s[24:25], s[20:21]
	;; [unrolled: 15-line block ×7, first 2 shown]
	s_cbranch_execz .LBB108_557
; %bb.556:
	v_lshlrev_b32_e32 v1, 1, v1
	global_load_ushort v1, v1, s[34:35]
	s_mov_b32 s45, 0
	v_mov_b32_e32 v33, s45
	s_waitcnt vmcnt(0)
	v_cmp_ne_u16_e64 s[34:35], 0, v1
	s_nop 1
	v_cndmask_b32_e64 v32, 0, 1, s[34:35]
.LBB108_557:
	s_or_b64 exec, exec, s[42:43]
	v_cndmask_b32_e32 v5, 0, v5, vcc
	v_cndmask_b32_e32 v4, 0, v4, vcc
	v_lshl_add_u64 v[2:3], v[4:5], 0, v[2:3]
	v_cndmask_b32_e64 v5, 0, v7, s[4:5]
	v_cndmask_b32_e64 v4, 0, v6, s[4:5]
	v_lshl_add_u64 v[2:3], v[2:3], 0, v[4:5]
	v_cndmask_b32_e64 v5, 0, v9, s[6:7]
	v_cndmask_b32_e64 v4, 0, v8, s[6:7]
	v_lshl_add_u64 v[2:3], v[2:3], 0, v[4:5]
	v_cndmask_b32_e64 v5, 0, v11, s[8:9]
	v_cndmask_b32_e64 v4, 0, v10, s[8:9]
	v_lshl_add_u64 v[2:3], v[2:3], 0, v[4:5]
	v_cndmask_b32_e64 v5, 0, v13, s[10:11]
	v_cndmask_b32_e64 v4, 0, v12, s[10:11]
	v_lshl_add_u64 v[2:3], v[2:3], 0, v[4:5]
	v_cndmask_b32_e64 v5, 0, v15, s[12:13]
	v_cndmask_b32_e64 v4, 0, v14, s[12:13]
	v_lshl_add_u64 v[2:3], v[2:3], 0, v[4:5]
	v_cndmask_b32_e64 v5, 0, v17, s[14:15]
	v_cndmask_b32_e64 v4, 0, v16, s[14:15]
	v_lshl_add_u64 v[2:3], v[2:3], 0, v[4:5]
	v_cndmask_b32_e64 v5, 0, v19, s[16:17]
	v_cndmask_b32_e64 v4, 0, v18, s[16:17]
	v_lshl_add_u64 v[2:3], v[2:3], 0, v[4:5]
	v_cndmask_b32_e64 v5, 0, v21, s[18:19]
	v_cndmask_b32_e64 v4, 0, v20, s[18:19]
	v_lshl_add_u64 v[2:3], v[2:3], 0, v[4:5]
	v_cndmask_b32_e64 v5, 0, v23, s[20:21]
	v_cndmask_b32_e64 v4, 0, v22, s[20:21]
	v_lshl_add_u64 v[2:3], v[2:3], 0, v[4:5]
	v_cndmask_b32_e64 v5, 0, v25, s[22:23]
	v_cndmask_b32_e64 v4, 0, v24, s[22:23]
	v_lshl_add_u64 v[2:3], v[2:3], 0, v[4:5]
	v_cndmask_b32_e64 v5, 0, v27, s[24:25]
	v_cndmask_b32_e64 v4, 0, v26, s[24:25]
	v_lshl_add_u64 v[2:3], v[2:3], 0, v[4:5]
	v_cndmask_b32_e64 v5, 0, v29, s[26:27]
	v_cndmask_b32_e64 v4, 0, v28, s[26:27]
	v_mbcnt_lo_u32_b32 v1, -1, 0
	v_lshl_add_u64 v[2:3], v[2:3], 0, v[4:5]
	v_cndmask_b32_e64 v5, 0, v31, s[28:29]
	v_cndmask_b32_e64 v4, 0, v30, s[28:29]
	v_mbcnt_hi_u32_b32 v1, -1, v1
	v_lshl_add_u64 v[2:3], v[2:3], 0, v[4:5]
	v_cndmask_b32_e64 v5, 0, v33, s[30:31]
	v_cndmask_b32_e64 v4, 0, v32, s[30:31]
	v_and_b32_e32 v9, 63, v1
	v_lshl_add_u64 v[2:3], v[2:3], 0, v[4:5]
	s_min_u32 s8, s44, 0x100
	v_and_b32_e32 v4, 0xc0, v0
	v_cmp_ne_u32_e32 vcc, 63, v9
	v_sub_u32_e64 v8, s8, v4 clamp
	v_mov_b32_e32 v6, 0
	v_addc_co_u32_e32 v4, vcc, 0, v1, vcc
	v_lshlrev_b32_e32 v5, 2, v4
	ds_bpermute_b32 v4, v5, v2
	ds_bpermute_b32 v7, v5, v3
	v_add_u32_e32 v10, 1, v9
	v_mov_b32_e32 v5, v6
	v_cmp_lt_u32_e64 s[4:5], v10, v8
	s_waitcnt lgkmcnt(1)
	v_lshl_add_u64 v[4:5], v[2:3], 0, v[4:5]
	v_cmp_gt_u32_e32 vcc, 62, v9
	s_waitcnt lgkmcnt(0)
	v_lshl_add_u64 v[6:7], v[4:5], 0, v[6:7]
	v_cndmask_b32_e64 v12, v2, v4, s[4:5]
	v_cndmask_b32_e64 v4, 0, 2, vcc
	v_cndmask_b32_e64 v5, v3, v7, s[4:5]
	v_add_lshl_u32 v4, v4, v1, 2
	ds_bpermute_b32 v10, v4, v12
	ds_bpermute_b32 v11, v4, v5
	v_cndmask_b32_e64 v4, v2, v6, s[4:5]
	v_add_u32_e32 v13, 2, v9
	v_cmp_lt_u32_e32 vcc, v13, v8
	v_cmp_gt_u32_e64 s[6:7], 60, v9
	s_waitcnt lgkmcnt(0)
	v_lshl_add_u64 v[6:7], v[10:11], 0, v[4:5]
	v_cndmask_b32_e32 v5, v5, v7, vcc
	v_cndmask_b32_e64 v7, 0, 4, s[6:7]
	v_cndmask_b32_e32 v12, v12, v6, vcc
	v_add_lshl_u32 v7, v7, v1, 2
	ds_bpermute_b32 v10, v7, v12
	ds_bpermute_b32 v11, v7, v5
	v_cndmask_b32_e32 v4, v4, v6, vcc
	v_add_u32_e32 v13, 4, v9
	v_cmp_lt_u32_e32 vcc, v13, v8
	v_cmp_gt_u32_e64 s[6:7], 56, v9
	s_waitcnt lgkmcnt(0)
	v_lshl_add_u64 v[6:7], v[10:11], 0, v[4:5]
	v_cndmask_b32_e32 v5, v5, v7, vcc
	v_cndmask_b32_e64 v7, 0, 8, s[6:7]
	v_cndmask_b32_e32 v12, v12, v6, vcc
	v_add_lshl_u32 v7, v7, v1, 2
	ds_bpermute_b32 v10, v7, v12
	ds_bpermute_b32 v11, v7, v5
	v_cndmask_b32_e32 v4, v4, v6, vcc
	;; [unrolled: 12-line block ×3, first 2 shown]
	v_add_u32_e32 v13, 16, v9
	v_cmp_lt_u32_e32 vcc, v13, v8
	s_waitcnt lgkmcnt(0)
	v_lshl_add_u64 v[6:7], v[10:11], 0, v[4:5]
	v_lshlrev_b32_e32 v10, 2, v1
	v_cndmask_b32_e32 v13, v5, v7, vcc
	v_cndmask_b32_e32 v11, v12, v6, vcc
	v_or_b32_e32 v12, 0x80, v10
	ds_bpermute_b32 v11, v12, v11
	ds_bpermute_b32 v12, v12, v13
	s_and_saveexec_b64 s[6:7], s[4:5]
	s_cbranch_execz .LBB108_559
; %bb.558:
	v_add_u32_e32 v9, 32, v9
	v_cndmask_b32_e32 v3, v5, v7, vcc
	v_cndmask_b32_e32 v2, v4, v6, vcc
	v_cmp_lt_u32_e32 vcc, v9, v8
	s_waitcnt lgkmcnt(0)
	s_nop 0
	v_cndmask_b32_e32 v5, 0, v12, vcc
	v_cndmask_b32_e32 v4, 0, v11, vcc
	v_lshl_add_u64 v[2:3], v[2:3], 0, v[4:5]
.LBB108_559:
	s_or_b64 exec, exec, s[6:7]
	v_cmp_eq_u32_e32 vcc, 0, v1
	s_and_saveexec_b64 s[4:5], vcc
; %bb.560:
	v_lshrrev_b32_e32 v4, 3, v0
	v_and_b32_e32 v4, 24, v4
	ds_write_b64 v4, v[2:3] offset:256
; %bb.561:
	s_or_b64 exec, exec, s[4:5]
	v_cmp_gt_u32_e32 vcc, 4, v0
	s_waitcnt lgkmcnt(0)
	s_barrier
	s_and_saveexec_b64 s[4:5], vcc
	s_cbranch_execz .LBB108_565
; %bb.562:
	v_lshlrev_b32_e32 v2, 3, v1
	ds_read_b64 v[2:3], v2 offset:256
	v_and_b32_e32 v6, 3, v1
	v_cmp_ne_u32_e32 vcc, 3, v6
	v_mov_b32_e32 v8, 0
	s_add_i32 s8, s8, 63
	v_addc_co_u32_e32 v1, vcc, 0, v1, vcc
	v_lshlrev_b32_e32 v1, 2, v1
	s_waitcnt lgkmcnt(0)
	ds_bpermute_b32 v4, v1, v2
	ds_bpermute_b32 v9, v1, v3
	v_mov_b32_e32 v5, v8
	s_lshr_b32 s8, s8, 6
	v_add_u32_e32 v1, 1, v6
	s_waitcnt lgkmcnt(1)
	v_lshl_add_u64 v[12:13], v[2:3], 0, v[4:5]
	s_waitcnt lgkmcnt(0)
	v_lshl_add_u64 v[4:5], v[8:9], 0, v[12:13]
	v_cmp_gt_u32_e32 vcc, s8, v1
	v_or_b32_e32 v8, 8, v10
	s_nop 0
	v_cndmask_b32_e32 v7, v3, v5, vcc
	v_cndmask_b32_e32 v1, v2, v12, vcc
	ds_bpermute_b32 v1, v8, v1
	ds_bpermute_b32 v7, v8, v7
	s_and_saveexec_b64 s[6:7], vcc
	s_cbranch_execz .LBB108_564
; %bb.563:
	v_add_u32_e32 v2, 2, v6
	v_cmp_gt_u32_e32 vcc, s8, v2
	s_waitcnt lgkmcnt(0)
	s_nop 0
	v_cndmask_b32_e32 v3, 0, v7, vcc
	v_cndmask_b32_e32 v2, 0, v1, vcc
	v_lshl_add_u64 v[2:3], v[2:3], 0, v[4:5]
.LBB108_564:
	s_or_b64 exec, exec, s[6:7]
.LBB108_565:
	s_or_b64 exec, exec, s[4:5]
.LBB108_566:
	v_cmp_eq_u32_e64 s[4:5], 0, v0
	v_mov_b64_e32 v[4:5], s[2:3]
.LBB108_567:
	s_branch .LBB108_683
.LBB108_568:
	s_cmp_gt_i32 s33, 3
	s_cbranch_scc0 .LBB108_577
; %bb.569:
	s_cmp_gt_i32 s33, 7
	s_cbranch_scc0 .LBB108_578
; %bb.570:
	s_cmp_eq_u32 s33, 8
                                        ; implicit-def: $vgpr2_vgpr3
                                        ; implicit-def: $vgpr4_vgpr5
	s_cbranch_scc0 .LBB108_579
; %bb.571:
	s_mov_b32 s3, 0
	s_lshl_b32 s4, s2, 11
	s_mov_b32 s5, s3
	s_lshr_b64 s[6:7], s[36:37], 11
	s_lshl_b64 s[8:9], s[4:5], 1
	s_add_u32 s16, s40, s8
	s_addc_u32 s17, s41, s9
	s_cmp_lg_u64 s[6:7], s[2:3]
	s_cbranch_scc0 .LBB108_580
; %bb.572:
	s_waitcnt lgkmcnt(1)
	v_lshlrev_b32_e32 v1, 1, v0
	global_load_ushort v2, v1, s[16:17] offset:1536
	global_load_ushort v5, v1, s[16:17] offset:2048
	;; [unrolled: 1-line block ×6, first 2 shown]
	global_load_ushort v19, v1, s[16:17]
	global_load_ushort v21, v1, s[16:17] offset:1024
	v_mov_b32_e32 v3, s3
	v_mov_b32_e32 v15, 0
	s_waitcnt lgkmcnt(0)
	v_mov_b32_e32 v7, s3
	v_mov_b32_e32 v9, s3
	;; [unrolled: 1-line block ×4, first 2 shown]
	v_mov_b32_dpp v17, v15 quad_perm:[1,0,3,2] row_mask:0xf bank_mask:0xf bound_ctrl:1
	v_mov_b32_e32 v16, v15
	v_mov_b32_e32 v18, v15
	;; [unrolled: 1-line block ×4, first 2 shown]
	v_mbcnt_lo_u32_b32 v1, -1, 0
	v_mov_b32_e32 v24, v15
	v_mbcnt_hi_u32_b32 v1, -1, v1
	v_lshlrev_b32_e32 v4, 2, v1
	v_or_b32_e32 v26, 0xfc, v4
	s_waitcnt vmcnt(7)
	v_cmp_ne_u16_e32 vcc, 0, v2
	s_nop 1
	v_cndmask_b32_e64 v2, 0, 1, vcc
	s_waitcnt vmcnt(6)
	v_cmp_ne_u16_e32 vcc, 0, v5
	s_nop 1
	v_cndmask_b32_e64 v6, 0, 1, vcc
	;; [unrolled: 4-line block ×7, first 2 shown]
	s_waitcnt vmcnt(0)
	v_cmp_ne_u16_e32 vcc, 0, v21
	s_nop 1
	v_addc_co_u32_e32 v14, vcc, v5, v14, vcc
	v_lshl_add_u64 v[2:3], v[14:15], 0, v[2:3]
	v_lshl_add_u64 v[2:3], v[2:3], 0, v[6:7]
	;; [unrolled: 1-line block ×5, first 2 shown]
	v_cmp_eq_u32_e32 vcc, 0, v1
	s_nop 0
	v_mov_b32_dpp v14, v2 quad_perm:[1,0,3,2] row_mask:0xf bank_mask:0xf bound_ctrl:1
	v_lshl_add_u64 v[2:3], v[2:3], 0, v[14:15]
	v_lshl_add_u64 v[6:7], v[16:17], 0, v[2:3]
	s_nop 0
	v_mov_b32_dpp v14, v2 quad_perm:[2,3,0,1] row_mask:0xf bank_mask:0xf bound_ctrl:1
	v_mov_b32_dpp v19, v7 quad_perm:[2,3,0,1] row_mask:0xf bank_mask:0xf bound_ctrl:1
	v_lshl_add_u64 v[2:3], v[6:7], 0, v[14:15]
	v_lshl_add_u64 v[6:7], v[2:3], 0, v[18:19]
	s_nop 0
	v_mov_b32_dpp v14, v2 row_ror:4 row_mask:0xf bank_mask:0xf bound_ctrl:1
	v_mov_b32_dpp v21, v7 row_ror:4 row_mask:0xf bank_mask:0xf bound_ctrl:1
	v_lshl_add_u64 v[2:3], v[6:7], 0, v[14:15]
	v_lshl_add_u64 v[6:7], v[2:3], 0, v[20:21]
	s_nop 0
	v_mov_b32_dpp v14, v2 row_ror:8 row_mask:0xf bank_mask:0xf bound_ctrl:1
	v_mov_b32_dpp v23, v7 row_ror:8 row_mask:0xf bank_mask:0xf bound_ctrl:1
	v_lshl_add_u64 v[2:3], v[6:7], 0, v[14:15]
	v_lshl_add_u64 v[6:7], v[2:3], 0, v[22:23]
	s_nop 0
	v_mov_b32_dpp v14, v2 row_bcast:15 row_mask:0xf bank_mask:0xf bound_ctrl:1
	v_mov_b32_dpp v25, v7 row_bcast:15 row_mask:0xf bank_mask:0xf bound_ctrl:1
	v_lshl_add_u64 v[2:3], v[6:7], 0, v[14:15]
	v_lshl_add_u64 v[6:7], v[2:3], 0, v[24:25]
	s_nop 0
	v_mov_b32_dpp v14, v2 row_bcast:31 row_mask:0xf bank_mask:0xf bound_ctrl:1
	v_lshl_add_u64 v[2:3], v[6:7], 0, v[14:15]
	ds_bpermute_b32 v2, v26, v2
	s_nop 0
	v_add_u32_dpp v3, v7, v3 row_bcast:31 row_mask:0xf bank_mask:0xf bound_ctrl:1
	ds_bpermute_b32 v3, v26, v3
	s_and_saveexec_b64 s[6:7], vcc
	s_cbranch_execz .LBB108_574
; %bb.573:
	v_lshrrev_b32_e32 v5, 3, v0
	v_and_b32_e32 v5, 24, v5
	s_waitcnt lgkmcnt(0)
	ds_write_b64 v5, v[2:3] offset:224
.LBB108_574:
	s_or_b64 exec, exec, s[6:7]
	v_cmp_gt_u32_e32 vcc, 64, v0
	s_waitcnt lgkmcnt(0)
	s_barrier
	s_and_saveexec_b64 s[6:7], vcc
	s_cbranch_execz .LBB108_576
; %bb.575:
	v_and_b32_e32 v5, 3, v1
	v_lshlrev_b32_e32 v2, 3, v5
	ds_read_b64 v[2:3], v2 offset:224
	v_cmp_ne_u32_e32 vcc, 3, v5
	v_mov_b32_e32 v8, 0
	v_mov_b32_e32 v7, v8
	v_addc_co_u32_e32 v1, vcc, 0, v1, vcc
	v_lshlrev_b32_e32 v1, 2, v1
	s_waitcnt lgkmcnt(0)
	ds_bpermute_b32 v6, v1, v2
	ds_bpermute_b32 v9, v1, v3
	v_or_b32_e32 v1, 8, v4
	s_waitcnt lgkmcnt(1)
	v_lshl_add_u64 v[2:3], v[2:3], 0, v[6:7]
	s_waitcnt lgkmcnt(0)
	v_lshl_add_u64 v[4:5], v[8:9], 0, v[2:3]
	ds_bpermute_b32 v2, v1, v2
	ds_bpermute_b32 v9, v1, v5
	v_mov_b32_e32 v3, v8
	s_waitcnt lgkmcnt(1)
	v_lshl_add_u64 v[2:3], v[4:5], 0, v[2:3]
	s_waitcnt lgkmcnt(0)
	v_lshl_add_u64 v[2:3], v[2:3], 0, v[8:9]
.LBB108_576:
	s_or_b64 exec, exec, s[6:7]
	s_mov_b64 s[6:7], 0
	s_branch .LBB108_581
.LBB108_577:
                                        ; implicit-def: $vgpr2_vgpr3
                                        ; implicit-def: $vgpr4_vgpr5
	s_cbranch_execnz .LBB108_636
	s_branch .LBB108_683
.LBB108_578:
                                        ; implicit-def: $vgpr2_vgpr3
                                        ; implicit-def: $vgpr4_vgpr5
	s_cbranch_execnz .LBB108_608
	s_branch .LBB108_635
.LBB108_579:
	s_branch .LBB108_635
.LBB108_580:
	s_mov_b64 s[6:7], -1
                                        ; implicit-def: $vgpr2_vgpr3
.LBB108_581:
	s_and_b64 vcc, exec, s[6:7]
	s_cbranch_vccz .LBB108_607
; %bb.582:
	s_sub_i32 s20, s36, s4
	v_mov_b32_e32 v2, 0
	v_cmp_gt_u32_e32 vcc, s20, v0
	v_mov_b32_e32 v3, v2
	v_mov_b32_e32 v4, v2
	;; [unrolled: 1-line block ×4, first 2 shown]
	s_waitcnt lgkmcnt(0)
	v_mov_b32_e32 v7, v2
	v_mov_b32_e32 v8, v2
	;; [unrolled: 1-line block ×11, first 2 shown]
	s_and_saveexec_b64 s[4:5], vcc
	s_cbranch_execz .LBB108_584
; %bb.583:
	v_lshlrev_b32_e32 v1, 1, v0
	global_load_ushort v1, v1, s[16:17]
	v_mov_b32_e32 v5, v2
	v_mov_b32_e32 v6, v2
	;; [unrolled: 1-line block ×15, first 2 shown]
	s_waitcnt vmcnt(0)
	v_cmp_ne_u16_e32 vcc, 0, v1
	s_nop 1
	v_cndmask_b32_e64 v1, 0, 1, vcc
	v_and_b32_e32 v4, 0xffff, v1
	v_mov_b64_e32 v[2:3], v[4:5]
	v_mov_b64_e32 v[4:5], v[6:7]
	v_mov_b64_e32 v[6:7], v[8:9]
	v_mov_b64_e32 v[8:9], v[10:11]
	v_mov_b64_e32 v[10:11], v[12:13]
	v_mov_b64_e32 v[12:13], v[14:15]
	v_mov_b64_e32 v[14:15], v[16:17]
	v_mov_b64_e32 v[16:17], v[18:19]
.LBB108_584:
	s_or_b64 exec, exec, s[4:5]
	v_or_b32_e32 v1, 0x100, v0
	v_cmp_gt_u32_e32 vcc, s20, v1
	s_and_saveexec_b64 s[6:7], vcc
	s_cbranch_execz .LBB108_586
; %bb.585:
	v_lshlrev_b32_e32 v1, 1, v0
	global_load_ushort v1, v1, s[16:17] offset:512
	s_mov_b32 s8, 0
	v_mov_b32_e32 v5, s8
	s_waitcnt vmcnt(0)
	v_cmp_ne_u16_e64 s[4:5], 0, v1
	s_nop 1
	v_cndmask_b32_e64 v4, 0, 1, s[4:5]
.LBB108_586:
	s_or_b64 exec, exec, s[6:7]
	v_or_b32_e32 v1, 0x200, v0
	v_cmp_gt_u32_e64 s[4:5], s20, v1
	s_and_saveexec_b64 s[8:9], s[4:5]
	s_cbranch_execz .LBB108_588
; %bb.587:
	v_lshlrev_b32_e32 v1, 1, v0
	global_load_ushort v1, v1, s[16:17] offset:1024
	s_mov_b32 s10, 0
	v_mov_b32_e32 v7, s10
	s_waitcnt vmcnt(0)
	v_cmp_ne_u16_e64 s[6:7], 0, v1
	s_nop 1
	v_cndmask_b32_e64 v6, 0, 1, s[6:7]
.LBB108_588:
	s_or_b64 exec, exec, s[8:9]
	v_or_b32_e32 v1, 0x300, v0
	v_cmp_gt_u32_e64 s[6:7], s20, v1
	s_and_saveexec_b64 s[10:11], s[6:7]
	;; [unrolled: 15-line block ×6, first 2 shown]
	s_cbranch_execz .LBB108_598
; %bb.597:
	v_lshlrev_b32_e32 v1, 1, v0
	global_load_ushort v1, v1, s[16:17] offset:3584
	s_mov_b32 s21, 0
	v_mov_b32_e32 v17, s21
	s_waitcnt vmcnt(0)
	v_cmp_ne_u16_e64 s[16:17], 0, v1
	s_nop 1
	v_cndmask_b32_e64 v16, 0, 1, s[16:17]
.LBB108_598:
	s_or_b64 exec, exec, s[18:19]
	v_cndmask_b32_e32 v5, 0, v5, vcc
	v_cndmask_b32_e32 v4, 0, v4, vcc
	v_lshl_add_u64 v[2:3], v[4:5], 0, v[2:3]
	v_cndmask_b32_e64 v5, 0, v7, s[4:5]
	v_cndmask_b32_e64 v4, 0, v6, s[4:5]
	v_lshl_add_u64 v[2:3], v[2:3], 0, v[4:5]
	v_cndmask_b32_e64 v5, 0, v9, s[6:7]
	v_cndmask_b32_e64 v4, 0, v8, s[6:7]
	;; [unrolled: 3-line block ×4, first 2 shown]
	v_mbcnt_lo_u32_b32 v1, -1, 0
	v_lshl_add_u64 v[2:3], v[2:3], 0, v[4:5]
	v_cndmask_b32_e64 v5, 0, v15, s[12:13]
	v_cndmask_b32_e64 v4, 0, v14, s[12:13]
	v_mbcnt_hi_u32_b32 v1, -1, v1
	v_lshl_add_u64 v[2:3], v[2:3], 0, v[4:5]
	v_cndmask_b32_e64 v5, 0, v17, s[14:15]
	v_cndmask_b32_e64 v4, 0, v16, s[14:15]
	v_and_b32_e32 v9, 63, v1
	v_lshl_add_u64 v[2:3], v[2:3], 0, v[4:5]
	s_min_u32 s8, s20, 0x100
	v_and_b32_e32 v4, 0xc0, v0
	v_cmp_ne_u32_e32 vcc, 63, v9
	v_sub_u32_e64 v8, s8, v4 clamp
	v_mov_b32_e32 v6, 0
	v_addc_co_u32_e32 v4, vcc, 0, v1, vcc
	v_lshlrev_b32_e32 v5, 2, v4
	ds_bpermute_b32 v4, v5, v2
	ds_bpermute_b32 v7, v5, v3
	v_add_u32_e32 v10, 1, v9
	v_mov_b32_e32 v5, v6
	v_cmp_lt_u32_e64 s[4:5], v10, v8
	s_waitcnt lgkmcnt(1)
	v_lshl_add_u64 v[4:5], v[2:3], 0, v[4:5]
	v_cmp_gt_u32_e32 vcc, 62, v9
	s_waitcnt lgkmcnt(0)
	v_lshl_add_u64 v[6:7], v[4:5], 0, v[6:7]
	v_cndmask_b32_e64 v12, v2, v4, s[4:5]
	v_cndmask_b32_e64 v4, 0, 2, vcc
	v_cndmask_b32_e64 v5, v3, v7, s[4:5]
	v_add_lshl_u32 v4, v4, v1, 2
	ds_bpermute_b32 v10, v4, v12
	ds_bpermute_b32 v11, v4, v5
	v_cndmask_b32_e64 v4, v2, v6, s[4:5]
	v_add_u32_e32 v13, 2, v9
	v_cmp_lt_u32_e32 vcc, v13, v8
	v_cmp_gt_u32_e64 s[6:7], 60, v9
	s_waitcnt lgkmcnt(0)
	v_lshl_add_u64 v[6:7], v[10:11], 0, v[4:5]
	v_cndmask_b32_e32 v5, v5, v7, vcc
	v_cndmask_b32_e64 v7, 0, 4, s[6:7]
	v_cndmask_b32_e32 v12, v12, v6, vcc
	v_add_lshl_u32 v7, v7, v1, 2
	ds_bpermute_b32 v10, v7, v12
	ds_bpermute_b32 v11, v7, v5
	v_cndmask_b32_e32 v4, v4, v6, vcc
	v_add_u32_e32 v13, 4, v9
	v_cmp_lt_u32_e32 vcc, v13, v8
	v_cmp_gt_u32_e64 s[6:7], 56, v9
	s_waitcnt lgkmcnt(0)
	v_lshl_add_u64 v[6:7], v[10:11], 0, v[4:5]
	v_cndmask_b32_e32 v5, v5, v7, vcc
	v_cndmask_b32_e64 v7, 0, 8, s[6:7]
	v_cndmask_b32_e32 v12, v12, v6, vcc
	v_add_lshl_u32 v7, v7, v1, 2
	ds_bpermute_b32 v10, v7, v12
	ds_bpermute_b32 v11, v7, v5
	v_cndmask_b32_e32 v4, v4, v6, vcc
	;; [unrolled: 12-line block ×3, first 2 shown]
	v_add_u32_e32 v13, 16, v9
	v_cmp_lt_u32_e32 vcc, v13, v8
	s_waitcnt lgkmcnt(0)
	v_lshl_add_u64 v[6:7], v[10:11], 0, v[4:5]
	v_lshlrev_b32_e32 v10, 2, v1
	v_cndmask_b32_e32 v13, v5, v7, vcc
	v_cndmask_b32_e32 v11, v12, v6, vcc
	v_or_b32_e32 v12, 0x80, v10
	ds_bpermute_b32 v11, v12, v11
	ds_bpermute_b32 v12, v12, v13
	s_and_saveexec_b64 s[6:7], s[4:5]
	s_cbranch_execz .LBB108_600
; %bb.599:
	v_add_u32_e32 v9, 32, v9
	v_cndmask_b32_e32 v3, v5, v7, vcc
	v_cndmask_b32_e32 v2, v4, v6, vcc
	v_cmp_lt_u32_e32 vcc, v9, v8
	s_waitcnt lgkmcnt(0)
	s_nop 0
	v_cndmask_b32_e32 v5, 0, v12, vcc
	v_cndmask_b32_e32 v4, 0, v11, vcc
	v_lshl_add_u64 v[2:3], v[2:3], 0, v[4:5]
.LBB108_600:
	s_or_b64 exec, exec, s[6:7]
	v_cmp_eq_u32_e32 vcc, 0, v1
	s_and_saveexec_b64 s[4:5], vcc
; %bb.601:
	v_lshrrev_b32_e32 v4, 3, v0
	v_and_b32_e32 v4, 24, v4
	ds_write_b64 v4, v[2:3] offset:256
; %bb.602:
	s_or_b64 exec, exec, s[4:5]
	v_cmp_gt_u32_e32 vcc, 4, v0
	s_waitcnt lgkmcnt(0)
	s_barrier
	s_and_saveexec_b64 s[4:5], vcc
	s_cbranch_execz .LBB108_606
; %bb.603:
	v_lshlrev_b32_e32 v2, 3, v1
	ds_read_b64 v[2:3], v2 offset:256
	v_and_b32_e32 v6, 3, v1
	v_cmp_ne_u32_e32 vcc, 3, v6
	v_mov_b32_e32 v8, 0
	s_add_i32 s8, s8, 63
	v_addc_co_u32_e32 v1, vcc, 0, v1, vcc
	v_lshlrev_b32_e32 v1, 2, v1
	s_waitcnt lgkmcnt(0)
	ds_bpermute_b32 v4, v1, v2
	ds_bpermute_b32 v9, v1, v3
	v_mov_b32_e32 v5, v8
	s_lshr_b32 s8, s8, 6
	v_add_u32_e32 v1, 1, v6
	s_waitcnt lgkmcnt(1)
	v_lshl_add_u64 v[12:13], v[2:3], 0, v[4:5]
	s_waitcnt lgkmcnt(0)
	v_lshl_add_u64 v[4:5], v[8:9], 0, v[12:13]
	v_cmp_gt_u32_e32 vcc, s8, v1
	v_or_b32_e32 v8, 8, v10
	s_nop 0
	v_cndmask_b32_e32 v7, v3, v5, vcc
	v_cndmask_b32_e32 v1, v2, v12, vcc
	ds_bpermute_b32 v1, v8, v1
	ds_bpermute_b32 v7, v8, v7
	s_and_saveexec_b64 s[6:7], vcc
	s_cbranch_execz .LBB108_605
; %bb.604:
	v_add_u32_e32 v2, 2, v6
	v_cmp_gt_u32_e32 vcc, s8, v2
	s_waitcnt lgkmcnt(0)
	s_nop 0
	v_cndmask_b32_e32 v3, 0, v7, vcc
	v_cndmask_b32_e32 v2, 0, v1, vcc
	v_lshl_add_u64 v[2:3], v[2:3], 0, v[4:5]
.LBB108_605:
	s_or_b64 exec, exec, s[6:7]
.LBB108_606:
	s_or_b64 exec, exec, s[4:5]
.LBB108_607:
	v_cmp_eq_u32_e64 s[4:5], 0, v0
	v_mov_b64_e32 v[4:5], s[2:3]
	s_branch .LBB108_635
.LBB108_608:
	s_cmp_eq_u32 s33, 4
                                        ; implicit-def: $vgpr2_vgpr3
                                        ; implicit-def: $vgpr4_vgpr5
	s_cbranch_scc0 .LBB108_635
; %bb.609:
	s_mov_b32 s3, 0
	s_lshl_b32 s4, s2, 10
	s_mov_b32 s5, s3
	s_lshr_b64 s[6:7], s[36:37], 10
	s_lshl_b64 s[8:9], s[4:5], 1
	s_add_u32 s8, s40, s8
	s_addc_u32 s9, s41, s9
	s_cmp_lg_u64 s[6:7], s[2:3]
	s_cbranch_scc0 .LBB108_615
; %bb.610:
	s_waitcnt lgkmcnt(1)
	v_lshlrev_b32_e32 v1, 1, v0
	global_load_ushort v2, v1, s[8:9] offset:1536
	global_load_ushort v5, v1, s[8:9] offset:512
	global_load_ushort v6, v1, s[8:9]
	global_load_ushort v11, v1, s[8:9] offset:1024
	v_mov_b32_e32 v3, s3
	s_waitcnt lgkmcnt(0)
	v_mov_b32_e32 v7, 0
	v_mov_b32_e32 v8, v7
	;; [unrolled: 1-line block ×3, first 2 shown]
	v_mov_b32_dpp v9, v7 quad_perm:[1,0,3,2] row_mask:0xf bank_mask:0xf bound_ctrl:1
	v_mov_b32_e32 v12, v7
	v_mov_b32_e32 v14, v7
	v_mbcnt_lo_u32_b32 v1, -1, 0
	v_mov_b32_e32 v16, v7
	v_mbcnt_hi_u32_b32 v1, -1, v1
	v_lshlrev_b32_e32 v4, 2, v1
	v_or_b32_e32 v18, 0xfc, v4
	s_waitcnt vmcnt(3)
	v_cmp_ne_u16_e32 vcc, 0, v2
	s_nop 1
	v_cndmask_b32_e64 v2, 0, 1, vcc
	s_waitcnt vmcnt(2)
	v_cmp_ne_u16_e32 vcc, 0, v5
	s_nop 1
	v_cndmask_b32_e64 v5, 0, 1, vcc
	;; [unrolled: 4-line block ×3, first 2 shown]
	s_waitcnt vmcnt(0)
	v_cmp_ne_u16_e32 vcc, 0, v11
	s_nop 1
	v_addc_co_u32_e32 v6, vcc, v5, v6, vcc
	v_lshl_add_u64 v[2:3], v[6:7], 0, v[2:3]
	v_cmp_eq_u32_e32 vcc, 0, v1
	s_nop 0
	v_mov_b32_dpp v6, v2 quad_perm:[1,0,3,2] row_mask:0xf bank_mask:0xf bound_ctrl:1
	v_lshl_add_u64 v[2:3], v[2:3], 0, v[6:7]
	v_lshl_add_u64 v[8:9], v[8:9], 0, v[2:3]
	s_nop 0
	v_mov_b32_dpp v6, v2 quad_perm:[2,3,0,1] row_mask:0xf bank_mask:0xf bound_ctrl:1
	v_mov_b32_dpp v11, v9 quad_perm:[2,3,0,1] row_mask:0xf bank_mask:0xf bound_ctrl:1
	v_lshl_add_u64 v[2:3], v[8:9], 0, v[6:7]
	v_lshl_add_u64 v[8:9], v[2:3], 0, v[10:11]
	s_nop 0
	v_mov_b32_dpp v6, v2 row_ror:4 row_mask:0xf bank_mask:0xf bound_ctrl:1
	v_mov_b32_dpp v13, v9 row_ror:4 row_mask:0xf bank_mask:0xf bound_ctrl:1
	v_lshl_add_u64 v[2:3], v[8:9], 0, v[6:7]
	v_lshl_add_u64 v[8:9], v[2:3], 0, v[12:13]
	s_nop 0
	v_mov_b32_dpp v6, v2 row_ror:8 row_mask:0xf bank_mask:0xf bound_ctrl:1
	v_mov_b32_dpp v15, v9 row_ror:8 row_mask:0xf bank_mask:0xf bound_ctrl:1
	v_lshl_add_u64 v[2:3], v[8:9], 0, v[6:7]
	v_lshl_add_u64 v[8:9], v[2:3], 0, v[14:15]
	s_nop 0
	v_mov_b32_dpp v6, v2 row_bcast:15 row_mask:0xf bank_mask:0xf bound_ctrl:1
	v_mov_b32_dpp v17, v9 row_bcast:15 row_mask:0xf bank_mask:0xf bound_ctrl:1
	v_lshl_add_u64 v[2:3], v[8:9], 0, v[6:7]
	v_lshl_add_u64 v[8:9], v[2:3], 0, v[16:17]
	s_nop 0
	v_mov_b32_dpp v6, v2 row_bcast:31 row_mask:0xf bank_mask:0xf bound_ctrl:1
	v_lshl_add_u64 v[2:3], v[8:9], 0, v[6:7]
	ds_bpermute_b32 v2, v18, v2
	s_nop 0
	v_add_u32_dpp v3, v9, v3 row_bcast:31 row_mask:0xf bank_mask:0xf bound_ctrl:1
	ds_bpermute_b32 v3, v18, v3
	s_and_saveexec_b64 s[6:7], vcc
	s_cbranch_execz .LBB108_612
; %bb.611:
	v_lshrrev_b32_e32 v5, 3, v0
	v_and_b32_e32 v5, 24, v5
	s_waitcnt lgkmcnt(0)
	ds_write_b64 v5, v[2:3] offset:160
.LBB108_612:
	s_or_b64 exec, exec, s[6:7]
	v_cmp_gt_u32_e32 vcc, 64, v0
	s_waitcnt lgkmcnt(0)
	s_barrier
	s_and_saveexec_b64 s[6:7], vcc
	s_cbranch_execz .LBB108_614
; %bb.613:
	v_and_b32_e32 v5, 3, v1
	v_lshlrev_b32_e32 v2, 3, v5
	ds_read_b64 v[2:3], v2 offset:160
	v_cmp_ne_u32_e32 vcc, 3, v5
	v_mov_b32_e32 v8, 0
	v_mov_b32_e32 v7, v8
	v_addc_co_u32_e32 v1, vcc, 0, v1, vcc
	v_lshlrev_b32_e32 v1, 2, v1
	s_waitcnt lgkmcnt(0)
	ds_bpermute_b32 v6, v1, v2
	ds_bpermute_b32 v9, v1, v3
	v_or_b32_e32 v1, 8, v4
	s_waitcnt lgkmcnt(1)
	v_lshl_add_u64 v[2:3], v[2:3], 0, v[6:7]
	s_waitcnt lgkmcnt(0)
	v_lshl_add_u64 v[4:5], v[8:9], 0, v[2:3]
	ds_bpermute_b32 v2, v1, v2
	ds_bpermute_b32 v9, v1, v5
	v_mov_b32_e32 v3, v8
	s_waitcnt lgkmcnt(1)
	v_lshl_add_u64 v[2:3], v[4:5], 0, v[2:3]
	s_waitcnt lgkmcnt(0)
	v_lshl_add_u64 v[2:3], v[2:3], 0, v[8:9]
.LBB108_614:
	s_or_b64 exec, exec, s[6:7]
	s_mov_b64 s[6:7], 0
	s_branch .LBB108_616
.LBB108_615:
	s_mov_b64 s[6:7], -1
                                        ; implicit-def: $vgpr2_vgpr3
.LBB108_616:
	s_and_b64 vcc, exec, s[6:7]
	s_cbranch_vccz .LBB108_634
; %bb.617:
	s_sub_i32 s12, s36, s4
	v_mov_b32_e32 v2, 0
	v_cmp_gt_u32_e32 vcc, s12, v0
	v_mov_b32_e32 v3, v2
	v_mov_b32_e32 v4, v2
	;; [unrolled: 1-line block ×4, first 2 shown]
	s_waitcnt lgkmcnt(0)
	v_mov_b32_e32 v7, v2
	v_mov_b32_e32 v8, v2
	;; [unrolled: 1-line block ×3, first 2 shown]
	s_and_saveexec_b64 s[4:5], vcc
	s_cbranch_execz .LBB108_619
; %bb.618:
	v_lshlrev_b32_e32 v1, 1, v0
	global_load_ushort v1, v1, s[8:9]
	v_mov_b32_e32 v5, v2
	v_mov_b32_e32 v6, v2
	v_mov_b32_e32 v7, v2
	v_mov_b32_e32 v8, v2
	v_mov_b32_e32 v9, v2
	v_mov_b32_e32 v10, v2
	v_mov_b32_e32 v11, v2
	s_waitcnt vmcnt(0)
	v_cmp_ne_u16_e32 vcc, 0, v1
	s_nop 1
	v_cndmask_b32_e64 v1, 0, 1, vcc
	v_and_b32_e32 v4, 0xffff, v1
	v_mov_b64_e32 v[2:3], v[4:5]
	v_mov_b64_e32 v[4:5], v[6:7]
	;; [unrolled: 1-line block ×4, first 2 shown]
.LBB108_619:
	s_or_b64 exec, exec, s[4:5]
	v_or_b32_e32 v1, 0x100, v0
	v_cmp_gt_u32_e32 vcc, s12, v1
	s_and_saveexec_b64 s[6:7], vcc
	s_cbranch_execz .LBB108_621
; %bb.620:
	v_lshlrev_b32_e32 v1, 1, v0
	global_load_ushort v1, v1, s[8:9] offset:512
	s_mov_b32 s10, 0
	v_mov_b32_e32 v5, s10
	s_waitcnt vmcnt(0)
	v_cmp_ne_u16_e64 s[4:5], 0, v1
	s_nop 1
	v_cndmask_b32_e64 v4, 0, 1, s[4:5]
.LBB108_621:
	s_or_b64 exec, exec, s[6:7]
	v_or_b32_e32 v1, 0x200, v0
	v_cmp_gt_u32_e64 s[4:5], s12, v1
	s_and_saveexec_b64 s[10:11], s[4:5]
	s_cbranch_execz .LBB108_623
; %bb.622:
	v_lshlrev_b32_e32 v1, 1, v0
	global_load_ushort v1, v1, s[8:9] offset:1024
	s_mov_b32 s13, 0
	v_mov_b32_e32 v7, s13
	s_waitcnt vmcnt(0)
	v_cmp_ne_u16_e64 s[6:7], 0, v1
	s_nop 1
	v_cndmask_b32_e64 v6, 0, 1, s[6:7]
.LBB108_623:
	s_or_b64 exec, exec, s[10:11]
	v_or_b32_e32 v1, 0x300, v0
	v_cmp_gt_u32_e64 s[6:7], s12, v1
	s_and_saveexec_b64 s[10:11], s[6:7]
	s_cbranch_execz .LBB108_625
; %bb.624:
	v_lshlrev_b32_e32 v1, 1, v0
	global_load_ushort v1, v1, s[8:9] offset:1536
	s_mov_b32 s13, 0
	v_mov_b32_e32 v9, s13
	s_waitcnt vmcnt(0)
	v_cmp_ne_u16_e64 s[8:9], 0, v1
	s_nop 1
	v_cndmask_b32_e64 v8, 0, 1, s[8:9]
.LBB108_625:
	s_or_b64 exec, exec, s[10:11]
	v_cndmask_b32_e32 v5, 0, v5, vcc
	v_cndmask_b32_e32 v4, 0, v4, vcc
	v_mbcnt_lo_u32_b32 v1, -1, 0
	v_lshl_add_u64 v[2:3], v[4:5], 0, v[2:3]
	v_cndmask_b32_e64 v5, 0, v7, s[4:5]
	v_cndmask_b32_e64 v4, 0, v6, s[4:5]
	v_mbcnt_hi_u32_b32 v1, -1, v1
	v_lshl_add_u64 v[2:3], v[2:3], 0, v[4:5]
	v_cndmask_b32_e64 v5, 0, v9, s[6:7]
	v_cndmask_b32_e64 v4, 0, v8, s[6:7]
	v_and_b32_e32 v9, 63, v1
	v_lshl_add_u64 v[2:3], v[2:3], 0, v[4:5]
	s_min_u32 s8, s12, 0x100
	v_and_b32_e32 v4, 0xc0, v0
	v_cmp_ne_u32_e32 vcc, 63, v9
	v_sub_u32_e64 v8, s8, v4 clamp
	v_mov_b32_e32 v6, 0
	v_addc_co_u32_e32 v4, vcc, 0, v1, vcc
	v_lshlrev_b32_e32 v5, 2, v4
	ds_bpermute_b32 v4, v5, v2
	ds_bpermute_b32 v7, v5, v3
	v_add_u32_e32 v10, 1, v9
	v_mov_b32_e32 v5, v6
	v_cmp_lt_u32_e64 s[4:5], v10, v8
	s_waitcnt lgkmcnt(1)
	v_lshl_add_u64 v[4:5], v[2:3], 0, v[4:5]
	v_cmp_gt_u32_e32 vcc, 62, v9
	s_waitcnt lgkmcnt(0)
	v_lshl_add_u64 v[6:7], v[6:7], 0, v[4:5]
	v_cndmask_b32_e64 v12, v2, v4, s[4:5]
	v_cndmask_b32_e64 v4, 0, 2, vcc
	v_cndmask_b32_e64 v5, v3, v7, s[4:5]
	v_add_lshl_u32 v4, v4, v1, 2
	ds_bpermute_b32 v10, v4, v12
	ds_bpermute_b32 v11, v4, v5
	v_cndmask_b32_e64 v4, v2, v6, s[4:5]
	v_add_u32_e32 v13, 2, v9
	v_cmp_lt_u32_e32 vcc, v13, v8
	v_cmp_gt_u32_e64 s[6:7], 60, v9
	s_waitcnt lgkmcnt(0)
	v_lshl_add_u64 v[6:7], v[10:11], 0, v[4:5]
	v_cndmask_b32_e32 v5, v5, v7, vcc
	v_cndmask_b32_e64 v7, 0, 4, s[6:7]
	v_cndmask_b32_e32 v12, v12, v6, vcc
	v_add_lshl_u32 v7, v7, v1, 2
	ds_bpermute_b32 v10, v7, v12
	ds_bpermute_b32 v11, v7, v5
	v_cndmask_b32_e32 v4, v4, v6, vcc
	v_add_u32_e32 v13, 4, v9
	v_cmp_lt_u32_e32 vcc, v13, v8
	v_cmp_gt_u32_e64 s[6:7], 56, v9
	s_waitcnt lgkmcnt(0)
	v_lshl_add_u64 v[6:7], v[10:11], 0, v[4:5]
	v_cndmask_b32_e32 v5, v5, v7, vcc
	v_cndmask_b32_e64 v7, 0, 8, s[6:7]
	v_cndmask_b32_e32 v12, v12, v6, vcc
	v_add_lshl_u32 v7, v7, v1, 2
	ds_bpermute_b32 v10, v7, v12
	ds_bpermute_b32 v11, v7, v5
	v_cndmask_b32_e32 v4, v4, v6, vcc
	;; [unrolled: 12-line block ×3, first 2 shown]
	v_add_u32_e32 v13, 16, v9
	v_cmp_lt_u32_e32 vcc, v13, v8
	s_waitcnt lgkmcnt(0)
	v_lshl_add_u64 v[6:7], v[10:11], 0, v[4:5]
	v_lshlrev_b32_e32 v10, 2, v1
	v_cndmask_b32_e32 v13, v5, v7, vcc
	v_cndmask_b32_e32 v11, v12, v6, vcc
	v_or_b32_e32 v12, 0x80, v10
	ds_bpermute_b32 v11, v12, v11
	ds_bpermute_b32 v12, v12, v13
	s_and_saveexec_b64 s[6:7], s[4:5]
	s_cbranch_execz .LBB108_627
; %bb.626:
	v_add_u32_e32 v9, 32, v9
	v_cndmask_b32_e32 v3, v5, v7, vcc
	v_cndmask_b32_e32 v2, v4, v6, vcc
	v_cmp_lt_u32_e32 vcc, v9, v8
	s_waitcnt lgkmcnt(0)
	s_nop 0
	v_cndmask_b32_e32 v5, 0, v12, vcc
	v_cndmask_b32_e32 v4, 0, v11, vcc
	v_lshl_add_u64 v[2:3], v[4:5], 0, v[2:3]
.LBB108_627:
	s_or_b64 exec, exec, s[6:7]
	v_cmp_eq_u32_e32 vcc, 0, v1
	s_and_saveexec_b64 s[4:5], vcc
; %bb.628:
	v_lshrrev_b32_e32 v4, 3, v0
	v_and_b32_e32 v4, 24, v4
	ds_write_b64 v4, v[2:3] offset:256
; %bb.629:
	s_or_b64 exec, exec, s[4:5]
	v_cmp_gt_u32_e32 vcc, 4, v0
	s_waitcnt lgkmcnt(0)
	s_barrier
	s_and_saveexec_b64 s[4:5], vcc
	s_cbranch_execz .LBB108_633
; %bb.630:
	v_lshlrev_b32_e32 v2, 3, v1
	ds_read_b64 v[2:3], v2 offset:256
	v_and_b32_e32 v6, 3, v1
	v_cmp_ne_u32_e32 vcc, 3, v6
	v_mov_b32_e32 v8, 0
	s_add_i32 s8, s8, 63
	v_addc_co_u32_e32 v1, vcc, 0, v1, vcc
	v_lshlrev_b32_e32 v1, 2, v1
	s_waitcnt lgkmcnt(0)
	ds_bpermute_b32 v4, v1, v2
	ds_bpermute_b32 v9, v1, v3
	v_mov_b32_e32 v5, v8
	s_lshr_b32 s8, s8, 6
	v_add_u32_e32 v1, 1, v6
	s_waitcnt lgkmcnt(1)
	v_lshl_add_u64 v[12:13], v[2:3], 0, v[4:5]
	s_waitcnt lgkmcnt(0)
	v_lshl_add_u64 v[4:5], v[8:9], 0, v[12:13]
	v_cmp_gt_u32_e32 vcc, s8, v1
	v_or_b32_e32 v8, 8, v10
	s_nop 0
	v_cndmask_b32_e32 v7, v3, v5, vcc
	v_cndmask_b32_e32 v1, v2, v12, vcc
	ds_bpermute_b32 v1, v8, v1
	ds_bpermute_b32 v7, v8, v7
	s_and_saveexec_b64 s[6:7], vcc
	s_cbranch_execz .LBB108_632
; %bb.631:
	v_add_u32_e32 v2, 2, v6
	v_cmp_gt_u32_e32 vcc, s8, v2
	s_waitcnt lgkmcnt(0)
	s_nop 0
	v_cndmask_b32_e32 v3, 0, v7, vcc
	v_cndmask_b32_e32 v2, 0, v1, vcc
	v_lshl_add_u64 v[2:3], v[2:3], 0, v[4:5]
.LBB108_632:
	s_or_b64 exec, exec, s[6:7]
.LBB108_633:
	s_or_b64 exec, exec, s[4:5]
.LBB108_634:
	v_cmp_eq_u32_e64 s[4:5], 0, v0
	v_mov_b64_e32 v[4:5], s[2:3]
.LBB108_635:
	s_branch .LBB108_683
.LBB108_636:
	s_cmp_gt_i32 s33, 1
	s_cbranch_scc0 .LBB108_644
; %bb.637:
	s_cmp_eq_u32 s33, 2
                                        ; implicit-def: $vgpr2_vgpr3
                                        ; implicit-def: $vgpr4_vgpr5
	s_cbranch_scc0 .LBB108_645
; %bb.638:
	s_mov_b32 s3, 0
	s_lshl_b32 s6, s2, 9
	s_mov_b32 s7, s3
	s_lshr_b64 s[8:9], s[36:37], 9
	s_lshl_b64 s[4:5], s[6:7], 1
	s_add_u32 s4, s40, s4
	s_addc_u32 s5, s41, s5
	s_cmp_lg_u64 s[8:9], s[2:3]
	s_cbranch_scc0 .LBB108_646
; %bb.639:
	s_waitcnt lgkmcnt(1)
	v_lshlrev_b32_e32 v1, 1, v0
	global_load_ushort v2, v1, s[4:5]
	global_load_ushort v5, v1, s[4:5] offset:512
	v_mov_b32_e32 v3, 0
	v_mov_b32_e32 v9, v3
	;; [unrolled: 1-line block ×3, first 2 shown]
	s_waitcnt lgkmcnt(0)
	v_mov_b32_dpp v7, v3 quad_perm:[1,0,3,2] row_mask:0xf bank_mask:0xf bound_ctrl:1
	v_mov_b32_e32 v10, v3
	v_mov_b32_e32 v12, v3
	;; [unrolled: 1-line block ×3, first 2 shown]
	v_mbcnt_lo_u32_b32 v1, -1, 0
	v_mov_b32_e32 v16, v3
	v_mbcnt_hi_u32_b32 v1, -1, v1
	v_lshlrev_b32_e32 v4, 2, v1
	v_or_b32_e32 v18, 0xfc, v4
	s_waitcnt vmcnt(1)
	v_cmp_ne_u16_e32 vcc, 0, v2
	s_nop 1
	v_cndmask_b32_e64 v2, 0, 1, vcc
	s_waitcnt vmcnt(0)
	v_cmp_ne_u16_e32 vcc, 0, v5
	s_nop 1
	v_addc_co_u32_e32 v2, vcc, 0, v2, vcc
	v_cmp_eq_u32_e32 vcc, 0, v1
	s_nop 0
	v_mov_b32_dpp v8, v2 quad_perm:[1,0,3,2] row_mask:0xf bank_mask:0xf bound_ctrl:1
	v_lshl_add_u64 v[8:9], v[2:3], 0, v[8:9]
	v_lshl_add_u64 v[6:7], v[6:7], 0, v[8:9]
	s_nop 0
	v_mov_b32_dpp v2, v8 quad_perm:[2,3,0,1] row_mask:0xf bank_mask:0xf bound_ctrl:1
	v_mov_b32_dpp v11, v7 quad_perm:[2,3,0,1] row_mask:0xf bank_mask:0xf bound_ctrl:1
	v_lshl_add_u64 v[6:7], v[6:7], 0, v[2:3]
	v_lshl_add_u64 v[8:9], v[6:7], 0, v[10:11]
	s_nop 0
	v_mov_b32_dpp v2, v6 row_ror:4 row_mask:0xf bank_mask:0xf bound_ctrl:1
	v_mov_b32_dpp v13, v9 row_ror:4 row_mask:0xf bank_mask:0xf bound_ctrl:1
	v_lshl_add_u64 v[6:7], v[8:9], 0, v[2:3]
	v_lshl_add_u64 v[8:9], v[6:7], 0, v[12:13]
	s_nop 0
	v_mov_b32_dpp v2, v6 row_ror:8 row_mask:0xf bank_mask:0xf bound_ctrl:1
	v_mov_b32_dpp v15, v9 row_ror:8 row_mask:0xf bank_mask:0xf bound_ctrl:1
	v_lshl_add_u64 v[6:7], v[8:9], 0, v[2:3]
	v_lshl_add_u64 v[8:9], v[6:7], 0, v[14:15]
	s_nop 0
	v_mov_b32_dpp v2, v6 row_bcast:15 row_mask:0xf bank_mask:0xf bound_ctrl:1
	v_mov_b32_dpp v17, v9 row_bcast:15 row_mask:0xf bank_mask:0xf bound_ctrl:1
	v_lshl_add_u64 v[6:7], v[8:9], 0, v[2:3]
	v_lshl_add_u64 v[8:9], v[6:7], 0, v[16:17]
	s_nop 0
	v_mov_b32_dpp v2, v6 row_bcast:31 row_mask:0xf bank_mask:0xf bound_ctrl:1
	v_lshl_add_u64 v[2:3], v[8:9], 0, v[2:3]
	ds_bpermute_b32 v2, v18, v2
	s_nop 0
	v_add_u32_dpp v3, v9, v3 row_bcast:31 row_mask:0xf bank_mask:0xf bound_ctrl:1
	ds_bpermute_b32 v3, v18, v3
	s_and_saveexec_b64 s[8:9], vcc
	s_cbranch_execz .LBB108_641
; %bb.640:
	v_lshrrev_b32_e32 v5, 3, v0
	v_and_b32_e32 v5, 24, v5
	s_waitcnt lgkmcnt(0)
	ds_write_b64 v5, v[2:3] offset:96
.LBB108_641:
	s_or_b64 exec, exec, s[8:9]
	v_cmp_gt_u32_e32 vcc, 64, v0
	s_waitcnt lgkmcnt(0)
	s_barrier
	s_and_saveexec_b64 s[8:9], vcc
	s_cbranch_execz .LBB108_643
; %bb.642:
	v_and_b32_e32 v5, 3, v1
	v_lshlrev_b32_e32 v2, 3, v5
	ds_read_b64 v[2:3], v2 offset:96
	v_cmp_ne_u32_e32 vcc, 3, v5
	v_mov_b32_e32 v8, 0
	v_mov_b32_e32 v7, v8
	v_addc_co_u32_e32 v1, vcc, 0, v1, vcc
	v_lshlrev_b32_e32 v1, 2, v1
	s_waitcnt lgkmcnt(0)
	ds_bpermute_b32 v6, v1, v2
	ds_bpermute_b32 v9, v1, v3
	v_or_b32_e32 v1, 8, v4
	s_waitcnt lgkmcnt(1)
	v_lshl_add_u64 v[2:3], v[2:3], 0, v[6:7]
	s_waitcnt lgkmcnt(0)
	v_lshl_add_u64 v[4:5], v[8:9], 0, v[2:3]
	ds_bpermute_b32 v2, v1, v2
	ds_bpermute_b32 v9, v1, v5
	v_mov_b32_e32 v3, v8
	s_waitcnt lgkmcnt(1)
	v_lshl_add_u64 v[2:3], v[4:5], 0, v[2:3]
	s_waitcnt lgkmcnt(0)
	v_lshl_add_u64 v[2:3], v[2:3], 0, v[8:9]
.LBB108_643:
	s_or_b64 exec, exec, s[8:9]
	s_mov_b64 s[8:9], 0
	s_branch .LBB108_647
.LBB108_644:
                                        ; implicit-def: $vgpr2_vgpr3
                                        ; implicit-def: $vgpr4_vgpr5
	s_cbranch_execnz .LBB108_662
	s_branch .LBB108_683
.LBB108_645:
	s_branch .LBB108_683
.LBB108_646:
	s_mov_b64 s[8:9], -1
                                        ; implicit-def: $vgpr2_vgpr3
.LBB108_647:
	s_and_b64 vcc, exec, s[8:9]
	s_cbranch_vccz .LBB108_661
; %bb.648:
	s_sub_i32 s8, s36, s6
	v_mov_b32_e32 v2, 0
	v_cmp_gt_u32_e32 vcc, s8, v0
	v_mov_b32_e32 v3, v2
	v_mov_b32_e32 v4, v2
	;; [unrolled: 1-line block ×3, first 2 shown]
	s_and_saveexec_b64 s[6:7], vcc
	s_cbranch_execz .LBB108_650
; %bb.649:
	s_waitcnt lgkmcnt(1)
	v_lshlrev_b32_e32 v1, 1, v0
	global_load_ushort v1, v1, s[4:5]
	v_mov_b32_e32 v5, v2
	v_mov_b32_e32 v6, v2
	s_waitcnt lgkmcnt(0)
	v_mov_b32_e32 v7, v2
	s_waitcnt vmcnt(0)
	v_cmp_ne_u16_e32 vcc, 0, v1
	s_nop 1
	v_cndmask_b32_e64 v1, 0, 1, vcc
	v_and_b32_e32 v4, 0xffff, v1
	v_mov_b64_e32 v[2:3], v[4:5]
	v_mov_b64_e32 v[4:5], v[6:7]
.LBB108_650:
	s_or_b64 exec, exec, s[6:7]
	s_waitcnt lgkmcnt(1)
	v_or_b32_e32 v1, 0x100, v0
	v_cmp_gt_u32_e32 vcc, s8, v1
	s_and_saveexec_b64 s[6:7], vcc
	s_cbranch_execz .LBB108_652
; %bb.651:
	v_lshlrev_b32_e32 v1, 1, v0
	global_load_ushort v1, v1, s[4:5] offset:512
	s_mov_b32 s9, 0
	v_mov_b32_e32 v5, s9
	s_waitcnt vmcnt(0)
	v_cmp_ne_u16_e64 s[4:5], 0, v1
	s_nop 1
	v_cndmask_b32_e64 v4, 0, 1, s[4:5]
.LBB108_652:
	s_or_b64 exec, exec, s[6:7]
	v_mbcnt_lo_u32_b32 v1, -1, 0
	v_mbcnt_hi_u32_b32 v1, -1, v1
	v_cndmask_b32_e32 v5, 0, v5, vcc
	v_cndmask_b32_e32 v4, 0, v4, vcc
	v_and_b32_e32 v9, 63, v1
	v_lshl_add_u64 v[2:3], v[4:5], 0, v[2:3]
	s_min_u32 s8, s8, 0x100
	v_and_b32_e32 v4, 0xc0, v0
	v_cmp_ne_u32_e32 vcc, 63, v9
	v_sub_u32_e64 v8, s8, v4 clamp
	v_mov_b32_e32 v6, 0
	v_addc_co_u32_e32 v4, vcc, 0, v1, vcc
	v_lshlrev_b32_e32 v5, 2, v4
	ds_bpermute_b32 v4, v5, v2
	s_waitcnt lgkmcnt(1)
	ds_bpermute_b32 v7, v5, v3
	v_add_u32_e32 v10, 1, v9
	v_mov_b32_e32 v5, v6
	v_cmp_lt_u32_e64 s[4:5], v10, v8
	s_waitcnt lgkmcnt(1)
	v_lshl_add_u64 v[4:5], v[2:3], 0, v[4:5]
	v_cmp_gt_u32_e32 vcc, 62, v9
	s_waitcnt lgkmcnt(0)
	v_lshl_add_u64 v[6:7], v[6:7], 0, v[4:5]
	v_cndmask_b32_e64 v12, v2, v4, s[4:5]
	v_cndmask_b32_e64 v4, 0, 2, vcc
	v_cndmask_b32_e64 v5, v3, v7, s[4:5]
	v_add_lshl_u32 v4, v4, v1, 2
	ds_bpermute_b32 v10, v4, v12
	ds_bpermute_b32 v11, v4, v5
	v_cndmask_b32_e64 v4, v2, v6, s[4:5]
	v_add_u32_e32 v13, 2, v9
	v_cmp_lt_u32_e32 vcc, v13, v8
	v_cmp_gt_u32_e64 s[6:7], 60, v9
	s_waitcnt lgkmcnt(0)
	v_lshl_add_u64 v[6:7], v[10:11], 0, v[4:5]
	v_cndmask_b32_e32 v5, v5, v7, vcc
	v_cndmask_b32_e64 v7, 0, 4, s[6:7]
	v_cndmask_b32_e32 v12, v12, v6, vcc
	v_add_lshl_u32 v7, v7, v1, 2
	ds_bpermute_b32 v10, v7, v12
	ds_bpermute_b32 v11, v7, v5
	v_cndmask_b32_e32 v4, v4, v6, vcc
	v_add_u32_e32 v13, 4, v9
	v_cmp_lt_u32_e32 vcc, v13, v8
	v_cmp_gt_u32_e64 s[6:7], 56, v9
	s_waitcnt lgkmcnt(0)
	v_lshl_add_u64 v[6:7], v[10:11], 0, v[4:5]
	v_cndmask_b32_e32 v5, v5, v7, vcc
	v_cndmask_b32_e64 v7, 0, 8, s[6:7]
	v_cndmask_b32_e32 v12, v12, v6, vcc
	v_add_lshl_u32 v7, v7, v1, 2
	ds_bpermute_b32 v10, v7, v12
	ds_bpermute_b32 v11, v7, v5
	v_cndmask_b32_e32 v4, v4, v6, vcc
	;; [unrolled: 12-line block ×3, first 2 shown]
	v_add_u32_e32 v13, 16, v9
	v_cmp_lt_u32_e32 vcc, v13, v8
	s_waitcnt lgkmcnt(0)
	v_lshl_add_u64 v[6:7], v[10:11], 0, v[4:5]
	v_lshlrev_b32_e32 v10, 2, v1
	v_cndmask_b32_e32 v13, v5, v7, vcc
	v_cndmask_b32_e32 v11, v12, v6, vcc
	v_or_b32_e32 v12, 0x80, v10
	ds_bpermute_b32 v11, v12, v11
	ds_bpermute_b32 v12, v12, v13
	s_and_saveexec_b64 s[6:7], s[4:5]
	s_cbranch_execz .LBB108_654
; %bb.653:
	v_add_u32_e32 v9, 32, v9
	v_cndmask_b32_e32 v3, v5, v7, vcc
	v_cndmask_b32_e32 v2, v4, v6, vcc
	v_cmp_lt_u32_e32 vcc, v9, v8
	s_waitcnt lgkmcnt(0)
	s_nop 0
	v_cndmask_b32_e32 v5, 0, v12, vcc
	v_cndmask_b32_e32 v4, 0, v11, vcc
	v_lshl_add_u64 v[2:3], v[4:5], 0, v[2:3]
.LBB108_654:
	s_or_b64 exec, exec, s[6:7]
	v_cmp_eq_u32_e32 vcc, 0, v1
	s_and_saveexec_b64 s[4:5], vcc
; %bb.655:
	v_lshrrev_b32_e32 v4, 3, v0
	v_and_b32_e32 v4, 24, v4
	ds_write_b64 v4, v[2:3] offset:256
; %bb.656:
	s_or_b64 exec, exec, s[4:5]
	v_cmp_gt_u32_e32 vcc, 4, v0
	s_waitcnt lgkmcnt(0)
	s_barrier
	s_and_saveexec_b64 s[4:5], vcc
	s_cbranch_execz .LBB108_660
; %bb.657:
	v_lshlrev_b32_e32 v2, 3, v1
	ds_read_b64 v[2:3], v2 offset:256
	v_and_b32_e32 v6, 3, v1
	v_cmp_ne_u32_e32 vcc, 3, v6
	v_mov_b32_e32 v8, 0
	s_add_i32 s8, s8, 63
	v_addc_co_u32_e32 v1, vcc, 0, v1, vcc
	v_lshlrev_b32_e32 v1, 2, v1
	s_waitcnt lgkmcnt(0)
	ds_bpermute_b32 v4, v1, v2
	ds_bpermute_b32 v9, v1, v3
	v_mov_b32_e32 v5, v8
	s_lshr_b32 s8, s8, 6
	v_add_u32_e32 v1, 1, v6
	s_waitcnt lgkmcnt(1)
	v_lshl_add_u64 v[12:13], v[2:3], 0, v[4:5]
	s_waitcnt lgkmcnt(0)
	v_lshl_add_u64 v[4:5], v[8:9], 0, v[12:13]
	v_cmp_gt_u32_e32 vcc, s8, v1
	v_or_b32_e32 v8, 8, v10
	s_nop 0
	v_cndmask_b32_e32 v7, v3, v5, vcc
	v_cndmask_b32_e32 v1, v2, v12, vcc
	ds_bpermute_b32 v1, v8, v1
	ds_bpermute_b32 v7, v8, v7
	s_and_saveexec_b64 s[6:7], vcc
	s_cbranch_execz .LBB108_659
; %bb.658:
	v_add_u32_e32 v2, 2, v6
	v_cmp_gt_u32_e32 vcc, s8, v2
	s_waitcnt lgkmcnt(0)
	s_nop 0
	v_cndmask_b32_e32 v3, 0, v7, vcc
	v_cndmask_b32_e32 v2, 0, v1, vcc
	v_lshl_add_u64 v[2:3], v[2:3], 0, v[4:5]
.LBB108_659:
	s_or_b64 exec, exec, s[6:7]
.LBB108_660:
	s_or_b64 exec, exec, s[4:5]
.LBB108_661:
	v_cmp_eq_u32_e64 s[4:5], 0, v0
	v_mov_b64_e32 v[4:5], s[2:3]
	s_branch .LBB108_683
.LBB108_662:
	s_cmp_eq_u32 s33, 1
                                        ; implicit-def: $vgpr2_vgpr3
                                        ; implicit-def: $vgpr4_vgpr5
	s_cbranch_scc0 .LBB108_683
; %bb.663:
	s_mov_b32 s5, 0
	s_lshl_b32 s4, s2, 8
	s_mov_b32 s3, s5
	s_lshr_b64 s[6:7], s[36:37], 8
	s_cmp_lg_u64 s[6:7], s[2:3]
	s_waitcnt lgkmcnt(1)
	v_mbcnt_lo_u32_b32 v1, -1, 0
	s_cbranch_scc0 .LBB108_669
; %bb.664:
	s_lshl_b64 s[6:7], s[4:5], 1
	s_add_u32 s6, s40, s6
	s_addc_u32 s7, s41, s7
	v_lshlrev_b32_e32 v2, 1, v0
	global_load_ushort v2, v2, s[6:7]
	v_mov_b32_e32 v6, 0
	v_mov_b32_e32 v3, s5
	;; [unrolled: 1-line block ×3, first 2 shown]
	s_waitcnt lgkmcnt(0)
	v_mov_b32_dpp v7, v6 quad_perm:[1,0,3,2] row_mask:0xf bank_mask:0xf bound_ctrl:1
	v_mov_b32_e32 v11, v6
	v_mov_b32_e32 v13, v6
	;; [unrolled: 1-line block ×4, first 2 shown]
	v_mbcnt_hi_u32_b32 v4, -1, v1
	v_mov_b32_e32 v19, v6
	v_lshlrev_b32_e32 v5, 2, v4
	v_or_b32_e32 v20, 0xfc, v5
	s_waitcnt vmcnt(0)
	v_cmp_ne_u16_e32 vcc, 0, v2
	s_nop 1
	v_cndmask_b32_e64 v2, 0, 1, vcc
	v_cmp_eq_u32_e32 vcc, 0, v4
	s_nop 0
	v_mov_b32_dpp v8, v2 quad_perm:[1,0,3,2] row_mask:0xf bank_mask:0xf bound_ctrl:1
	v_lshl_add_u64 v[2:3], v[8:9], 0, v[2:3]
	v_lshl_add_u64 v[8:9], v[6:7], 0, v[2:3]
	s_nop 0
	v_mov_b32_dpp v10, v2 quad_perm:[2,3,0,1] row_mask:0xf bank_mask:0xf bound_ctrl:1
	v_mov_b32_dpp v7, v9 quad_perm:[2,3,0,1] row_mask:0xf bank_mask:0xf bound_ctrl:1
	v_lshl_add_u64 v[2:3], v[8:9], 0, v[10:11]
	v_lshl_add_u64 v[8:9], v[2:3], 0, v[6:7]
	s_nop 0
	v_mov_b32_dpp v12, v2 row_ror:4 row_mask:0xf bank_mask:0xf bound_ctrl:1
	v_mov_b32_dpp v7, v9 row_ror:4 row_mask:0xf bank_mask:0xf bound_ctrl:1
	v_lshl_add_u64 v[2:3], v[8:9], 0, v[12:13]
	v_lshl_add_u64 v[8:9], v[2:3], 0, v[6:7]
	s_nop 0
	v_mov_b32_dpp v14, v2 row_ror:8 row_mask:0xf bank_mask:0xf bound_ctrl:1
	v_mov_b32_dpp v7, v9 row_ror:8 row_mask:0xf bank_mask:0xf bound_ctrl:1
	v_lshl_add_u64 v[2:3], v[8:9], 0, v[14:15]
	v_lshl_add_u64 v[8:9], v[2:3], 0, v[6:7]
	s_nop 0
	v_mov_b32_dpp v16, v2 row_bcast:15 row_mask:0xf bank_mask:0xf bound_ctrl:1
	v_mov_b32_dpp v7, v9 row_bcast:15 row_mask:0xf bank_mask:0xf bound_ctrl:1
	v_lshl_add_u64 v[2:3], v[8:9], 0, v[16:17]
	v_lshl_add_u64 v[6:7], v[2:3], 0, v[6:7]
	s_nop 0
	v_mov_b32_dpp v18, v2 row_bcast:31 row_mask:0xf bank_mask:0xf bound_ctrl:1
	v_lshl_add_u64 v[2:3], v[6:7], 0, v[18:19]
	ds_bpermute_b32 v2, v20, v2
	s_nop 0
	v_add_u32_dpp v3, v7, v3 row_bcast:31 row_mask:0xf bank_mask:0xf bound_ctrl:1
	ds_bpermute_b32 v3, v20, v3
	s_and_saveexec_b64 s[6:7], vcc
	s_cbranch_execz .LBB108_666
; %bb.665:
	v_lshrrev_b32_e32 v6, 3, v0
	v_and_b32_e32 v6, 24, v6
	s_waitcnt lgkmcnt(0)
	ds_write_b64 v6, v[2:3] offset:64
.LBB108_666:
	s_or_b64 exec, exec, s[6:7]
	v_cmp_gt_u32_e32 vcc, 64, v0
	s_waitcnt lgkmcnt(0)
	s_barrier
	s_and_saveexec_b64 s[6:7], vcc
	s_cbranch_execz .LBB108_668
; %bb.667:
	v_and_b32_e32 v6, 3, v4
	v_lshlrev_b32_e32 v2, 3, v6
	ds_read_b64 v[2:3], v2 offset:64
	v_cmp_ne_u32_e32 vcc, 3, v6
	v_or_b32_e32 v8, 8, v5
	s_nop 0
	v_addc_co_u32_e32 v4, vcc, 0, v4, vcc
	v_lshlrev_b32_e32 v6, 2, v4
	s_waitcnt lgkmcnt(0)
	ds_bpermute_b32 v4, v6, v2
	ds_bpermute_b32 v7, v6, v3
	v_mov_b32_e32 v6, 0
	v_mov_b32_e32 v5, v6
	s_waitcnt lgkmcnt(1)
	v_lshl_add_u64 v[2:3], v[2:3], 0, v[4:5]
	s_waitcnt lgkmcnt(0)
	v_lshl_add_u64 v[4:5], v[6:7], 0, v[2:3]
	ds_bpermute_b32 v2, v8, v2
	ds_bpermute_b32 v7, v8, v5
	v_mov_b32_e32 v3, v6
	s_waitcnt lgkmcnt(1)
	v_lshl_add_u64 v[2:3], v[4:5], 0, v[2:3]
	s_waitcnt lgkmcnt(0)
	v_lshl_add_u64 v[2:3], v[2:3], 0, v[6:7]
.LBB108_668:
	s_or_b64 exec, exec, s[6:7]
	s_mov_b64 s[6:7], 0
	s_branch .LBB108_670
.LBB108_669:
	s_mov_b64 s[6:7], -1
                                        ; implicit-def: $vgpr2_vgpr3
.LBB108_670:
	s_and_b64 vcc, exec, s[6:7]
	s_cbranch_vccz .LBB108_682
; %bb.671:
	s_sub_i32 s8, s36, s4
	v_cmp_gt_u32_e32 vcc, s8, v0
                                        ; implicit-def: $vgpr2_vgpr3
	s_and_saveexec_b64 s[6:7], vcc
	s_cbranch_execz .LBB108_673
; %bb.672:
	s_lshl_b64 s[4:5], s[4:5], 1
	s_add_u32 s4, s40, s4
	s_addc_u32 s5, s41, s5
	v_lshlrev_b32_e32 v2, 1, v0
	global_load_ushort v2, v2, s[4:5]
	s_mov_b32 s4, 0
	v_mov_b32_e32 v3, s4
	s_waitcnt vmcnt(0)
	v_cmp_ne_u16_e32 vcc, 0, v2
	s_nop 1
	v_cndmask_b32_e64 v2, 0, 1, vcc
.LBB108_673:
	s_or_b64 exec, exec, s[6:7]
	v_mbcnt_hi_u32_b32 v1, -1, v1
	v_and_b32_e32 v9, 63, v1
	s_min_u32 s8, s8, 0x100
	v_and_b32_e32 v4, 0xc0, v0
	v_cmp_ne_u32_e32 vcc, 63, v9
	v_sub_u32_e64 v8, s8, v4 clamp
	v_mov_b32_e32 v6, 0
	v_addc_co_u32_e32 v4, vcc, 0, v1, vcc
	v_lshlrev_b32_e32 v5, 2, v4
	ds_bpermute_b32 v4, v5, v2
	s_waitcnt lgkmcnt(1)
	ds_bpermute_b32 v7, v5, v3
	v_add_u32_e32 v10, 1, v9
	v_mov_b32_e32 v5, v6
	v_cmp_lt_u32_e64 s[4:5], v10, v8
	s_waitcnt lgkmcnt(1)
	v_lshl_add_u64 v[4:5], v[2:3], 0, v[4:5]
	v_cmp_gt_u32_e32 vcc, 62, v9
	s_waitcnt lgkmcnt(0)
	v_lshl_add_u64 v[6:7], v[6:7], 0, v[4:5]
	v_cndmask_b32_e64 v12, v2, v4, s[4:5]
	v_cndmask_b32_e64 v4, 0, 2, vcc
	v_cndmask_b32_e64 v5, v3, v7, s[4:5]
	v_add_lshl_u32 v4, v4, v1, 2
	ds_bpermute_b32 v10, v4, v12
	ds_bpermute_b32 v11, v4, v5
	v_cndmask_b32_e64 v4, v2, v6, s[4:5]
	v_add_u32_e32 v13, 2, v9
	v_cmp_lt_u32_e32 vcc, v13, v8
	v_cmp_gt_u32_e64 s[6:7], 60, v9
	s_waitcnt lgkmcnt(0)
	v_lshl_add_u64 v[6:7], v[10:11], 0, v[4:5]
	v_cndmask_b32_e32 v5, v5, v7, vcc
	v_cndmask_b32_e64 v7, 0, 4, s[6:7]
	v_cndmask_b32_e32 v12, v12, v6, vcc
	v_add_lshl_u32 v7, v7, v1, 2
	ds_bpermute_b32 v10, v7, v12
	ds_bpermute_b32 v11, v7, v5
	v_cndmask_b32_e32 v4, v4, v6, vcc
	v_add_u32_e32 v13, 4, v9
	v_cmp_lt_u32_e32 vcc, v13, v8
	v_cmp_gt_u32_e64 s[6:7], 56, v9
	s_waitcnt lgkmcnt(0)
	v_lshl_add_u64 v[6:7], v[10:11], 0, v[4:5]
	v_cndmask_b32_e32 v5, v5, v7, vcc
	v_cndmask_b32_e64 v7, 0, 8, s[6:7]
	v_cndmask_b32_e32 v12, v12, v6, vcc
	v_add_lshl_u32 v7, v7, v1, 2
	ds_bpermute_b32 v10, v7, v12
	ds_bpermute_b32 v11, v7, v5
	v_cndmask_b32_e32 v4, v4, v6, vcc
	;; [unrolled: 12-line block ×3, first 2 shown]
	v_add_u32_e32 v13, 16, v9
	v_cmp_lt_u32_e32 vcc, v13, v8
	s_waitcnt lgkmcnt(0)
	v_lshl_add_u64 v[6:7], v[10:11], 0, v[4:5]
	v_lshlrev_b32_e32 v10, 2, v1
	v_cndmask_b32_e32 v13, v5, v7, vcc
	v_cndmask_b32_e32 v11, v12, v6, vcc
	v_or_b32_e32 v12, 0x80, v10
	ds_bpermute_b32 v11, v12, v11
	ds_bpermute_b32 v12, v12, v13
	s_and_saveexec_b64 s[6:7], s[4:5]
	s_cbranch_execz .LBB108_675
; %bb.674:
	v_add_u32_e32 v9, 32, v9
	v_cndmask_b32_e32 v3, v5, v7, vcc
	v_cndmask_b32_e32 v2, v4, v6, vcc
	v_cmp_lt_u32_e32 vcc, v9, v8
	s_waitcnt lgkmcnt(0)
	s_nop 0
	v_cndmask_b32_e32 v5, 0, v12, vcc
	v_cndmask_b32_e32 v4, 0, v11, vcc
	v_lshl_add_u64 v[2:3], v[4:5], 0, v[2:3]
.LBB108_675:
	s_or_b64 exec, exec, s[6:7]
	v_cmp_eq_u32_e32 vcc, 0, v1
	s_and_saveexec_b64 s[4:5], vcc
; %bb.676:
	v_lshrrev_b32_e32 v4, 3, v0
	v_and_b32_e32 v4, 24, v4
	ds_write_b64 v4, v[2:3] offset:256
; %bb.677:
	s_or_b64 exec, exec, s[4:5]
	v_cmp_gt_u32_e32 vcc, 4, v0
	s_waitcnt lgkmcnt(0)
	s_barrier
	s_and_saveexec_b64 s[4:5], vcc
	s_cbranch_execz .LBB108_681
; %bb.678:
	v_lshlrev_b32_e32 v2, 3, v1
	ds_read_b64 v[2:3], v2 offset:256
	v_and_b32_e32 v6, 3, v1
	v_cmp_ne_u32_e32 vcc, 3, v6
	v_mov_b32_e32 v8, 0
	s_add_i32 s8, s8, 63
	v_addc_co_u32_e32 v1, vcc, 0, v1, vcc
	v_lshlrev_b32_e32 v1, 2, v1
	s_waitcnt lgkmcnt(0)
	ds_bpermute_b32 v4, v1, v2
	ds_bpermute_b32 v9, v1, v3
	v_mov_b32_e32 v5, v8
	s_lshr_b32 s8, s8, 6
	v_add_u32_e32 v1, 1, v6
	s_waitcnt lgkmcnt(1)
	v_lshl_add_u64 v[12:13], v[2:3], 0, v[4:5]
	s_waitcnt lgkmcnt(0)
	v_lshl_add_u64 v[4:5], v[8:9], 0, v[12:13]
	v_cmp_gt_u32_e32 vcc, s8, v1
	v_or_b32_e32 v8, 8, v10
	s_nop 0
	v_cndmask_b32_e32 v7, v3, v5, vcc
	v_cndmask_b32_e32 v1, v2, v12, vcc
	ds_bpermute_b32 v1, v8, v1
	ds_bpermute_b32 v7, v8, v7
	s_and_saveexec_b64 s[6:7], vcc
	s_cbranch_execz .LBB108_680
; %bb.679:
	v_add_u32_e32 v2, 2, v6
	v_cmp_gt_u32_e32 vcc, s8, v2
	s_waitcnt lgkmcnt(0)
	s_nop 0
	v_cndmask_b32_e32 v3, 0, v7, vcc
	v_cndmask_b32_e32 v2, 0, v1, vcc
	v_lshl_add_u64 v[2:3], v[2:3], 0, v[4:5]
.LBB108_680:
	s_or_b64 exec, exec, s[6:7]
.LBB108_681:
	s_or_b64 exec, exec, s[4:5]
.LBB108_682:
	v_cmp_eq_u32_e64 s[4:5], 0, v0
	v_mov_b64_e32 v[4:5], s[2:3]
.LBB108_683:
	s_and_saveexec_b64 s[2:3], s[4:5]
	s_cbranch_execz .LBB108_685
; %bb.684:
	s_load_dwordx2 s[0:1], s[0:1], 0x28
	s_cmp_lg_u64 s[36:37], 0
	s_cselect_b64 vcc, -1, 0
	s_waitcnt lgkmcnt(0)
	v_lshlrev_b64 v[0:1], 3, v[4:5]
	v_cndmask_b32_e32 v3, 0, v3, vcc
	v_cndmask_b32_e32 v2, 0, v2, vcc
	v_lshl_add_u64 v[0:1], s[38:39], 0, v[0:1]
	v_lshl_add_u64 v[2:3], v[2:3], 0, s[0:1]
	global_store_dwordx2 v[0:1], v[2:3], off
.LBB108_685:
	s_endpgm
	.section	.rodata,"a",@progbits
	.p2align	6, 0x0
	.amdhsa_kernel _ZN7rocprim17ROCPRIM_400000_NS6detail17trampoline_kernelINS0_14default_configENS1_22reduce_config_selectorIbEEZNS1_11reduce_implILb1ES3_N6hipcub16HIPCUB_304000_NS22TransformInputIteratorIb7NonZeroIsEPslEEPllNS8_6detail34convert_binary_result_type_wrapperINS8_3SumESD_lEEEE10hipError_tPvRmT1_T2_T3_mT4_P12ihipStream_tbEUlT_E1_NS1_11comp_targetILNS1_3genE0ELNS1_11target_archE4294967295ELNS1_3gpuE0ELNS1_3repE0EEENS1_30default_config_static_selectorELNS0_4arch9wavefront6targetE1EEEvSM_
		.amdhsa_group_segment_fixed_size 288
		.amdhsa_private_segment_fixed_size 0
		.amdhsa_kernarg_size 56
		.amdhsa_user_sgpr_count 2
		.amdhsa_user_sgpr_dispatch_ptr 0
		.amdhsa_user_sgpr_queue_ptr 0
		.amdhsa_user_sgpr_kernarg_segment_ptr 1
		.amdhsa_user_sgpr_dispatch_id 0
		.amdhsa_user_sgpr_kernarg_preload_length 0
		.amdhsa_user_sgpr_kernarg_preload_offset 0
		.amdhsa_user_sgpr_private_segment_size 0
		.amdhsa_uses_dynamic_stack 0
		.amdhsa_enable_private_segment 0
		.amdhsa_system_sgpr_workgroup_id_x 1
		.amdhsa_system_sgpr_workgroup_id_y 0
		.amdhsa_system_sgpr_workgroup_id_z 0
		.amdhsa_system_sgpr_workgroup_info 0
		.amdhsa_system_vgpr_workitem_id 0
		.amdhsa_next_free_vgpr 260
		.amdhsa_next_free_sgpr 46
		.amdhsa_accum_offset 256
		.amdhsa_reserve_vcc 1
		.amdhsa_float_round_mode_32 0
		.amdhsa_float_round_mode_16_64 0
		.amdhsa_float_denorm_mode_32 3
		.amdhsa_float_denorm_mode_16_64 3
		.amdhsa_dx10_clamp 1
		.amdhsa_ieee_mode 1
		.amdhsa_fp16_overflow 0
		.amdhsa_tg_split 0
		.amdhsa_exception_fp_ieee_invalid_op 0
		.amdhsa_exception_fp_denorm_src 0
		.amdhsa_exception_fp_ieee_div_zero 0
		.amdhsa_exception_fp_ieee_overflow 0
		.amdhsa_exception_fp_ieee_underflow 0
		.amdhsa_exception_fp_ieee_inexact 0
		.amdhsa_exception_int_div_zero 0
	.end_amdhsa_kernel
	.section	.text._ZN7rocprim17ROCPRIM_400000_NS6detail17trampoline_kernelINS0_14default_configENS1_22reduce_config_selectorIbEEZNS1_11reduce_implILb1ES3_N6hipcub16HIPCUB_304000_NS22TransformInputIteratorIb7NonZeroIsEPslEEPllNS8_6detail34convert_binary_result_type_wrapperINS8_3SumESD_lEEEE10hipError_tPvRmT1_T2_T3_mT4_P12ihipStream_tbEUlT_E1_NS1_11comp_targetILNS1_3genE0ELNS1_11target_archE4294967295ELNS1_3gpuE0ELNS1_3repE0EEENS1_30default_config_static_selectorELNS0_4arch9wavefront6targetE1EEEvSM_,"axG",@progbits,_ZN7rocprim17ROCPRIM_400000_NS6detail17trampoline_kernelINS0_14default_configENS1_22reduce_config_selectorIbEEZNS1_11reduce_implILb1ES3_N6hipcub16HIPCUB_304000_NS22TransformInputIteratorIb7NonZeroIsEPslEEPllNS8_6detail34convert_binary_result_type_wrapperINS8_3SumESD_lEEEE10hipError_tPvRmT1_T2_T3_mT4_P12ihipStream_tbEUlT_E1_NS1_11comp_targetILNS1_3genE0ELNS1_11target_archE4294967295ELNS1_3gpuE0ELNS1_3repE0EEENS1_30default_config_static_selectorELNS0_4arch9wavefront6targetE1EEEvSM_,comdat
.Lfunc_end108:
	.size	_ZN7rocprim17ROCPRIM_400000_NS6detail17trampoline_kernelINS0_14default_configENS1_22reduce_config_selectorIbEEZNS1_11reduce_implILb1ES3_N6hipcub16HIPCUB_304000_NS22TransformInputIteratorIb7NonZeroIsEPslEEPllNS8_6detail34convert_binary_result_type_wrapperINS8_3SumESD_lEEEE10hipError_tPvRmT1_T2_T3_mT4_P12ihipStream_tbEUlT_E1_NS1_11comp_targetILNS1_3genE0ELNS1_11target_archE4294967295ELNS1_3gpuE0ELNS1_3repE0EEENS1_30default_config_static_selectorELNS0_4arch9wavefront6targetE1EEEvSM_, .Lfunc_end108-_ZN7rocprim17ROCPRIM_400000_NS6detail17trampoline_kernelINS0_14default_configENS1_22reduce_config_selectorIbEEZNS1_11reduce_implILb1ES3_N6hipcub16HIPCUB_304000_NS22TransformInputIteratorIb7NonZeroIsEPslEEPllNS8_6detail34convert_binary_result_type_wrapperINS8_3SumESD_lEEEE10hipError_tPvRmT1_T2_T3_mT4_P12ihipStream_tbEUlT_E1_NS1_11comp_targetILNS1_3genE0ELNS1_11target_archE4294967295ELNS1_3gpuE0ELNS1_3repE0EEENS1_30default_config_static_selectorELNS0_4arch9wavefront6targetE1EEEvSM_
                                        ; -- End function
	.set _ZN7rocprim17ROCPRIM_400000_NS6detail17trampoline_kernelINS0_14default_configENS1_22reduce_config_selectorIbEEZNS1_11reduce_implILb1ES3_N6hipcub16HIPCUB_304000_NS22TransformInputIteratorIb7NonZeroIsEPslEEPllNS8_6detail34convert_binary_result_type_wrapperINS8_3SumESD_lEEEE10hipError_tPvRmT1_T2_T3_mT4_P12ihipStream_tbEUlT_E1_NS1_11comp_targetILNS1_3genE0ELNS1_11target_archE4294967295ELNS1_3gpuE0ELNS1_3repE0EEENS1_30default_config_static_selectorELNS0_4arch9wavefront6targetE1EEEvSM_.num_vgpr, 256
	.set _ZN7rocprim17ROCPRIM_400000_NS6detail17trampoline_kernelINS0_14default_configENS1_22reduce_config_selectorIbEEZNS1_11reduce_implILb1ES3_N6hipcub16HIPCUB_304000_NS22TransformInputIteratorIb7NonZeroIsEPslEEPllNS8_6detail34convert_binary_result_type_wrapperINS8_3SumESD_lEEEE10hipError_tPvRmT1_T2_T3_mT4_P12ihipStream_tbEUlT_E1_NS1_11comp_targetILNS1_3genE0ELNS1_11target_archE4294967295ELNS1_3gpuE0ELNS1_3repE0EEENS1_30default_config_static_selectorELNS0_4arch9wavefront6targetE1EEEvSM_.num_agpr, 4
	.set _ZN7rocprim17ROCPRIM_400000_NS6detail17trampoline_kernelINS0_14default_configENS1_22reduce_config_selectorIbEEZNS1_11reduce_implILb1ES3_N6hipcub16HIPCUB_304000_NS22TransformInputIteratorIb7NonZeroIsEPslEEPllNS8_6detail34convert_binary_result_type_wrapperINS8_3SumESD_lEEEE10hipError_tPvRmT1_T2_T3_mT4_P12ihipStream_tbEUlT_E1_NS1_11comp_targetILNS1_3genE0ELNS1_11target_archE4294967295ELNS1_3gpuE0ELNS1_3repE0EEENS1_30default_config_static_selectorELNS0_4arch9wavefront6targetE1EEEvSM_.numbered_sgpr, 46
	.set _ZN7rocprim17ROCPRIM_400000_NS6detail17trampoline_kernelINS0_14default_configENS1_22reduce_config_selectorIbEEZNS1_11reduce_implILb1ES3_N6hipcub16HIPCUB_304000_NS22TransformInputIteratorIb7NonZeroIsEPslEEPllNS8_6detail34convert_binary_result_type_wrapperINS8_3SumESD_lEEEE10hipError_tPvRmT1_T2_T3_mT4_P12ihipStream_tbEUlT_E1_NS1_11comp_targetILNS1_3genE0ELNS1_11target_archE4294967295ELNS1_3gpuE0ELNS1_3repE0EEENS1_30default_config_static_selectorELNS0_4arch9wavefront6targetE1EEEvSM_.num_named_barrier, 0
	.set _ZN7rocprim17ROCPRIM_400000_NS6detail17trampoline_kernelINS0_14default_configENS1_22reduce_config_selectorIbEEZNS1_11reduce_implILb1ES3_N6hipcub16HIPCUB_304000_NS22TransformInputIteratorIb7NonZeroIsEPslEEPllNS8_6detail34convert_binary_result_type_wrapperINS8_3SumESD_lEEEE10hipError_tPvRmT1_T2_T3_mT4_P12ihipStream_tbEUlT_E1_NS1_11comp_targetILNS1_3genE0ELNS1_11target_archE4294967295ELNS1_3gpuE0ELNS1_3repE0EEENS1_30default_config_static_selectorELNS0_4arch9wavefront6targetE1EEEvSM_.private_seg_size, 0
	.set _ZN7rocprim17ROCPRIM_400000_NS6detail17trampoline_kernelINS0_14default_configENS1_22reduce_config_selectorIbEEZNS1_11reduce_implILb1ES3_N6hipcub16HIPCUB_304000_NS22TransformInputIteratorIb7NonZeroIsEPslEEPllNS8_6detail34convert_binary_result_type_wrapperINS8_3SumESD_lEEEE10hipError_tPvRmT1_T2_T3_mT4_P12ihipStream_tbEUlT_E1_NS1_11comp_targetILNS1_3genE0ELNS1_11target_archE4294967295ELNS1_3gpuE0ELNS1_3repE0EEENS1_30default_config_static_selectorELNS0_4arch9wavefront6targetE1EEEvSM_.uses_vcc, 1
	.set _ZN7rocprim17ROCPRIM_400000_NS6detail17trampoline_kernelINS0_14default_configENS1_22reduce_config_selectorIbEEZNS1_11reduce_implILb1ES3_N6hipcub16HIPCUB_304000_NS22TransformInputIteratorIb7NonZeroIsEPslEEPllNS8_6detail34convert_binary_result_type_wrapperINS8_3SumESD_lEEEE10hipError_tPvRmT1_T2_T3_mT4_P12ihipStream_tbEUlT_E1_NS1_11comp_targetILNS1_3genE0ELNS1_11target_archE4294967295ELNS1_3gpuE0ELNS1_3repE0EEENS1_30default_config_static_selectorELNS0_4arch9wavefront6targetE1EEEvSM_.uses_flat_scratch, 0
	.set _ZN7rocprim17ROCPRIM_400000_NS6detail17trampoline_kernelINS0_14default_configENS1_22reduce_config_selectorIbEEZNS1_11reduce_implILb1ES3_N6hipcub16HIPCUB_304000_NS22TransformInputIteratorIb7NonZeroIsEPslEEPllNS8_6detail34convert_binary_result_type_wrapperINS8_3SumESD_lEEEE10hipError_tPvRmT1_T2_T3_mT4_P12ihipStream_tbEUlT_E1_NS1_11comp_targetILNS1_3genE0ELNS1_11target_archE4294967295ELNS1_3gpuE0ELNS1_3repE0EEENS1_30default_config_static_selectorELNS0_4arch9wavefront6targetE1EEEvSM_.has_dyn_sized_stack, 0
	.set _ZN7rocprim17ROCPRIM_400000_NS6detail17trampoline_kernelINS0_14default_configENS1_22reduce_config_selectorIbEEZNS1_11reduce_implILb1ES3_N6hipcub16HIPCUB_304000_NS22TransformInputIteratorIb7NonZeroIsEPslEEPllNS8_6detail34convert_binary_result_type_wrapperINS8_3SumESD_lEEEE10hipError_tPvRmT1_T2_T3_mT4_P12ihipStream_tbEUlT_E1_NS1_11comp_targetILNS1_3genE0ELNS1_11target_archE4294967295ELNS1_3gpuE0ELNS1_3repE0EEENS1_30default_config_static_selectorELNS0_4arch9wavefront6targetE1EEEvSM_.has_recursion, 0
	.set _ZN7rocprim17ROCPRIM_400000_NS6detail17trampoline_kernelINS0_14default_configENS1_22reduce_config_selectorIbEEZNS1_11reduce_implILb1ES3_N6hipcub16HIPCUB_304000_NS22TransformInputIteratorIb7NonZeroIsEPslEEPllNS8_6detail34convert_binary_result_type_wrapperINS8_3SumESD_lEEEE10hipError_tPvRmT1_T2_T3_mT4_P12ihipStream_tbEUlT_E1_NS1_11comp_targetILNS1_3genE0ELNS1_11target_archE4294967295ELNS1_3gpuE0ELNS1_3repE0EEENS1_30default_config_static_selectorELNS0_4arch9wavefront6targetE1EEEvSM_.has_indirect_call, 0
	.section	.AMDGPU.csdata,"",@progbits
; Kernel info:
; codeLenInByte = 41236
; TotalNumSgprs: 52
; NumVgprs: 256
; NumAgprs: 4
; TotalNumVgprs: 260
; ScratchSize: 0
; MemoryBound: 0
; FloatMode: 240
; IeeeMode: 1
; LDSByteSize: 288 bytes/workgroup (compile time only)
; SGPRBlocks: 6
; VGPRBlocks: 32
; NumSGPRsForWavesPerEU: 52
; NumVGPRsForWavesPerEU: 260
; AccumOffset: 256
; Occupancy: 1
; WaveLimiterHint : 1
; COMPUTE_PGM_RSRC2:SCRATCH_EN: 0
; COMPUTE_PGM_RSRC2:USER_SGPR: 2
; COMPUTE_PGM_RSRC2:TRAP_HANDLER: 0
; COMPUTE_PGM_RSRC2:TGID_X_EN: 1
; COMPUTE_PGM_RSRC2:TGID_Y_EN: 0
; COMPUTE_PGM_RSRC2:TGID_Z_EN: 0
; COMPUTE_PGM_RSRC2:TIDIG_COMP_CNT: 0
; COMPUTE_PGM_RSRC3_GFX90A:ACCUM_OFFSET: 63
; COMPUTE_PGM_RSRC3_GFX90A:TG_SPLIT: 0
	.section	.text._ZN7rocprim17ROCPRIM_400000_NS6detail17trampoline_kernelINS0_14default_configENS1_22reduce_config_selectorIbEEZNS1_11reduce_implILb1ES3_N6hipcub16HIPCUB_304000_NS22TransformInputIteratorIb7NonZeroIsEPslEEPllNS8_6detail34convert_binary_result_type_wrapperINS8_3SumESD_lEEEE10hipError_tPvRmT1_T2_T3_mT4_P12ihipStream_tbEUlT_E1_NS1_11comp_targetILNS1_3genE5ELNS1_11target_archE942ELNS1_3gpuE9ELNS1_3repE0EEENS1_30default_config_static_selectorELNS0_4arch9wavefront6targetE1EEEvSM_,"axG",@progbits,_ZN7rocprim17ROCPRIM_400000_NS6detail17trampoline_kernelINS0_14default_configENS1_22reduce_config_selectorIbEEZNS1_11reduce_implILb1ES3_N6hipcub16HIPCUB_304000_NS22TransformInputIteratorIb7NonZeroIsEPslEEPllNS8_6detail34convert_binary_result_type_wrapperINS8_3SumESD_lEEEE10hipError_tPvRmT1_T2_T3_mT4_P12ihipStream_tbEUlT_E1_NS1_11comp_targetILNS1_3genE5ELNS1_11target_archE942ELNS1_3gpuE9ELNS1_3repE0EEENS1_30default_config_static_selectorELNS0_4arch9wavefront6targetE1EEEvSM_,comdat
	.protected	_ZN7rocprim17ROCPRIM_400000_NS6detail17trampoline_kernelINS0_14default_configENS1_22reduce_config_selectorIbEEZNS1_11reduce_implILb1ES3_N6hipcub16HIPCUB_304000_NS22TransformInputIteratorIb7NonZeroIsEPslEEPllNS8_6detail34convert_binary_result_type_wrapperINS8_3SumESD_lEEEE10hipError_tPvRmT1_T2_T3_mT4_P12ihipStream_tbEUlT_E1_NS1_11comp_targetILNS1_3genE5ELNS1_11target_archE942ELNS1_3gpuE9ELNS1_3repE0EEENS1_30default_config_static_selectorELNS0_4arch9wavefront6targetE1EEEvSM_ ; -- Begin function _ZN7rocprim17ROCPRIM_400000_NS6detail17trampoline_kernelINS0_14default_configENS1_22reduce_config_selectorIbEEZNS1_11reduce_implILb1ES3_N6hipcub16HIPCUB_304000_NS22TransformInputIteratorIb7NonZeroIsEPslEEPllNS8_6detail34convert_binary_result_type_wrapperINS8_3SumESD_lEEEE10hipError_tPvRmT1_T2_T3_mT4_P12ihipStream_tbEUlT_E1_NS1_11comp_targetILNS1_3genE5ELNS1_11target_archE942ELNS1_3gpuE9ELNS1_3repE0EEENS1_30default_config_static_selectorELNS0_4arch9wavefront6targetE1EEEvSM_
	.globl	_ZN7rocprim17ROCPRIM_400000_NS6detail17trampoline_kernelINS0_14default_configENS1_22reduce_config_selectorIbEEZNS1_11reduce_implILb1ES3_N6hipcub16HIPCUB_304000_NS22TransformInputIteratorIb7NonZeroIsEPslEEPllNS8_6detail34convert_binary_result_type_wrapperINS8_3SumESD_lEEEE10hipError_tPvRmT1_T2_T3_mT4_P12ihipStream_tbEUlT_E1_NS1_11comp_targetILNS1_3genE5ELNS1_11target_archE942ELNS1_3gpuE9ELNS1_3repE0EEENS1_30default_config_static_selectorELNS0_4arch9wavefront6targetE1EEEvSM_
	.p2align	8
	.type	_ZN7rocprim17ROCPRIM_400000_NS6detail17trampoline_kernelINS0_14default_configENS1_22reduce_config_selectorIbEEZNS1_11reduce_implILb1ES3_N6hipcub16HIPCUB_304000_NS22TransformInputIteratorIb7NonZeroIsEPslEEPllNS8_6detail34convert_binary_result_type_wrapperINS8_3SumESD_lEEEE10hipError_tPvRmT1_T2_T3_mT4_P12ihipStream_tbEUlT_E1_NS1_11comp_targetILNS1_3genE5ELNS1_11target_archE942ELNS1_3gpuE9ELNS1_3repE0EEENS1_30default_config_static_selectorELNS0_4arch9wavefront6targetE1EEEvSM_,@function
_ZN7rocprim17ROCPRIM_400000_NS6detail17trampoline_kernelINS0_14default_configENS1_22reduce_config_selectorIbEEZNS1_11reduce_implILb1ES3_N6hipcub16HIPCUB_304000_NS22TransformInputIteratorIb7NonZeroIsEPslEEPllNS8_6detail34convert_binary_result_type_wrapperINS8_3SumESD_lEEEE10hipError_tPvRmT1_T2_T3_mT4_P12ihipStream_tbEUlT_E1_NS1_11comp_targetILNS1_3genE5ELNS1_11target_archE942ELNS1_3gpuE9ELNS1_3repE0EEENS1_30default_config_static_selectorELNS0_4arch9wavefront6targetE1EEEvSM_: ; @_ZN7rocprim17ROCPRIM_400000_NS6detail17trampoline_kernelINS0_14default_configENS1_22reduce_config_selectorIbEEZNS1_11reduce_implILb1ES3_N6hipcub16HIPCUB_304000_NS22TransformInputIteratorIb7NonZeroIsEPslEEPllNS8_6detail34convert_binary_result_type_wrapperINS8_3SumESD_lEEEE10hipError_tPvRmT1_T2_T3_mT4_P12ihipStream_tbEUlT_E1_NS1_11comp_targetILNS1_3genE5ELNS1_11target_archE942ELNS1_3gpuE9ELNS1_3repE0EEENS1_30default_config_static_selectorELNS0_4arch9wavefront6targetE1EEEvSM_
; %bb.0:
	.section	.rodata,"a",@progbits
	.p2align	6, 0x0
	.amdhsa_kernel _ZN7rocprim17ROCPRIM_400000_NS6detail17trampoline_kernelINS0_14default_configENS1_22reduce_config_selectorIbEEZNS1_11reduce_implILb1ES3_N6hipcub16HIPCUB_304000_NS22TransformInputIteratorIb7NonZeroIsEPslEEPllNS8_6detail34convert_binary_result_type_wrapperINS8_3SumESD_lEEEE10hipError_tPvRmT1_T2_T3_mT4_P12ihipStream_tbEUlT_E1_NS1_11comp_targetILNS1_3genE5ELNS1_11target_archE942ELNS1_3gpuE9ELNS1_3repE0EEENS1_30default_config_static_selectorELNS0_4arch9wavefront6targetE1EEEvSM_
		.amdhsa_group_segment_fixed_size 0
		.amdhsa_private_segment_fixed_size 0
		.amdhsa_kernarg_size 56
		.amdhsa_user_sgpr_count 2
		.amdhsa_user_sgpr_dispatch_ptr 0
		.amdhsa_user_sgpr_queue_ptr 0
		.amdhsa_user_sgpr_kernarg_segment_ptr 1
		.amdhsa_user_sgpr_dispatch_id 0
		.amdhsa_user_sgpr_kernarg_preload_length 0
		.amdhsa_user_sgpr_kernarg_preload_offset 0
		.amdhsa_user_sgpr_private_segment_size 0
		.amdhsa_uses_dynamic_stack 0
		.amdhsa_enable_private_segment 0
		.amdhsa_system_sgpr_workgroup_id_x 1
		.amdhsa_system_sgpr_workgroup_id_y 0
		.amdhsa_system_sgpr_workgroup_id_z 0
		.amdhsa_system_sgpr_workgroup_info 0
		.amdhsa_system_vgpr_workitem_id 0
		.amdhsa_next_free_vgpr 1
		.amdhsa_next_free_sgpr 0
		.amdhsa_accum_offset 4
		.amdhsa_reserve_vcc 0
		.amdhsa_float_round_mode_32 0
		.amdhsa_float_round_mode_16_64 0
		.amdhsa_float_denorm_mode_32 3
		.amdhsa_float_denorm_mode_16_64 3
		.amdhsa_dx10_clamp 1
		.amdhsa_ieee_mode 1
		.amdhsa_fp16_overflow 0
		.amdhsa_tg_split 0
		.amdhsa_exception_fp_ieee_invalid_op 0
		.amdhsa_exception_fp_denorm_src 0
		.amdhsa_exception_fp_ieee_div_zero 0
		.amdhsa_exception_fp_ieee_overflow 0
		.amdhsa_exception_fp_ieee_underflow 0
		.amdhsa_exception_fp_ieee_inexact 0
		.amdhsa_exception_int_div_zero 0
	.end_amdhsa_kernel
	.section	.text._ZN7rocprim17ROCPRIM_400000_NS6detail17trampoline_kernelINS0_14default_configENS1_22reduce_config_selectorIbEEZNS1_11reduce_implILb1ES3_N6hipcub16HIPCUB_304000_NS22TransformInputIteratorIb7NonZeroIsEPslEEPllNS8_6detail34convert_binary_result_type_wrapperINS8_3SumESD_lEEEE10hipError_tPvRmT1_T2_T3_mT4_P12ihipStream_tbEUlT_E1_NS1_11comp_targetILNS1_3genE5ELNS1_11target_archE942ELNS1_3gpuE9ELNS1_3repE0EEENS1_30default_config_static_selectorELNS0_4arch9wavefront6targetE1EEEvSM_,"axG",@progbits,_ZN7rocprim17ROCPRIM_400000_NS6detail17trampoline_kernelINS0_14default_configENS1_22reduce_config_selectorIbEEZNS1_11reduce_implILb1ES3_N6hipcub16HIPCUB_304000_NS22TransformInputIteratorIb7NonZeroIsEPslEEPllNS8_6detail34convert_binary_result_type_wrapperINS8_3SumESD_lEEEE10hipError_tPvRmT1_T2_T3_mT4_P12ihipStream_tbEUlT_E1_NS1_11comp_targetILNS1_3genE5ELNS1_11target_archE942ELNS1_3gpuE9ELNS1_3repE0EEENS1_30default_config_static_selectorELNS0_4arch9wavefront6targetE1EEEvSM_,comdat
.Lfunc_end109:
	.size	_ZN7rocprim17ROCPRIM_400000_NS6detail17trampoline_kernelINS0_14default_configENS1_22reduce_config_selectorIbEEZNS1_11reduce_implILb1ES3_N6hipcub16HIPCUB_304000_NS22TransformInputIteratorIb7NonZeroIsEPslEEPllNS8_6detail34convert_binary_result_type_wrapperINS8_3SumESD_lEEEE10hipError_tPvRmT1_T2_T3_mT4_P12ihipStream_tbEUlT_E1_NS1_11comp_targetILNS1_3genE5ELNS1_11target_archE942ELNS1_3gpuE9ELNS1_3repE0EEENS1_30default_config_static_selectorELNS0_4arch9wavefront6targetE1EEEvSM_, .Lfunc_end109-_ZN7rocprim17ROCPRIM_400000_NS6detail17trampoline_kernelINS0_14default_configENS1_22reduce_config_selectorIbEEZNS1_11reduce_implILb1ES3_N6hipcub16HIPCUB_304000_NS22TransformInputIteratorIb7NonZeroIsEPslEEPllNS8_6detail34convert_binary_result_type_wrapperINS8_3SumESD_lEEEE10hipError_tPvRmT1_T2_T3_mT4_P12ihipStream_tbEUlT_E1_NS1_11comp_targetILNS1_3genE5ELNS1_11target_archE942ELNS1_3gpuE9ELNS1_3repE0EEENS1_30default_config_static_selectorELNS0_4arch9wavefront6targetE1EEEvSM_
                                        ; -- End function
	.set _ZN7rocprim17ROCPRIM_400000_NS6detail17trampoline_kernelINS0_14default_configENS1_22reduce_config_selectorIbEEZNS1_11reduce_implILb1ES3_N6hipcub16HIPCUB_304000_NS22TransformInputIteratorIb7NonZeroIsEPslEEPllNS8_6detail34convert_binary_result_type_wrapperINS8_3SumESD_lEEEE10hipError_tPvRmT1_T2_T3_mT4_P12ihipStream_tbEUlT_E1_NS1_11comp_targetILNS1_3genE5ELNS1_11target_archE942ELNS1_3gpuE9ELNS1_3repE0EEENS1_30default_config_static_selectorELNS0_4arch9wavefront6targetE1EEEvSM_.num_vgpr, 0
	.set _ZN7rocprim17ROCPRIM_400000_NS6detail17trampoline_kernelINS0_14default_configENS1_22reduce_config_selectorIbEEZNS1_11reduce_implILb1ES3_N6hipcub16HIPCUB_304000_NS22TransformInputIteratorIb7NonZeroIsEPslEEPllNS8_6detail34convert_binary_result_type_wrapperINS8_3SumESD_lEEEE10hipError_tPvRmT1_T2_T3_mT4_P12ihipStream_tbEUlT_E1_NS1_11comp_targetILNS1_3genE5ELNS1_11target_archE942ELNS1_3gpuE9ELNS1_3repE0EEENS1_30default_config_static_selectorELNS0_4arch9wavefront6targetE1EEEvSM_.num_agpr, 0
	.set _ZN7rocprim17ROCPRIM_400000_NS6detail17trampoline_kernelINS0_14default_configENS1_22reduce_config_selectorIbEEZNS1_11reduce_implILb1ES3_N6hipcub16HIPCUB_304000_NS22TransformInputIteratorIb7NonZeroIsEPslEEPllNS8_6detail34convert_binary_result_type_wrapperINS8_3SumESD_lEEEE10hipError_tPvRmT1_T2_T3_mT4_P12ihipStream_tbEUlT_E1_NS1_11comp_targetILNS1_3genE5ELNS1_11target_archE942ELNS1_3gpuE9ELNS1_3repE0EEENS1_30default_config_static_selectorELNS0_4arch9wavefront6targetE1EEEvSM_.numbered_sgpr, 0
	.set _ZN7rocprim17ROCPRIM_400000_NS6detail17trampoline_kernelINS0_14default_configENS1_22reduce_config_selectorIbEEZNS1_11reduce_implILb1ES3_N6hipcub16HIPCUB_304000_NS22TransformInputIteratorIb7NonZeroIsEPslEEPllNS8_6detail34convert_binary_result_type_wrapperINS8_3SumESD_lEEEE10hipError_tPvRmT1_T2_T3_mT4_P12ihipStream_tbEUlT_E1_NS1_11comp_targetILNS1_3genE5ELNS1_11target_archE942ELNS1_3gpuE9ELNS1_3repE0EEENS1_30default_config_static_selectorELNS0_4arch9wavefront6targetE1EEEvSM_.num_named_barrier, 0
	.set _ZN7rocprim17ROCPRIM_400000_NS6detail17trampoline_kernelINS0_14default_configENS1_22reduce_config_selectorIbEEZNS1_11reduce_implILb1ES3_N6hipcub16HIPCUB_304000_NS22TransformInputIteratorIb7NonZeroIsEPslEEPllNS8_6detail34convert_binary_result_type_wrapperINS8_3SumESD_lEEEE10hipError_tPvRmT1_T2_T3_mT4_P12ihipStream_tbEUlT_E1_NS1_11comp_targetILNS1_3genE5ELNS1_11target_archE942ELNS1_3gpuE9ELNS1_3repE0EEENS1_30default_config_static_selectorELNS0_4arch9wavefront6targetE1EEEvSM_.private_seg_size, 0
	.set _ZN7rocprim17ROCPRIM_400000_NS6detail17trampoline_kernelINS0_14default_configENS1_22reduce_config_selectorIbEEZNS1_11reduce_implILb1ES3_N6hipcub16HIPCUB_304000_NS22TransformInputIteratorIb7NonZeroIsEPslEEPllNS8_6detail34convert_binary_result_type_wrapperINS8_3SumESD_lEEEE10hipError_tPvRmT1_T2_T3_mT4_P12ihipStream_tbEUlT_E1_NS1_11comp_targetILNS1_3genE5ELNS1_11target_archE942ELNS1_3gpuE9ELNS1_3repE0EEENS1_30default_config_static_selectorELNS0_4arch9wavefront6targetE1EEEvSM_.uses_vcc, 0
	.set _ZN7rocprim17ROCPRIM_400000_NS6detail17trampoline_kernelINS0_14default_configENS1_22reduce_config_selectorIbEEZNS1_11reduce_implILb1ES3_N6hipcub16HIPCUB_304000_NS22TransformInputIteratorIb7NonZeroIsEPslEEPllNS8_6detail34convert_binary_result_type_wrapperINS8_3SumESD_lEEEE10hipError_tPvRmT1_T2_T3_mT4_P12ihipStream_tbEUlT_E1_NS1_11comp_targetILNS1_3genE5ELNS1_11target_archE942ELNS1_3gpuE9ELNS1_3repE0EEENS1_30default_config_static_selectorELNS0_4arch9wavefront6targetE1EEEvSM_.uses_flat_scratch, 0
	.set _ZN7rocprim17ROCPRIM_400000_NS6detail17trampoline_kernelINS0_14default_configENS1_22reduce_config_selectorIbEEZNS1_11reduce_implILb1ES3_N6hipcub16HIPCUB_304000_NS22TransformInputIteratorIb7NonZeroIsEPslEEPllNS8_6detail34convert_binary_result_type_wrapperINS8_3SumESD_lEEEE10hipError_tPvRmT1_T2_T3_mT4_P12ihipStream_tbEUlT_E1_NS1_11comp_targetILNS1_3genE5ELNS1_11target_archE942ELNS1_3gpuE9ELNS1_3repE0EEENS1_30default_config_static_selectorELNS0_4arch9wavefront6targetE1EEEvSM_.has_dyn_sized_stack, 0
	.set _ZN7rocprim17ROCPRIM_400000_NS6detail17trampoline_kernelINS0_14default_configENS1_22reduce_config_selectorIbEEZNS1_11reduce_implILb1ES3_N6hipcub16HIPCUB_304000_NS22TransformInputIteratorIb7NonZeroIsEPslEEPllNS8_6detail34convert_binary_result_type_wrapperINS8_3SumESD_lEEEE10hipError_tPvRmT1_T2_T3_mT4_P12ihipStream_tbEUlT_E1_NS1_11comp_targetILNS1_3genE5ELNS1_11target_archE942ELNS1_3gpuE9ELNS1_3repE0EEENS1_30default_config_static_selectorELNS0_4arch9wavefront6targetE1EEEvSM_.has_recursion, 0
	.set _ZN7rocprim17ROCPRIM_400000_NS6detail17trampoline_kernelINS0_14default_configENS1_22reduce_config_selectorIbEEZNS1_11reduce_implILb1ES3_N6hipcub16HIPCUB_304000_NS22TransformInputIteratorIb7NonZeroIsEPslEEPllNS8_6detail34convert_binary_result_type_wrapperINS8_3SumESD_lEEEE10hipError_tPvRmT1_T2_T3_mT4_P12ihipStream_tbEUlT_E1_NS1_11comp_targetILNS1_3genE5ELNS1_11target_archE942ELNS1_3gpuE9ELNS1_3repE0EEENS1_30default_config_static_selectorELNS0_4arch9wavefront6targetE1EEEvSM_.has_indirect_call, 0
	.section	.AMDGPU.csdata,"",@progbits
; Kernel info:
; codeLenInByte = 0
; TotalNumSgprs: 6
; NumVgprs: 0
; NumAgprs: 0
; TotalNumVgprs: 0
; ScratchSize: 0
; MemoryBound: 0
; FloatMode: 240
; IeeeMode: 1
; LDSByteSize: 0 bytes/workgroup (compile time only)
; SGPRBlocks: 0
; VGPRBlocks: 0
; NumSGPRsForWavesPerEU: 6
; NumVGPRsForWavesPerEU: 1
; AccumOffset: 4
; Occupancy: 8
; WaveLimiterHint : 0
; COMPUTE_PGM_RSRC2:SCRATCH_EN: 0
; COMPUTE_PGM_RSRC2:USER_SGPR: 2
; COMPUTE_PGM_RSRC2:TRAP_HANDLER: 0
; COMPUTE_PGM_RSRC2:TGID_X_EN: 1
; COMPUTE_PGM_RSRC2:TGID_Y_EN: 0
; COMPUTE_PGM_RSRC2:TGID_Z_EN: 0
; COMPUTE_PGM_RSRC2:TIDIG_COMP_CNT: 0
; COMPUTE_PGM_RSRC3_GFX90A:ACCUM_OFFSET: 0
; COMPUTE_PGM_RSRC3_GFX90A:TG_SPLIT: 0
	.section	.text._ZN7rocprim17ROCPRIM_400000_NS6detail17trampoline_kernelINS0_14default_configENS1_22reduce_config_selectorIbEEZNS1_11reduce_implILb1ES3_N6hipcub16HIPCUB_304000_NS22TransformInputIteratorIb7NonZeroIsEPslEEPllNS8_6detail34convert_binary_result_type_wrapperINS8_3SumESD_lEEEE10hipError_tPvRmT1_T2_T3_mT4_P12ihipStream_tbEUlT_E1_NS1_11comp_targetILNS1_3genE4ELNS1_11target_archE910ELNS1_3gpuE8ELNS1_3repE0EEENS1_30default_config_static_selectorELNS0_4arch9wavefront6targetE1EEEvSM_,"axG",@progbits,_ZN7rocprim17ROCPRIM_400000_NS6detail17trampoline_kernelINS0_14default_configENS1_22reduce_config_selectorIbEEZNS1_11reduce_implILb1ES3_N6hipcub16HIPCUB_304000_NS22TransformInputIteratorIb7NonZeroIsEPslEEPllNS8_6detail34convert_binary_result_type_wrapperINS8_3SumESD_lEEEE10hipError_tPvRmT1_T2_T3_mT4_P12ihipStream_tbEUlT_E1_NS1_11comp_targetILNS1_3genE4ELNS1_11target_archE910ELNS1_3gpuE8ELNS1_3repE0EEENS1_30default_config_static_selectorELNS0_4arch9wavefront6targetE1EEEvSM_,comdat
	.protected	_ZN7rocprim17ROCPRIM_400000_NS6detail17trampoline_kernelINS0_14default_configENS1_22reduce_config_selectorIbEEZNS1_11reduce_implILb1ES3_N6hipcub16HIPCUB_304000_NS22TransformInputIteratorIb7NonZeroIsEPslEEPllNS8_6detail34convert_binary_result_type_wrapperINS8_3SumESD_lEEEE10hipError_tPvRmT1_T2_T3_mT4_P12ihipStream_tbEUlT_E1_NS1_11comp_targetILNS1_3genE4ELNS1_11target_archE910ELNS1_3gpuE8ELNS1_3repE0EEENS1_30default_config_static_selectorELNS0_4arch9wavefront6targetE1EEEvSM_ ; -- Begin function _ZN7rocprim17ROCPRIM_400000_NS6detail17trampoline_kernelINS0_14default_configENS1_22reduce_config_selectorIbEEZNS1_11reduce_implILb1ES3_N6hipcub16HIPCUB_304000_NS22TransformInputIteratorIb7NonZeroIsEPslEEPllNS8_6detail34convert_binary_result_type_wrapperINS8_3SumESD_lEEEE10hipError_tPvRmT1_T2_T3_mT4_P12ihipStream_tbEUlT_E1_NS1_11comp_targetILNS1_3genE4ELNS1_11target_archE910ELNS1_3gpuE8ELNS1_3repE0EEENS1_30default_config_static_selectorELNS0_4arch9wavefront6targetE1EEEvSM_
	.globl	_ZN7rocprim17ROCPRIM_400000_NS6detail17trampoline_kernelINS0_14default_configENS1_22reduce_config_selectorIbEEZNS1_11reduce_implILb1ES3_N6hipcub16HIPCUB_304000_NS22TransformInputIteratorIb7NonZeroIsEPslEEPllNS8_6detail34convert_binary_result_type_wrapperINS8_3SumESD_lEEEE10hipError_tPvRmT1_T2_T3_mT4_P12ihipStream_tbEUlT_E1_NS1_11comp_targetILNS1_3genE4ELNS1_11target_archE910ELNS1_3gpuE8ELNS1_3repE0EEENS1_30default_config_static_selectorELNS0_4arch9wavefront6targetE1EEEvSM_
	.p2align	8
	.type	_ZN7rocprim17ROCPRIM_400000_NS6detail17trampoline_kernelINS0_14default_configENS1_22reduce_config_selectorIbEEZNS1_11reduce_implILb1ES3_N6hipcub16HIPCUB_304000_NS22TransformInputIteratorIb7NonZeroIsEPslEEPllNS8_6detail34convert_binary_result_type_wrapperINS8_3SumESD_lEEEE10hipError_tPvRmT1_T2_T3_mT4_P12ihipStream_tbEUlT_E1_NS1_11comp_targetILNS1_3genE4ELNS1_11target_archE910ELNS1_3gpuE8ELNS1_3repE0EEENS1_30default_config_static_selectorELNS0_4arch9wavefront6targetE1EEEvSM_,@function
_ZN7rocprim17ROCPRIM_400000_NS6detail17trampoline_kernelINS0_14default_configENS1_22reduce_config_selectorIbEEZNS1_11reduce_implILb1ES3_N6hipcub16HIPCUB_304000_NS22TransformInputIteratorIb7NonZeroIsEPslEEPllNS8_6detail34convert_binary_result_type_wrapperINS8_3SumESD_lEEEE10hipError_tPvRmT1_T2_T3_mT4_P12ihipStream_tbEUlT_E1_NS1_11comp_targetILNS1_3genE4ELNS1_11target_archE910ELNS1_3gpuE8ELNS1_3repE0EEENS1_30default_config_static_selectorELNS0_4arch9wavefront6targetE1EEEvSM_: ; @_ZN7rocprim17ROCPRIM_400000_NS6detail17trampoline_kernelINS0_14default_configENS1_22reduce_config_selectorIbEEZNS1_11reduce_implILb1ES3_N6hipcub16HIPCUB_304000_NS22TransformInputIteratorIb7NonZeroIsEPslEEPllNS8_6detail34convert_binary_result_type_wrapperINS8_3SumESD_lEEEE10hipError_tPvRmT1_T2_T3_mT4_P12ihipStream_tbEUlT_E1_NS1_11comp_targetILNS1_3genE4ELNS1_11target_archE910ELNS1_3gpuE8ELNS1_3repE0EEENS1_30default_config_static_selectorELNS0_4arch9wavefront6targetE1EEEvSM_
; %bb.0:
	.section	.rodata,"a",@progbits
	.p2align	6, 0x0
	.amdhsa_kernel _ZN7rocprim17ROCPRIM_400000_NS6detail17trampoline_kernelINS0_14default_configENS1_22reduce_config_selectorIbEEZNS1_11reduce_implILb1ES3_N6hipcub16HIPCUB_304000_NS22TransformInputIteratorIb7NonZeroIsEPslEEPllNS8_6detail34convert_binary_result_type_wrapperINS8_3SumESD_lEEEE10hipError_tPvRmT1_T2_T3_mT4_P12ihipStream_tbEUlT_E1_NS1_11comp_targetILNS1_3genE4ELNS1_11target_archE910ELNS1_3gpuE8ELNS1_3repE0EEENS1_30default_config_static_selectorELNS0_4arch9wavefront6targetE1EEEvSM_
		.amdhsa_group_segment_fixed_size 0
		.amdhsa_private_segment_fixed_size 0
		.amdhsa_kernarg_size 56
		.amdhsa_user_sgpr_count 2
		.amdhsa_user_sgpr_dispatch_ptr 0
		.amdhsa_user_sgpr_queue_ptr 0
		.amdhsa_user_sgpr_kernarg_segment_ptr 1
		.amdhsa_user_sgpr_dispatch_id 0
		.amdhsa_user_sgpr_kernarg_preload_length 0
		.amdhsa_user_sgpr_kernarg_preload_offset 0
		.amdhsa_user_sgpr_private_segment_size 0
		.amdhsa_uses_dynamic_stack 0
		.amdhsa_enable_private_segment 0
		.amdhsa_system_sgpr_workgroup_id_x 1
		.amdhsa_system_sgpr_workgroup_id_y 0
		.amdhsa_system_sgpr_workgroup_id_z 0
		.amdhsa_system_sgpr_workgroup_info 0
		.amdhsa_system_vgpr_workitem_id 0
		.amdhsa_next_free_vgpr 1
		.amdhsa_next_free_sgpr 0
		.amdhsa_accum_offset 4
		.amdhsa_reserve_vcc 0
		.amdhsa_float_round_mode_32 0
		.amdhsa_float_round_mode_16_64 0
		.amdhsa_float_denorm_mode_32 3
		.amdhsa_float_denorm_mode_16_64 3
		.amdhsa_dx10_clamp 1
		.amdhsa_ieee_mode 1
		.amdhsa_fp16_overflow 0
		.amdhsa_tg_split 0
		.amdhsa_exception_fp_ieee_invalid_op 0
		.amdhsa_exception_fp_denorm_src 0
		.amdhsa_exception_fp_ieee_div_zero 0
		.amdhsa_exception_fp_ieee_overflow 0
		.amdhsa_exception_fp_ieee_underflow 0
		.amdhsa_exception_fp_ieee_inexact 0
		.amdhsa_exception_int_div_zero 0
	.end_amdhsa_kernel
	.section	.text._ZN7rocprim17ROCPRIM_400000_NS6detail17trampoline_kernelINS0_14default_configENS1_22reduce_config_selectorIbEEZNS1_11reduce_implILb1ES3_N6hipcub16HIPCUB_304000_NS22TransformInputIteratorIb7NonZeroIsEPslEEPllNS8_6detail34convert_binary_result_type_wrapperINS8_3SumESD_lEEEE10hipError_tPvRmT1_T2_T3_mT4_P12ihipStream_tbEUlT_E1_NS1_11comp_targetILNS1_3genE4ELNS1_11target_archE910ELNS1_3gpuE8ELNS1_3repE0EEENS1_30default_config_static_selectorELNS0_4arch9wavefront6targetE1EEEvSM_,"axG",@progbits,_ZN7rocprim17ROCPRIM_400000_NS6detail17trampoline_kernelINS0_14default_configENS1_22reduce_config_selectorIbEEZNS1_11reduce_implILb1ES3_N6hipcub16HIPCUB_304000_NS22TransformInputIteratorIb7NonZeroIsEPslEEPllNS8_6detail34convert_binary_result_type_wrapperINS8_3SumESD_lEEEE10hipError_tPvRmT1_T2_T3_mT4_P12ihipStream_tbEUlT_E1_NS1_11comp_targetILNS1_3genE4ELNS1_11target_archE910ELNS1_3gpuE8ELNS1_3repE0EEENS1_30default_config_static_selectorELNS0_4arch9wavefront6targetE1EEEvSM_,comdat
.Lfunc_end110:
	.size	_ZN7rocprim17ROCPRIM_400000_NS6detail17trampoline_kernelINS0_14default_configENS1_22reduce_config_selectorIbEEZNS1_11reduce_implILb1ES3_N6hipcub16HIPCUB_304000_NS22TransformInputIteratorIb7NonZeroIsEPslEEPllNS8_6detail34convert_binary_result_type_wrapperINS8_3SumESD_lEEEE10hipError_tPvRmT1_T2_T3_mT4_P12ihipStream_tbEUlT_E1_NS1_11comp_targetILNS1_3genE4ELNS1_11target_archE910ELNS1_3gpuE8ELNS1_3repE0EEENS1_30default_config_static_selectorELNS0_4arch9wavefront6targetE1EEEvSM_, .Lfunc_end110-_ZN7rocprim17ROCPRIM_400000_NS6detail17trampoline_kernelINS0_14default_configENS1_22reduce_config_selectorIbEEZNS1_11reduce_implILb1ES3_N6hipcub16HIPCUB_304000_NS22TransformInputIteratorIb7NonZeroIsEPslEEPllNS8_6detail34convert_binary_result_type_wrapperINS8_3SumESD_lEEEE10hipError_tPvRmT1_T2_T3_mT4_P12ihipStream_tbEUlT_E1_NS1_11comp_targetILNS1_3genE4ELNS1_11target_archE910ELNS1_3gpuE8ELNS1_3repE0EEENS1_30default_config_static_selectorELNS0_4arch9wavefront6targetE1EEEvSM_
                                        ; -- End function
	.set _ZN7rocprim17ROCPRIM_400000_NS6detail17trampoline_kernelINS0_14default_configENS1_22reduce_config_selectorIbEEZNS1_11reduce_implILb1ES3_N6hipcub16HIPCUB_304000_NS22TransformInputIteratorIb7NonZeroIsEPslEEPllNS8_6detail34convert_binary_result_type_wrapperINS8_3SumESD_lEEEE10hipError_tPvRmT1_T2_T3_mT4_P12ihipStream_tbEUlT_E1_NS1_11comp_targetILNS1_3genE4ELNS1_11target_archE910ELNS1_3gpuE8ELNS1_3repE0EEENS1_30default_config_static_selectorELNS0_4arch9wavefront6targetE1EEEvSM_.num_vgpr, 0
	.set _ZN7rocprim17ROCPRIM_400000_NS6detail17trampoline_kernelINS0_14default_configENS1_22reduce_config_selectorIbEEZNS1_11reduce_implILb1ES3_N6hipcub16HIPCUB_304000_NS22TransformInputIteratorIb7NonZeroIsEPslEEPllNS8_6detail34convert_binary_result_type_wrapperINS8_3SumESD_lEEEE10hipError_tPvRmT1_T2_T3_mT4_P12ihipStream_tbEUlT_E1_NS1_11comp_targetILNS1_3genE4ELNS1_11target_archE910ELNS1_3gpuE8ELNS1_3repE0EEENS1_30default_config_static_selectorELNS0_4arch9wavefront6targetE1EEEvSM_.num_agpr, 0
	.set _ZN7rocprim17ROCPRIM_400000_NS6detail17trampoline_kernelINS0_14default_configENS1_22reduce_config_selectorIbEEZNS1_11reduce_implILb1ES3_N6hipcub16HIPCUB_304000_NS22TransformInputIteratorIb7NonZeroIsEPslEEPllNS8_6detail34convert_binary_result_type_wrapperINS8_3SumESD_lEEEE10hipError_tPvRmT1_T2_T3_mT4_P12ihipStream_tbEUlT_E1_NS1_11comp_targetILNS1_3genE4ELNS1_11target_archE910ELNS1_3gpuE8ELNS1_3repE0EEENS1_30default_config_static_selectorELNS0_4arch9wavefront6targetE1EEEvSM_.numbered_sgpr, 0
	.set _ZN7rocprim17ROCPRIM_400000_NS6detail17trampoline_kernelINS0_14default_configENS1_22reduce_config_selectorIbEEZNS1_11reduce_implILb1ES3_N6hipcub16HIPCUB_304000_NS22TransformInputIteratorIb7NonZeroIsEPslEEPllNS8_6detail34convert_binary_result_type_wrapperINS8_3SumESD_lEEEE10hipError_tPvRmT1_T2_T3_mT4_P12ihipStream_tbEUlT_E1_NS1_11comp_targetILNS1_3genE4ELNS1_11target_archE910ELNS1_3gpuE8ELNS1_3repE0EEENS1_30default_config_static_selectorELNS0_4arch9wavefront6targetE1EEEvSM_.num_named_barrier, 0
	.set _ZN7rocprim17ROCPRIM_400000_NS6detail17trampoline_kernelINS0_14default_configENS1_22reduce_config_selectorIbEEZNS1_11reduce_implILb1ES3_N6hipcub16HIPCUB_304000_NS22TransformInputIteratorIb7NonZeroIsEPslEEPllNS8_6detail34convert_binary_result_type_wrapperINS8_3SumESD_lEEEE10hipError_tPvRmT1_T2_T3_mT4_P12ihipStream_tbEUlT_E1_NS1_11comp_targetILNS1_3genE4ELNS1_11target_archE910ELNS1_3gpuE8ELNS1_3repE0EEENS1_30default_config_static_selectorELNS0_4arch9wavefront6targetE1EEEvSM_.private_seg_size, 0
	.set _ZN7rocprim17ROCPRIM_400000_NS6detail17trampoline_kernelINS0_14default_configENS1_22reduce_config_selectorIbEEZNS1_11reduce_implILb1ES3_N6hipcub16HIPCUB_304000_NS22TransformInputIteratorIb7NonZeroIsEPslEEPllNS8_6detail34convert_binary_result_type_wrapperINS8_3SumESD_lEEEE10hipError_tPvRmT1_T2_T3_mT4_P12ihipStream_tbEUlT_E1_NS1_11comp_targetILNS1_3genE4ELNS1_11target_archE910ELNS1_3gpuE8ELNS1_3repE0EEENS1_30default_config_static_selectorELNS0_4arch9wavefront6targetE1EEEvSM_.uses_vcc, 0
	.set _ZN7rocprim17ROCPRIM_400000_NS6detail17trampoline_kernelINS0_14default_configENS1_22reduce_config_selectorIbEEZNS1_11reduce_implILb1ES3_N6hipcub16HIPCUB_304000_NS22TransformInputIteratorIb7NonZeroIsEPslEEPllNS8_6detail34convert_binary_result_type_wrapperINS8_3SumESD_lEEEE10hipError_tPvRmT1_T2_T3_mT4_P12ihipStream_tbEUlT_E1_NS1_11comp_targetILNS1_3genE4ELNS1_11target_archE910ELNS1_3gpuE8ELNS1_3repE0EEENS1_30default_config_static_selectorELNS0_4arch9wavefront6targetE1EEEvSM_.uses_flat_scratch, 0
	.set _ZN7rocprim17ROCPRIM_400000_NS6detail17trampoline_kernelINS0_14default_configENS1_22reduce_config_selectorIbEEZNS1_11reduce_implILb1ES3_N6hipcub16HIPCUB_304000_NS22TransformInputIteratorIb7NonZeroIsEPslEEPllNS8_6detail34convert_binary_result_type_wrapperINS8_3SumESD_lEEEE10hipError_tPvRmT1_T2_T3_mT4_P12ihipStream_tbEUlT_E1_NS1_11comp_targetILNS1_3genE4ELNS1_11target_archE910ELNS1_3gpuE8ELNS1_3repE0EEENS1_30default_config_static_selectorELNS0_4arch9wavefront6targetE1EEEvSM_.has_dyn_sized_stack, 0
	.set _ZN7rocprim17ROCPRIM_400000_NS6detail17trampoline_kernelINS0_14default_configENS1_22reduce_config_selectorIbEEZNS1_11reduce_implILb1ES3_N6hipcub16HIPCUB_304000_NS22TransformInputIteratorIb7NonZeroIsEPslEEPllNS8_6detail34convert_binary_result_type_wrapperINS8_3SumESD_lEEEE10hipError_tPvRmT1_T2_T3_mT4_P12ihipStream_tbEUlT_E1_NS1_11comp_targetILNS1_3genE4ELNS1_11target_archE910ELNS1_3gpuE8ELNS1_3repE0EEENS1_30default_config_static_selectorELNS0_4arch9wavefront6targetE1EEEvSM_.has_recursion, 0
	.set _ZN7rocprim17ROCPRIM_400000_NS6detail17trampoline_kernelINS0_14default_configENS1_22reduce_config_selectorIbEEZNS1_11reduce_implILb1ES3_N6hipcub16HIPCUB_304000_NS22TransformInputIteratorIb7NonZeroIsEPslEEPllNS8_6detail34convert_binary_result_type_wrapperINS8_3SumESD_lEEEE10hipError_tPvRmT1_T2_T3_mT4_P12ihipStream_tbEUlT_E1_NS1_11comp_targetILNS1_3genE4ELNS1_11target_archE910ELNS1_3gpuE8ELNS1_3repE0EEENS1_30default_config_static_selectorELNS0_4arch9wavefront6targetE1EEEvSM_.has_indirect_call, 0
	.section	.AMDGPU.csdata,"",@progbits
; Kernel info:
; codeLenInByte = 0
; TotalNumSgprs: 6
; NumVgprs: 0
; NumAgprs: 0
; TotalNumVgprs: 0
; ScratchSize: 0
; MemoryBound: 0
; FloatMode: 240
; IeeeMode: 1
; LDSByteSize: 0 bytes/workgroup (compile time only)
; SGPRBlocks: 0
; VGPRBlocks: 0
; NumSGPRsForWavesPerEU: 6
; NumVGPRsForWavesPerEU: 1
; AccumOffset: 4
; Occupancy: 8
; WaveLimiterHint : 0
; COMPUTE_PGM_RSRC2:SCRATCH_EN: 0
; COMPUTE_PGM_RSRC2:USER_SGPR: 2
; COMPUTE_PGM_RSRC2:TRAP_HANDLER: 0
; COMPUTE_PGM_RSRC2:TGID_X_EN: 1
; COMPUTE_PGM_RSRC2:TGID_Y_EN: 0
; COMPUTE_PGM_RSRC2:TGID_Z_EN: 0
; COMPUTE_PGM_RSRC2:TIDIG_COMP_CNT: 0
; COMPUTE_PGM_RSRC3_GFX90A:ACCUM_OFFSET: 0
; COMPUTE_PGM_RSRC3_GFX90A:TG_SPLIT: 0
	.section	.text._ZN7rocprim17ROCPRIM_400000_NS6detail17trampoline_kernelINS0_14default_configENS1_22reduce_config_selectorIbEEZNS1_11reduce_implILb1ES3_N6hipcub16HIPCUB_304000_NS22TransformInputIteratorIb7NonZeroIsEPslEEPllNS8_6detail34convert_binary_result_type_wrapperINS8_3SumESD_lEEEE10hipError_tPvRmT1_T2_T3_mT4_P12ihipStream_tbEUlT_E1_NS1_11comp_targetILNS1_3genE3ELNS1_11target_archE908ELNS1_3gpuE7ELNS1_3repE0EEENS1_30default_config_static_selectorELNS0_4arch9wavefront6targetE1EEEvSM_,"axG",@progbits,_ZN7rocprim17ROCPRIM_400000_NS6detail17trampoline_kernelINS0_14default_configENS1_22reduce_config_selectorIbEEZNS1_11reduce_implILb1ES3_N6hipcub16HIPCUB_304000_NS22TransformInputIteratorIb7NonZeroIsEPslEEPllNS8_6detail34convert_binary_result_type_wrapperINS8_3SumESD_lEEEE10hipError_tPvRmT1_T2_T3_mT4_P12ihipStream_tbEUlT_E1_NS1_11comp_targetILNS1_3genE3ELNS1_11target_archE908ELNS1_3gpuE7ELNS1_3repE0EEENS1_30default_config_static_selectorELNS0_4arch9wavefront6targetE1EEEvSM_,comdat
	.protected	_ZN7rocprim17ROCPRIM_400000_NS6detail17trampoline_kernelINS0_14default_configENS1_22reduce_config_selectorIbEEZNS1_11reduce_implILb1ES3_N6hipcub16HIPCUB_304000_NS22TransformInputIteratorIb7NonZeroIsEPslEEPllNS8_6detail34convert_binary_result_type_wrapperINS8_3SumESD_lEEEE10hipError_tPvRmT1_T2_T3_mT4_P12ihipStream_tbEUlT_E1_NS1_11comp_targetILNS1_3genE3ELNS1_11target_archE908ELNS1_3gpuE7ELNS1_3repE0EEENS1_30default_config_static_selectorELNS0_4arch9wavefront6targetE1EEEvSM_ ; -- Begin function _ZN7rocprim17ROCPRIM_400000_NS6detail17trampoline_kernelINS0_14default_configENS1_22reduce_config_selectorIbEEZNS1_11reduce_implILb1ES3_N6hipcub16HIPCUB_304000_NS22TransformInputIteratorIb7NonZeroIsEPslEEPllNS8_6detail34convert_binary_result_type_wrapperINS8_3SumESD_lEEEE10hipError_tPvRmT1_T2_T3_mT4_P12ihipStream_tbEUlT_E1_NS1_11comp_targetILNS1_3genE3ELNS1_11target_archE908ELNS1_3gpuE7ELNS1_3repE0EEENS1_30default_config_static_selectorELNS0_4arch9wavefront6targetE1EEEvSM_
	.globl	_ZN7rocprim17ROCPRIM_400000_NS6detail17trampoline_kernelINS0_14default_configENS1_22reduce_config_selectorIbEEZNS1_11reduce_implILb1ES3_N6hipcub16HIPCUB_304000_NS22TransformInputIteratorIb7NonZeroIsEPslEEPllNS8_6detail34convert_binary_result_type_wrapperINS8_3SumESD_lEEEE10hipError_tPvRmT1_T2_T3_mT4_P12ihipStream_tbEUlT_E1_NS1_11comp_targetILNS1_3genE3ELNS1_11target_archE908ELNS1_3gpuE7ELNS1_3repE0EEENS1_30default_config_static_selectorELNS0_4arch9wavefront6targetE1EEEvSM_
	.p2align	8
	.type	_ZN7rocprim17ROCPRIM_400000_NS6detail17trampoline_kernelINS0_14default_configENS1_22reduce_config_selectorIbEEZNS1_11reduce_implILb1ES3_N6hipcub16HIPCUB_304000_NS22TransformInputIteratorIb7NonZeroIsEPslEEPllNS8_6detail34convert_binary_result_type_wrapperINS8_3SumESD_lEEEE10hipError_tPvRmT1_T2_T3_mT4_P12ihipStream_tbEUlT_E1_NS1_11comp_targetILNS1_3genE3ELNS1_11target_archE908ELNS1_3gpuE7ELNS1_3repE0EEENS1_30default_config_static_selectorELNS0_4arch9wavefront6targetE1EEEvSM_,@function
_ZN7rocprim17ROCPRIM_400000_NS6detail17trampoline_kernelINS0_14default_configENS1_22reduce_config_selectorIbEEZNS1_11reduce_implILb1ES3_N6hipcub16HIPCUB_304000_NS22TransformInputIteratorIb7NonZeroIsEPslEEPllNS8_6detail34convert_binary_result_type_wrapperINS8_3SumESD_lEEEE10hipError_tPvRmT1_T2_T3_mT4_P12ihipStream_tbEUlT_E1_NS1_11comp_targetILNS1_3genE3ELNS1_11target_archE908ELNS1_3gpuE7ELNS1_3repE0EEENS1_30default_config_static_selectorELNS0_4arch9wavefront6targetE1EEEvSM_: ; @_ZN7rocprim17ROCPRIM_400000_NS6detail17trampoline_kernelINS0_14default_configENS1_22reduce_config_selectorIbEEZNS1_11reduce_implILb1ES3_N6hipcub16HIPCUB_304000_NS22TransformInputIteratorIb7NonZeroIsEPslEEPllNS8_6detail34convert_binary_result_type_wrapperINS8_3SumESD_lEEEE10hipError_tPvRmT1_T2_T3_mT4_P12ihipStream_tbEUlT_E1_NS1_11comp_targetILNS1_3genE3ELNS1_11target_archE908ELNS1_3gpuE7ELNS1_3repE0EEENS1_30default_config_static_selectorELNS0_4arch9wavefront6targetE1EEEvSM_
; %bb.0:
	.section	.rodata,"a",@progbits
	.p2align	6, 0x0
	.amdhsa_kernel _ZN7rocprim17ROCPRIM_400000_NS6detail17trampoline_kernelINS0_14default_configENS1_22reduce_config_selectorIbEEZNS1_11reduce_implILb1ES3_N6hipcub16HIPCUB_304000_NS22TransformInputIteratorIb7NonZeroIsEPslEEPllNS8_6detail34convert_binary_result_type_wrapperINS8_3SumESD_lEEEE10hipError_tPvRmT1_T2_T3_mT4_P12ihipStream_tbEUlT_E1_NS1_11comp_targetILNS1_3genE3ELNS1_11target_archE908ELNS1_3gpuE7ELNS1_3repE0EEENS1_30default_config_static_selectorELNS0_4arch9wavefront6targetE1EEEvSM_
		.amdhsa_group_segment_fixed_size 0
		.amdhsa_private_segment_fixed_size 0
		.amdhsa_kernarg_size 56
		.amdhsa_user_sgpr_count 2
		.amdhsa_user_sgpr_dispatch_ptr 0
		.amdhsa_user_sgpr_queue_ptr 0
		.amdhsa_user_sgpr_kernarg_segment_ptr 1
		.amdhsa_user_sgpr_dispatch_id 0
		.amdhsa_user_sgpr_kernarg_preload_length 0
		.amdhsa_user_sgpr_kernarg_preload_offset 0
		.amdhsa_user_sgpr_private_segment_size 0
		.amdhsa_uses_dynamic_stack 0
		.amdhsa_enable_private_segment 0
		.amdhsa_system_sgpr_workgroup_id_x 1
		.amdhsa_system_sgpr_workgroup_id_y 0
		.amdhsa_system_sgpr_workgroup_id_z 0
		.amdhsa_system_sgpr_workgroup_info 0
		.amdhsa_system_vgpr_workitem_id 0
		.amdhsa_next_free_vgpr 1
		.amdhsa_next_free_sgpr 0
		.amdhsa_accum_offset 4
		.amdhsa_reserve_vcc 0
		.amdhsa_float_round_mode_32 0
		.amdhsa_float_round_mode_16_64 0
		.amdhsa_float_denorm_mode_32 3
		.amdhsa_float_denorm_mode_16_64 3
		.amdhsa_dx10_clamp 1
		.amdhsa_ieee_mode 1
		.amdhsa_fp16_overflow 0
		.amdhsa_tg_split 0
		.amdhsa_exception_fp_ieee_invalid_op 0
		.amdhsa_exception_fp_denorm_src 0
		.amdhsa_exception_fp_ieee_div_zero 0
		.amdhsa_exception_fp_ieee_overflow 0
		.amdhsa_exception_fp_ieee_underflow 0
		.amdhsa_exception_fp_ieee_inexact 0
		.amdhsa_exception_int_div_zero 0
	.end_amdhsa_kernel
	.section	.text._ZN7rocprim17ROCPRIM_400000_NS6detail17trampoline_kernelINS0_14default_configENS1_22reduce_config_selectorIbEEZNS1_11reduce_implILb1ES3_N6hipcub16HIPCUB_304000_NS22TransformInputIteratorIb7NonZeroIsEPslEEPllNS8_6detail34convert_binary_result_type_wrapperINS8_3SumESD_lEEEE10hipError_tPvRmT1_T2_T3_mT4_P12ihipStream_tbEUlT_E1_NS1_11comp_targetILNS1_3genE3ELNS1_11target_archE908ELNS1_3gpuE7ELNS1_3repE0EEENS1_30default_config_static_selectorELNS0_4arch9wavefront6targetE1EEEvSM_,"axG",@progbits,_ZN7rocprim17ROCPRIM_400000_NS6detail17trampoline_kernelINS0_14default_configENS1_22reduce_config_selectorIbEEZNS1_11reduce_implILb1ES3_N6hipcub16HIPCUB_304000_NS22TransformInputIteratorIb7NonZeroIsEPslEEPllNS8_6detail34convert_binary_result_type_wrapperINS8_3SumESD_lEEEE10hipError_tPvRmT1_T2_T3_mT4_P12ihipStream_tbEUlT_E1_NS1_11comp_targetILNS1_3genE3ELNS1_11target_archE908ELNS1_3gpuE7ELNS1_3repE0EEENS1_30default_config_static_selectorELNS0_4arch9wavefront6targetE1EEEvSM_,comdat
.Lfunc_end111:
	.size	_ZN7rocprim17ROCPRIM_400000_NS6detail17trampoline_kernelINS0_14default_configENS1_22reduce_config_selectorIbEEZNS1_11reduce_implILb1ES3_N6hipcub16HIPCUB_304000_NS22TransformInputIteratorIb7NonZeroIsEPslEEPllNS8_6detail34convert_binary_result_type_wrapperINS8_3SumESD_lEEEE10hipError_tPvRmT1_T2_T3_mT4_P12ihipStream_tbEUlT_E1_NS1_11comp_targetILNS1_3genE3ELNS1_11target_archE908ELNS1_3gpuE7ELNS1_3repE0EEENS1_30default_config_static_selectorELNS0_4arch9wavefront6targetE1EEEvSM_, .Lfunc_end111-_ZN7rocprim17ROCPRIM_400000_NS6detail17trampoline_kernelINS0_14default_configENS1_22reduce_config_selectorIbEEZNS1_11reduce_implILb1ES3_N6hipcub16HIPCUB_304000_NS22TransformInputIteratorIb7NonZeroIsEPslEEPllNS8_6detail34convert_binary_result_type_wrapperINS8_3SumESD_lEEEE10hipError_tPvRmT1_T2_T3_mT4_P12ihipStream_tbEUlT_E1_NS1_11comp_targetILNS1_3genE3ELNS1_11target_archE908ELNS1_3gpuE7ELNS1_3repE0EEENS1_30default_config_static_selectorELNS0_4arch9wavefront6targetE1EEEvSM_
                                        ; -- End function
	.set _ZN7rocprim17ROCPRIM_400000_NS6detail17trampoline_kernelINS0_14default_configENS1_22reduce_config_selectorIbEEZNS1_11reduce_implILb1ES3_N6hipcub16HIPCUB_304000_NS22TransformInputIteratorIb7NonZeroIsEPslEEPllNS8_6detail34convert_binary_result_type_wrapperINS8_3SumESD_lEEEE10hipError_tPvRmT1_T2_T3_mT4_P12ihipStream_tbEUlT_E1_NS1_11comp_targetILNS1_3genE3ELNS1_11target_archE908ELNS1_3gpuE7ELNS1_3repE0EEENS1_30default_config_static_selectorELNS0_4arch9wavefront6targetE1EEEvSM_.num_vgpr, 0
	.set _ZN7rocprim17ROCPRIM_400000_NS6detail17trampoline_kernelINS0_14default_configENS1_22reduce_config_selectorIbEEZNS1_11reduce_implILb1ES3_N6hipcub16HIPCUB_304000_NS22TransformInputIteratorIb7NonZeroIsEPslEEPllNS8_6detail34convert_binary_result_type_wrapperINS8_3SumESD_lEEEE10hipError_tPvRmT1_T2_T3_mT4_P12ihipStream_tbEUlT_E1_NS1_11comp_targetILNS1_3genE3ELNS1_11target_archE908ELNS1_3gpuE7ELNS1_3repE0EEENS1_30default_config_static_selectorELNS0_4arch9wavefront6targetE1EEEvSM_.num_agpr, 0
	.set _ZN7rocprim17ROCPRIM_400000_NS6detail17trampoline_kernelINS0_14default_configENS1_22reduce_config_selectorIbEEZNS1_11reduce_implILb1ES3_N6hipcub16HIPCUB_304000_NS22TransformInputIteratorIb7NonZeroIsEPslEEPllNS8_6detail34convert_binary_result_type_wrapperINS8_3SumESD_lEEEE10hipError_tPvRmT1_T2_T3_mT4_P12ihipStream_tbEUlT_E1_NS1_11comp_targetILNS1_3genE3ELNS1_11target_archE908ELNS1_3gpuE7ELNS1_3repE0EEENS1_30default_config_static_selectorELNS0_4arch9wavefront6targetE1EEEvSM_.numbered_sgpr, 0
	.set _ZN7rocprim17ROCPRIM_400000_NS6detail17trampoline_kernelINS0_14default_configENS1_22reduce_config_selectorIbEEZNS1_11reduce_implILb1ES3_N6hipcub16HIPCUB_304000_NS22TransformInputIteratorIb7NonZeroIsEPslEEPllNS8_6detail34convert_binary_result_type_wrapperINS8_3SumESD_lEEEE10hipError_tPvRmT1_T2_T3_mT4_P12ihipStream_tbEUlT_E1_NS1_11comp_targetILNS1_3genE3ELNS1_11target_archE908ELNS1_3gpuE7ELNS1_3repE0EEENS1_30default_config_static_selectorELNS0_4arch9wavefront6targetE1EEEvSM_.num_named_barrier, 0
	.set _ZN7rocprim17ROCPRIM_400000_NS6detail17trampoline_kernelINS0_14default_configENS1_22reduce_config_selectorIbEEZNS1_11reduce_implILb1ES3_N6hipcub16HIPCUB_304000_NS22TransformInputIteratorIb7NonZeroIsEPslEEPllNS8_6detail34convert_binary_result_type_wrapperINS8_3SumESD_lEEEE10hipError_tPvRmT1_T2_T3_mT4_P12ihipStream_tbEUlT_E1_NS1_11comp_targetILNS1_3genE3ELNS1_11target_archE908ELNS1_3gpuE7ELNS1_3repE0EEENS1_30default_config_static_selectorELNS0_4arch9wavefront6targetE1EEEvSM_.private_seg_size, 0
	.set _ZN7rocprim17ROCPRIM_400000_NS6detail17trampoline_kernelINS0_14default_configENS1_22reduce_config_selectorIbEEZNS1_11reduce_implILb1ES3_N6hipcub16HIPCUB_304000_NS22TransformInputIteratorIb7NonZeroIsEPslEEPllNS8_6detail34convert_binary_result_type_wrapperINS8_3SumESD_lEEEE10hipError_tPvRmT1_T2_T3_mT4_P12ihipStream_tbEUlT_E1_NS1_11comp_targetILNS1_3genE3ELNS1_11target_archE908ELNS1_3gpuE7ELNS1_3repE0EEENS1_30default_config_static_selectorELNS0_4arch9wavefront6targetE1EEEvSM_.uses_vcc, 0
	.set _ZN7rocprim17ROCPRIM_400000_NS6detail17trampoline_kernelINS0_14default_configENS1_22reduce_config_selectorIbEEZNS1_11reduce_implILb1ES3_N6hipcub16HIPCUB_304000_NS22TransformInputIteratorIb7NonZeroIsEPslEEPllNS8_6detail34convert_binary_result_type_wrapperINS8_3SumESD_lEEEE10hipError_tPvRmT1_T2_T3_mT4_P12ihipStream_tbEUlT_E1_NS1_11comp_targetILNS1_3genE3ELNS1_11target_archE908ELNS1_3gpuE7ELNS1_3repE0EEENS1_30default_config_static_selectorELNS0_4arch9wavefront6targetE1EEEvSM_.uses_flat_scratch, 0
	.set _ZN7rocprim17ROCPRIM_400000_NS6detail17trampoline_kernelINS0_14default_configENS1_22reduce_config_selectorIbEEZNS1_11reduce_implILb1ES3_N6hipcub16HIPCUB_304000_NS22TransformInputIteratorIb7NonZeroIsEPslEEPllNS8_6detail34convert_binary_result_type_wrapperINS8_3SumESD_lEEEE10hipError_tPvRmT1_T2_T3_mT4_P12ihipStream_tbEUlT_E1_NS1_11comp_targetILNS1_3genE3ELNS1_11target_archE908ELNS1_3gpuE7ELNS1_3repE0EEENS1_30default_config_static_selectorELNS0_4arch9wavefront6targetE1EEEvSM_.has_dyn_sized_stack, 0
	.set _ZN7rocprim17ROCPRIM_400000_NS6detail17trampoline_kernelINS0_14default_configENS1_22reduce_config_selectorIbEEZNS1_11reduce_implILb1ES3_N6hipcub16HIPCUB_304000_NS22TransformInputIteratorIb7NonZeroIsEPslEEPllNS8_6detail34convert_binary_result_type_wrapperINS8_3SumESD_lEEEE10hipError_tPvRmT1_T2_T3_mT4_P12ihipStream_tbEUlT_E1_NS1_11comp_targetILNS1_3genE3ELNS1_11target_archE908ELNS1_3gpuE7ELNS1_3repE0EEENS1_30default_config_static_selectorELNS0_4arch9wavefront6targetE1EEEvSM_.has_recursion, 0
	.set _ZN7rocprim17ROCPRIM_400000_NS6detail17trampoline_kernelINS0_14default_configENS1_22reduce_config_selectorIbEEZNS1_11reduce_implILb1ES3_N6hipcub16HIPCUB_304000_NS22TransformInputIteratorIb7NonZeroIsEPslEEPllNS8_6detail34convert_binary_result_type_wrapperINS8_3SumESD_lEEEE10hipError_tPvRmT1_T2_T3_mT4_P12ihipStream_tbEUlT_E1_NS1_11comp_targetILNS1_3genE3ELNS1_11target_archE908ELNS1_3gpuE7ELNS1_3repE0EEENS1_30default_config_static_selectorELNS0_4arch9wavefront6targetE1EEEvSM_.has_indirect_call, 0
	.section	.AMDGPU.csdata,"",@progbits
; Kernel info:
; codeLenInByte = 0
; TotalNumSgprs: 6
; NumVgprs: 0
; NumAgprs: 0
; TotalNumVgprs: 0
; ScratchSize: 0
; MemoryBound: 0
; FloatMode: 240
; IeeeMode: 1
; LDSByteSize: 0 bytes/workgroup (compile time only)
; SGPRBlocks: 0
; VGPRBlocks: 0
; NumSGPRsForWavesPerEU: 6
; NumVGPRsForWavesPerEU: 1
; AccumOffset: 4
; Occupancy: 8
; WaveLimiterHint : 0
; COMPUTE_PGM_RSRC2:SCRATCH_EN: 0
; COMPUTE_PGM_RSRC2:USER_SGPR: 2
; COMPUTE_PGM_RSRC2:TRAP_HANDLER: 0
; COMPUTE_PGM_RSRC2:TGID_X_EN: 1
; COMPUTE_PGM_RSRC2:TGID_Y_EN: 0
; COMPUTE_PGM_RSRC2:TGID_Z_EN: 0
; COMPUTE_PGM_RSRC2:TIDIG_COMP_CNT: 0
; COMPUTE_PGM_RSRC3_GFX90A:ACCUM_OFFSET: 0
; COMPUTE_PGM_RSRC3_GFX90A:TG_SPLIT: 0
	.section	.text._ZN7rocprim17ROCPRIM_400000_NS6detail17trampoline_kernelINS0_14default_configENS1_22reduce_config_selectorIbEEZNS1_11reduce_implILb1ES3_N6hipcub16HIPCUB_304000_NS22TransformInputIteratorIb7NonZeroIsEPslEEPllNS8_6detail34convert_binary_result_type_wrapperINS8_3SumESD_lEEEE10hipError_tPvRmT1_T2_T3_mT4_P12ihipStream_tbEUlT_E1_NS1_11comp_targetILNS1_3genE2ELNS1_11target_archE906ELNS1_3gpuE6ELNS1_3repE0EEENS1_30default_config_static_selectorELNS0_4arch9wavefront6targetE1EEEvSM_,"axG",@progbits,_ZN7rocprim17ROCPRIM_400000_NS6detail17trampoline_kernelINS0_14default_configENS1_22reduce_config_selectorIbEEZNS1_11reduce_implILb1ES3_N6hipcub16HIPCUB_304000_NS22TransformInputIteratorIb7NonZeroIsEPslEEPllNS8_6detail34convert_binary_result_type_wrapperINS8_3SumESD_lEEEE10hipError_tPvRmT1_T2_T3_mT4_P12ihipStream_tbEUlT_E1_NS1_11comp_targetILNS1_3genE2ELNS1_11target_archE906ELNS1_3gpuE6ELNS1_3repE0EEENS1_30default_config_static_selectorELNS0_4arch9wavefront6targetE1EEEvSM_,comdat
	.protected	_ZN7rocprim17ROCPRIM_400000_NS6detail17trampoline_kernelINS0_14default_configENS1_22reduce_config_selectorIbEEZNS1_11reduce_implILb1ES3_N6hipcub16HIPCUB_304000_NS22TransformInputIteratorIb7NonZeroIsEPslEEPllNS8_6detail34convert_binary_result_type_wrapperINS8_3SumESD_lEEEE10hipError_tPvRmT1_T2_T3_mT4_P12ihipStream_tbEUlT_E1_NS1_11comp_targetILNS1_3genE2ELNS1_11target_archE906ELNS1_3gpuE6ELNS1_3repE0EEENS1_30default_config_static_selectorELNS0_4arch9wavefront6targetE1EEEvSM_ ; -- Begin function _ZN7rocprim17ROCPRIM_400000_NS6detail17trampoline_kernelINS0_14default_configENS1_22reduce_config_selectorIbEEZNS1_11reduce_implILb1ES3_N6hipcub16HIPCUB_304000_NS22TransformInputIteratorIb7NonZeroIsEPslEEPllNS8_6detail34convert_binary_result_type_wrapperINS8_3SumESD_lEEEE10hipError_tPvRmT1_T2_T3_mT4_P12ihipStream_tbEUlT_E1_NS1_11comp_targetILNS1_3genE2ELNS1_11target_archE906ELNS1_3gpuE6ELNS1_3repE0EEENS1_30default_config_static_selectorELNS0_4arch9wavefront6targetE1EEEvSM_
	.globl	_ZN7rocprim17ROCPRIM_400000_NS6detail17trampoline_kernelINS0_14default_configENS1_22reduce_config_selectorIbEEZNS1_11reduce_implILb1ES3_N6hipcub16HIPCUB_304000_NS22TransformInputIteratorIb7NonZeroIsEPslEEPllNS8_6detail34convert_binary_result_type_wrapperINS8_3SumESD_lEEEE10hipError_tPvRmT1_T2_T3_mT4_P12ihipStream_tbEUlT_E1_NS1_11comp_targetILNS1_3genE2ELNS1_11target_archE906ELNS1_3gpuE6ELNS1_3repE0EEENS1_30default_config_static_selectorELNS0_4arch9wavefront6targetE1EEEvSM_
	.p2align	8
	.type	_ZN7rocprim17ROCPRIM_400000_NS6detail17trampoline_kernelINS0_14default_configENS1_22reduce_config_selectorIbEEZNS1_11reduce_implILb1ES3_N6hipcub16HIPCUB_304000_NS22TransformInputIteratorIb7NonZeroIsEPslEEPllNS8_6detail34convert_binary_result_type_wrapperINS8_3SumESD_lEEEE10hipError_tPvRmT1_T2_T3_mT4_P12ihipStream_tbEUlT_E1_NS1_11comp_targetILNS1_3genE2ELNS1_11target_archE906ELNS1_3gpuE6ELNS1_3repE0EEENS1_30default_config_static_selectorELNS0_4arch9wavefront6targetE1EEEvSM_,@function
_ZN7rocprim17ROCPRIM_400000_NS6detail17trampoline_kernelINS0_14default_configENS1_22reduce_config_selectorIbEEZNS1_11reduce_implILb1ES3_N6hipcub16HIPCUB_304000_NS22TransformInputIteratorIb7NonZeroIsEPslEEPllNS8_6detail34convert_binary_result_type_wrapperINS8_3SumESD_lEEEE10hipError_tPvRmT1_T2_T3_mT4_P12ihipStream_tbEUlT_E1_NS1_11comp_targetILNS1_3genE2ELNS1_11target_archE906ELNS1_3gpuE6ELNS1_3repE0EEENS1_30default_config_static_selectorELNS0_4arch9wavefront6targetE1EEEvSM_: ; @_ZN7rocprim17ROCPRIM_400000_NS6detail17trampoline_kernelINS0_14default_configENS1_22reduce_config_selectorIbEEZNS1_11reduce_implILb1ES3_N6hipcub16HIPCUB_304000_NS22TransformInputIteratorIb7NonZeroIsEPslEEPllNS8_6detail34convert_binary_result_type_wrapperINS8_3SumESD_lEEEE10hipError_tPvRmT1_T2_T3_mT4_P12ihipStream_tbEUlT_E1_NS1_11comp_targetILNS1_3genE2ELNS1_11target_archE906ELNS1_3gpuE6ELNS1_3repE0EEENS1_30default_config_static_selectorELNS0_4arch9wavefront6targetE1EEEvSM_
; %bb.0:
	.section	.rodata,"a",@progbits
	.p2align	6, 0x0
	.amdhsa_kernel _ZN7rocprim17ROCPRIM_400000_NS6detail17trampoline_kernelINS0_14default_configENS1_22reduce_config_selectorIbEEZNS1_11reduce_implILb1ES3_N6hipcub16HIPCUB_304000_NS22TransformInputIteratorIb7NonZeroIsEPslEEPllNS8_6detail34convert_binary_result_type_wrapperINS8_3SumESD_lEEEE10hipError_tPvRmT1_T2_T3_mT4_P12ihipStream_tbEUlT_E1_NS1_11comp_targetILNS1_3genE2ELNS1_11target_archE906ELNS1_3gpuE6ELNS1_3repE0EEENS1_30default_config_static_selectorELNS0_4arch9wavefront6targetE1EEEvSM_
		.amdhsa_group_segment_fixed_size 0
		.amdhsa_private_segment_fixed_size 0
		.amdhsa_kernarg_size 56
		.amdhsa_user_sgpr_count 2
		.amdhsa_user_sgpr_dispatch_ptr 0
		.amdhsa_user_sgpr_queue_ptr 0
		.amdhsa_user_sgpr_kernarg_segment_ptr 1
		.amdhsa_user_sgpr_dispatch_id 0
		.amdhsa_user_sgpr_kernarg_preload_length 0
		.amdhsa_user_sgpr_kernarg_preload_offset 0
		.amdhsa_user_sgpr_private_segment_size 0
		.amdhsa_uses_dynamic_stack 0
		.amdhsa_enable_private_segment 0
		.amdhsa_system_sgpr_workgroup_id_x 1
		.amdhsa_system_sgpr_workgroup_id_y 0
		.amdhsa_system_sgpr_workgroup_id_z 0
		.amdhsa_system_sgpr_workgroup_info 0
		.amdhsa_system_vgpr_workitem_id 0
		.amdhsa_next_free_vgpr 1
		.amdhsa_next_free_sgpr 0
		.amdhsa_accum_offset 4
		.amdhsa_reserve_vcc 0
		.amdhsa_float_round_mode_32 0
		.amdhsa_float_round_mode_16_64 0
		.amdhsa_float_denorm_mode_32 3
		.amdhsa_float_denorm_mode_16_64 3
		.amdhsa_dx10_clamp 1
		.amdhsa_ieee_mode 1
		.amdhsa_fp16_overflow 0
		.amdhsa_tg_split 0
		.amdhsa_exception_fp_ieee_invalid_op 0
		.amdhsa_exception_fp_denorm_src 0
		.amdhsa_exception_fp_ieee_div_zero 0
		.amdhsa_exception_fp_ieee_overflow 0
		.amdhsa_exception_fp_ieee_underflow 0
		.amdhsa_exception_fp_ieee_inexact 0
		.amdhsa_exception_int_div_zero 0
	.end_amdhsa_kernel
	.section	.text._ZN7rocprim17ROCPRIM_400000_NS6detail17trampoline_kernelINS0_14default_configENS1_22reduce_config_selectorIbEEZNS1_11reduce_implILb1ES3_N6hipcub16HIPCUB_304000_NS22TransformInputIteratorIb7NonZeroIsEPslEEPllNS8_6detail34convert_binary_result_type_wrapperINS8_3SumESD_lEEEE10hipError_tPvRmT1_T2_T3_mT4_P12ihipStream_tbEUlT_E1_NS1_11comp_targetILNS1_3genE2ELNS1_11target_archE906ELNS1_3gpuE6ELNS1_3repE0EEENS1_30default_config_static_selectorELNS0_4arch9wavefront6targetE1EEEvSM_,"axG",@progbits,_ZN7rocprim17ROCPRIM_400000_NS6detail17trampoline_kernelINS0_14default_configENS1_22reduce_config_selectorIbEEZNS1_11reduce_implILb1ES3_N6hipcub16HIPCUB_304000_NS22TransformInputIteratorIb7NonZeroIsEPslEEPllNS8_6detail34convert_binary_result_type_wrapperINS8_3SumESD_lEEEE10hipError_tPvRmT1_T2_T3_mT4_P12ihipStream_tbEUlT_E1_NS1_11comp_targetILNS1_3genE2ELNS1_11target_archE906ELNS1_3gpuE6ELNS1_3repE0EEENS1_30default_config_static_selectorELNS0_4arch9wavefront6targetE1EEEvSM_,comdat
.Lfunc_end112:
	.size	_ZN7rocprim17ROCPRIM_400000_NS6detail17trampoline_kernelINS0_14default_configENS1_22reduce_config_selectorIbEEZNS1_11reduce_implILb1ES3_N6hipcub16HIPCUB_304000_NS22TransformInputIteratorIb7NonZeroIsEPslEEPllNS8_6detail34convert_binary_result_type_wrapperINS8_3SumESD_lEEEE10hipError_tPvRmT1_T2_T3_mT4_P12ihipStream_tbEUlT_E1_NS1_11comp_targetILNS1_3genE2ELNS1_11target_archE906ELNS1_3gpuE6ELNS1_3repE0EEENS1_30default_config_static_selectorELNS0_4arch9wavefront6targetE1EEEvSM_, .Lfunc_end112-_ZN7rocprim17ROCPRIM_400000_NS6detail17trampoline_kernelINS0_14default_configENS1_22reduce_config_selectorIbEEZNS1_11reduce_implILb1ES3_N6hipcub16HIPCUB_304000_NS22TransformInputIteratorIb7NonZeroIsEPslEEPllNS8_6detail34convert_binary_result_type_wrapperINS8_3SumESD_lEEEE10hipError_tPvRmT1_T2_T3_mT4_P12ihipStream_tbEUlT_E1_NS1_11comp_targetILNS1_3genE2ELNS1_11target_archE906ELNS1_3gpuE6ELNS1_3repE0EEENS1_30default_config_static_selectorELNS0_4arch9wavefront6targetE1EEEvSM_
                                        ; -- End function
	.set _ZN7rocprim17ROCPRIM_400000_NS6detail17trampoline_kernelINS0_14default_configENS1_22reduce_config_selectorIbEEZNS1_11reduce_implILb1ES3_N6hipcub16HIPCUB_304000_NS22TransformInputIteratorIb7NonZeroIsEPslEEPllNS8_6detail34convert_binary_result_type_wrapperINS8_3SumESD_lEEEE10hipError_tPvRmT1_T2_T3_mT4_P12ihipStream_tbEUlT_E1_NS1_11comp_targetILNS1_3genE2ELNS1_11target_archE906ELNS1_3gpuE6ELNS1_3repE0EEENS1_30default_config_static_selectorELNS0_4arch9wavefront6targetE1EEEvSM_.num_vgpr, 0
	.set _ZN7rocprim17ROCPRIM_400000_NS6detail17trampoline_kernelINS0_14default_configENS1_22reduce_config_selectorIbEEZNS1_11reduce_implILb1ES3_N6hipcub16HIPCUB_304000_NS22TransformInputIteratorIb7NonZeroIsEPslEEPllNS8_6detail34convert_binary_result_type_wrapperINS8_3SumESD_lEEEE10hipError_tPvRmT1_T2_T3_mT4_P12ihipStream_tbEUlT_E1_NS1_11comp_targetILNS1_3genE2ELNS1_11target_archE906ELNS1_3gpuE6ELNS1_3repE0EEENS1_30default_config_static_selectorELNS0_4arch9wavefront6targetE1EEEvSM_.num_agpr, 0
	.set _ZN7rocprim17ROCPRIM_400000_NS6detail17trampoline_kernelINS0_14default_configENS1_22reduce_config_selectorIbEEZNS1_11reduce_implILb1ES3_N6hipcub16HIPCUB_304000_NS22TransformInputIteratorIb7NonZeroIsEPslEEPllNS8_6detail34convert_binary_result_type_wrapperINS8_3SumESD_lEEEE10hipError_tPvRmT1_T2_T3_mT4_P12ihipStream_tbEUlT_E1_NS1_11comp_targetILNS1_3genE2ELNS1_11target_archE906ELNS1_3gpuE6ELNS1_3repE0EEENS1_30default_config_static_selectorELNS0_4arch9wavefront6targetE1EEEvSM_.numbered_sgpr, 0
	.set _ZN7rocprim17ROCPRIM_400000_NS6detail17trampoline_kernelINS0_14default_configENS1_22reduce_config_selectorIbEEZNS1_11reduce_implILb1ES3_N6hipcub16HIPCUB_304000_NS22TransformInputIteratorIb7NonZeroIsEPslEEPllNS8_6detail34convert_binary_result_type_wrapperINS8_3SumESD_lEEEE10hipError_tPvRmT1_T2_T3_mT4_P12ihipStream_tbEUlT_E1_NS1_11comp_targetILNS1_3genE2ELNS1_11target_archE906ELNS1_3gpuE6ELNS1_3repE0EEENS1_30default_config_static_selectorELNS0_4arch9wavefront6targetE1EEEvSM_.num_named_barrier, 0
	.set _ZN7rocprim17ROCPRIM_400000_NS6detail17trampoline_kernelINS0_14default_configENS1_22reduce_config_selectorIbEEZNS1_11reduce_implILb1ES3_N6hipcub16HIPCUB_304000_NS22TransformInputIteratorIb7NonZeroIsEPslEEPllNS8_6detail34convert_binary_result_type_wrapperINS8_3SumESD_lEEEE10hipError_tPvRmT1_T2_T3_mT4_P12ihipStream_tbEUlT_E1_NS1_11comp_targetILNS1_3genE2ELNS1_11target_archE906ELNS1_3gpuE6ELNS1_3repE0EEENS1_30default_config_static_selectorELNS0_4arch9wavefront6targetE1EEEvSM_.private_seg_size, 0
	.set _ZN7rocprim17ROCPRIM_400000_NS6detail17trampoline_kernelINS0_14default_configENS1_22reduce_config_selectorIbEEZNS1_11reduce_implILb1ES3_N6hipcub16HIPCUB_304000_NS22TransformInputIteratorIb7NonZeroIsEPslEEPllNS8_6detail34convert_binary_result_type_wrapperINS8_3SumESD_lEEEE10hipError_tPvRmT1_T2_T3_mT4_P12ihipStream_tbEUlT_E1_NS1_11comp_targetILNS1_3genE2ELNS1_11target_archE906ELNS1_3gpuE6ELNS1_3repE0EEENS1_30default_config_static_selectorELNS0_4arch9wavefront6targetE1EEEvSM_.uses_vcc, 0
	.set _ZN7rocprim17ROCPRIM_400000_NS6detail17trampoline_kernelINS0_14default_configENS1_22reduce_config_selectorIbEEZNS1_11reduce_implILb1ES3_N6hipcub16HIPCUB_304000_NS22TransformInputIteratorIb7NonZeroIsEPslEEPllNS8_6detail34convert_binary_result_type_wrapperINS8_3SumESD_lEEEE10hipError_tPvRmT1_T2_T3_mT4_P12ihipStream_tbEUlT_E1_NS1_11comp_targetILNS1_3genE2ELNS1_11target_archE906ELNS1_3gpuE6ELNS1_3repE0EEENS1_30default_config_static_selectorELNS0_4arch9wavefront6targetE1EEEvSM_.uses_flat_scratch, 0
	.set _ZN7rocprim17ROCPRIM_400000_NS6detail17trampoline_kernelINS0_14default_configENS1_22reduce_config_selectorIbEEZNS1_11reduce_implILb1ES3_N6hipcub16HIPCUB_304000_NS22TransformInputIteratorIb7NonZeroIsEPslEEPllNS8_6detail34convert_binary_result_type_wrapperINS8_3SumESD_lEEEE10hipError_tPvRmT1_T2_T3_mT4_P12ihipStream_tbEUlT_E1_NS1_11comp_targetILNS1_3genE2ELNS1_11target_archE906ELNS1_3gpuE6ELNS1_3repE0EEENS1_30default_config_static_selectorELNS0_4arch9wavefront6targetE1EEEvSM_.has_dyn_sized_stack, 0
	.set _ZN7rocprim17ROCPRIM_400000_NS6detail17trampoline_kernelINS0_14default_configENS1_22reduce_config_selectorIbEEZNS1_11reduce_implILb1ES3_N6hipcub16HIPCUB_304000_NS22TransformInputIteratorIb7NonZeroIsEPslEEPllNS8_6detail34convert_binary_result_type_wrapperINS8_3SumESD_lEEEE10hipError_tPvRmT1_T2_T3_mT4_P12ihipStream_tbEUlT_E1_NS1_11comp_targetILNS1_3genE2ELNS1_11target_archE906ELNS1_3gpuE6ELNS1_3repE0EEENS1_30default_config_static_selectorELNS0_4arch9wavefront6targetE1EEEvSM_.has_recursion, 0
	.set _ZN7rocprim17ROCPRIM_400000_NS6detail17trampoline_kernelINS0_14default_configENS1_22reduce_config_selectorIbEEZNS1_11reduce_implILb1ES3_N6hipcub16HIPCUB_304000_NS22TransformInputIteratorIb7NonZeroIsEPslEEPllNS8_6detail34convert_binary_result_type_wrapperINS8_3SumESD_lEEEE10hipError_tPvRmT1_T2_T3_mT4_P12ihipStream_tbEUlT_E1_NS1_11comp_targetILNS1_3genE2ELNS1_11target_archE906ELNS1_3gpuE6ELNS1_3repE0EEENS1_30default_config_static_selectorELNS0_4arch9wavefront6targetE1EEEvSM_.has_indirect_call, 0
	.section	.AMDGPU.csdata,"",@progbits
; Kernel info:
; codeLenInByte = 0
; TotalNumSgprs: 6
; NumVgprs: 0
; NumAgprs: 0
; TotalNumVgprs: 0
; ScratchSize: 0
; MemoryBound: 0
; FloatMode: 240
; IeeeMode: 1
; LDSByteSize: 0 bytes/workgroup (compile time only)
; SGPRBlocks: 0
; VGPRBlocks: 0
; NumSGPRsForWavesPerEU: 6
; NumVGPRsForWavesPerEU: 1
; AccumOffset: 4
; Occupancy: 8
; WaveLimiterHint : 0
; COMPUTE_PGM_RSRC2:SCRATCH_EN: 0
; COMPUTE_PGM_RSRC2:USER_SGPR: 2
; COMPUTE_PGM_RSRC2:TRAP_HANDLER: 0
; COMPUTE_PGM_RSRC2:TGID_X_EN: 1
; COMPUTE_PGM_RSRC2:TGID_Y_EN: 0
; COMPUTE_PGM_RSRC2:TGID_Z_EN: 0
; COMPUTE_PGM_RSRC2:TIDIG_COMP_CNT: 0
; COMPUTE_PGM_RSRC3_GFX90A:ACCUM_OFFSET: 0
; COMPUTE_PGM_RSRC3_GFX90A:TG_SPLIT: 0
	.section	.text._ZN7rocprim17ROCPRIM_400000_NS6detail17trampoline_kernelINS0_14default_configENS1_22reduce_config_selectorIbEEZNS1_11reduce_implILb1ES3_N6hipcub16HIPCUB_304000_NS22TransformInputIteratorIb7NonZeroIsEPslEEPllNS8_6detail34convert_binary_result_type_wrapperINS8_3SumESD_lEEEE10hipError_tPvRmT1_T2_T3_mT4_P12ihipStream_tbEUlT_E1_NS1_11comp_targetILNS1_3genE10ELNS1_11target_archE1201ELNS1_3gpuE5ELNS1_3repE0EEENS1_30default_config_static_selectorELNS0_4arch9wavefront6targetE1EEEvSM_,"axG",@progbits,_ZN7rocprim17ROCPRIM_400000_NS6detail17trampoline_kernelINS0_14default_configENS1_22reduce_config_selectorIbEEZNS1_11reduce_implILb1ES3_N6hipcub16HIPCUB_304000_NS22TransformInputIteratorIb7NonZeroIsEPslEEPllNS8_6detail34convert_binary_result_type_wrapperINS8_3SumESD_lEEEE10hipError_tPvRmT1_T2_T3_mT4_P12ihipStream_tbEUlT_E1_NS1_11comp_targetILNS1_3genE10ELNS1_11target_archE1201ELNS1_3gpuE5ELNS1_3repE0EEENS1_30default_config_static_selectorELNS0_4arch9wavefront6targetE1EEEvSM_,comdat
	.protected	_ZN7rocprim17ROCPRIM_400000_NS6detail17trampoline_kernelINS0_14default_configENS1_22reduce_config_selectorIbEEZNS1_11reduce_implILb1ES3_N6hipcub16HIPCUB_304000_NS22TransformInputIteratorIb7NonZeroIsEPslEEPllNS8_6detail34convert_binary_result_type_wrapperINS8_3SumESD_lEEEE10hipError_tPvRmT1_T2_T3_mT4_P12ihipStream_tbEUlT_E1_NS1_11comp_targetILNS1_3genE10ELNS1_11target_archE1201ELNS1_3gpuE5ELNS1_3repE0EEENS1_30default_config_static_selectorELNS0_4arch9wavefront6targetE1EEEvSM_ ; -- Begin function _ZN7rocprim17ROCPRIM_400000_NS6detail17trampoline_kernelINS0_14default_configENS1_22reduce_config_selectorIbEEZNS1_11reduce_implILb1ES3_N6hipcub16HIPCUB_304000_NS22TransformInputIteratorIb7NonZeroIsEPslEEPllNS8_6detail34convert_binary_result_type_wrapperINS8_3SumESD_lEEEE10hipError_tPvRmT1_T2_T3_mT4_P12ihipStream_tbEUlT_E1_NS1_11comp_targetILNS1_3genE10ELNS1_11target_archE1201ELNS1_3gpuE5ELNS1_3repE0EEENS1_30default_config_static_selectorELNS0_4arch9wavefront6targetE1EEEvSM_
	.globl	_ZN7rocprim17ROCPRIM_400000_NS6detail17trampoline_kernelINS0_14default_configENS1_22reduce_config_selectorIbEEZNS1_11reduce_implILb1ES3_N6hipcub16HIPCUB_304000_NS22TransformInputIteratorIb7NonZeroIsEPslEEPllNS8_6detail34convert_binary_result_type_wrapperINS8_3SumESD_lEEEE10hipError_tPvRmT1_T2_T3_mT4_P12ihipStream_tbEUlT_E1_NS1_11comp_targetILNS1_3genE10ELNS1_11target_archE1201ELNS1_3gpuE5ELNS1_3repE0EEENS1_30default_config_static_selectorELNS0_4arch9wavefront6targetE1EEEvSM_
	.p2align	8
	.type	_ZN7rocprim17ROCPRIM_400000_NS6detail17trampoline_kernelINS0_14default_configENS1_22reduce_config_selectorIbEEZNS1_11reduce_implILb1ES3_N6hipcub16HIPCUB_304000_NS22TransformInputIteratorIb7NonZeroIsEPslEEPllNS8_6detail34convert_binary_result_type_wrapperINS8_3SumESD_lEEEE10hipError_tPvRmT1_T2_T3_mT4_P12ihipStream_tbEUlT_E1_NS1_11comp_targetILNS1_3genE10ELNS1_11target_archE1201ELNS1_3gpuE5ELNS1_3repE0EEENS1_30default_config_static_selectorELNS0_4arch9wavefront6targetE1EEEvSM_,@function
_ZN7rocprim17ROCPRIM_400000_NS6detail17trampoline_kernelINS0_14default_configENS1_22reduce_config_selectorIbEEZNS1_11reduce_implILb1ES3_N6hipcub16HIPCUB_304000_NS22TransformInputIteratorIb7NonZeroIsEPslEEPllNS8_6detail34convert_binary_result_type_wrapperINS8_3SumESD_lEEEE10hipError_tPvRmT1_T2_T3_mT4_P12ihipStream_tbEUlT_E1_NS1_11comp_targetILNS1_3genE10ELNS1_11target_archE1201ELNS1_3gpuE5ELNS1_3repE0EEENS1_30default_config_static_selectorELNS0_4arch9wavefront6targetE1EEEvSM_: ; @_ZN7rocprim17ROCPRIM_400000_NS6detail17trampoline_kernelINS0_14default_configENS1_22reduce_config_selectorIbEEZNS1_11reduce_implILb1ES3_N6hipcub16HIPCUB_304000_NS22TransformInputIteratorIb7NonZeroIsEPslEEPllNS8_6detail34convert_binary_result_type_wrapperINS8_3SumESD_lEEEE10hipError_tPvRmT1_T2_T3_mT4_P12ihipStream_tbEUlT_E1_NS1_11comp_targetILNS1_3genE10ELNS1_11target_archE1201ELNS1_3gpuE5ELNS1_3repE0EEENS1_30default_config_static_selectorELNS0_4arch9wavefront6targetE1EEEvSM_
; %bb.0:
	.section	.rodata,"a",@progbits
	.p2align	6, 0x0
	.amdhsa_kernel _ZN7rocprim17ROCPRIM_400000_NS6detail17trampoline_kernelINS0_14default_configENS1_22reduce_config_selectorIbEEZNS1_11reduce_implILb1ES3_N6hipcub16HIPCUB_304000_NS22TransformInputIteratorIb7NonZeroIsEPslEEPllNS8_6detail34convert_binary_result_type_wrapperINS8_3SumESD_lEEEE10hipError_tPvRmT1_T2_T3_mT4_P12ihipStream_tbEUlT_E1_NS1_11comp_targetILNS1_3genE10ELNS1_11target_archE1201ELNS1_3gpuE5ELNS1_3repE0EEENS1_30default_config_static_selectorELNS0_4arch9wavefront6targetE1EEEvSM_
		.amdhsa_group_segment_fixed_size 0
		.amdhsa_private_segment_fixed_size 0
		.amdhsa_kernarg_size 56
		.amdhsa_user_sgpr_count 2
		.amdhsa_user_sgpr_dispatch_ptr 0
		.amdhsa_user_sgpr_queue_ptr 0
		.amdhsa_user_sgpr_kernarg_segment_ptr 1
		.amdhsa_user_sgpr_dispatch_id 0
		.amdhsa_user_sgpr_kernarg_preload_length 0
		.amdhsa_user_sgpr_kernarg_preload_offset 0
		.amdhsa_user_sgpr_private_segment_size 0
		.amdhsa_uses_dynamic_stack 0
		.amdhsa_enable_private_segment 0
		.amdhsa_system_sgpr_workgroup_id_x 1
		.amdhsa_system_sgpr_workgroup_id_y 0
		.amdhsa_system_sgpr_workgroup_id_z 0
		.amdhsa_system_sgpr_workgroup_info 0
		.amdhsa_system_vgpr_workitem_id 0
		.amdhsa_next_free_vgpr 1
		.amdhsa_next_free_sgpr 0
		.amdhsa_accum_offset 4
		.amdhsa_reserve_vcc 0
		.amdhsa_float_round_mode_32 0
		.amdhsa_float_round_mode_16_64 0
		.amdhsa_float_denorm_mode_32 3
		.amdhsa_float_denorm_mode_16_64 3
		.amdhsa_dx10_clamp 1
		.amdhsa_ieee_mode 1
		.amdhsa_fp16_overflow 0
		.amdhsa_tg_split 0
		.amdhsa_exception_fp_ieee_invalid_op 0
		.amdhsa_exception_fp_denorm_src 0
		.amdhsa_exception_fp_ieee_div_zero 0
		.amdhsa_exception_fp_ieee_overflow 0
		.amdhsa_exception_fp_ieee_underflow 0
		.amdhsa_exception_fp_ieee_inexact 0
		.amdhsa_exception_int_div_zero 0
	.end_amdhsa_kernel
	.section	.text._ZN7rocprim17ROCPRIM_400000_NS6detail17trampoline_kernelINS0_14default_configENS1_22reduce_config_selectorIbEEZNS1_11reduce_implILb1ES3_N6hipcub16HIPCUB_304000_NS22TransformInputIteratorIb7NonZeroIsEPslEEPllNS8_6detail34convert_binary_result_type_wrapperINS8_3SumESD_lEEEE10hipError_tPvRmT1_T2_T3_mT4_P12ihipStream_tbEUlT_E1_NS1_11comp_targetILNS1_3genE10ELNS1_11target_archE1201ELNS1_3gpuE5ELNS1_3repE0EEENS1_30default_config_static_selectorELNS0_4arch9wavefront6targetE1EEEvSM_,"axG",@progbits,_ZN7rocprim17ROCPRIM_400000_NS6detail17trampoline_kernelINS0_14default_configENS1_22reduce_config_selectorIbEEZNS1_11reduce_implILb1ES3_N6hipcub16HIPCUB_304000_NS22TransformInputIteratorIb7NonZeroIsEPslEEPllNS8_6detail34convert_binary_result_type_wrapperINS8_3SumESD_lEEEE10hipError_tPvRmT1_T2_T3_mT4_P12ihipStream_tbEUlT_E1_NS1_11comp_targetILNS1_3genE10ELNS1_11target_archE1201ELNS1_3gpuE5ELNS1_3repE0EEENS1_30default_config_static_selectorELNS0_4arch9wavefront6targetE1EEEvSM_,comdat
.Lfunc_end113:
	.size	_ZN7rocprim17ROCPRIM_400000_NS6detail17trampoline_kernelINS0_14default_configENS1_22reduce_config_selectorIbEEZNS1_11reduce_implILb1ES3_N6hipcub16HIPCUB_304000_NS22TransformInputIteratorIb7NonZeroIsEPslEEPllNS8_6detail34convert_binary_result_type_wrapperINS8_3SumESD_lEEEE10hipError_tPvRmT1_T2_T3_mT4_P12ihipStream_tbEUlT_E1_NS1_11comp_targetILNS1_3genE10ELNS1_11target_archE1201ELNS1_3gpuE5ELNS1_3repE0EEENS1_30default_config_static_selectorELNS0_4arch9wavefront6targetE1EEEvSM_, .Lfunc_end113-_ZN7rocprim17ROCPRIM_400000_NS6detail17trampoline_kernelINS0_14default_configENS1_22reduce_config_selectorIbEEZNS1_11reduce_implILb1ES3_N6hipcub16HIPCUB_304000_NS22TransformInputIteratorIb7NonZeroIsEPslEEPllNS8_6detail34convert_binary_result_type_wrapperINS8_3SumESD_lEEEE10hipError_tPvRmT1_T2_T3_mT4_P12ihipStream_tbEUlT_E1_NS1_11comp_targetILNS1_3genE10ELNS1_11target_archE1201ELNS1_3gpuE5ELNS1_3repE0EEENS1_30default_config_static_selectorELNS0_4arch9wavefront6targetE1EEEvSM_
                                        ; -- End function
	.set _ZN7rocprim17ROCPRIM_400000_NS6detail17trampoline_kernelINS0_14default_configENS1_22reduce_config_selectorIbEEZNS1_11reduce_implILb1ES3_N6hipcub16HIPCUB_304000_NS22TransformInputIteratorIb7NonZeroIsEPslEEPllNS8_6detail34convert_binary_result_type_wrapperINS8_3SumESD_lEEEE10hipError_tPvRmT1_T2_T3_mT4_P12ihipStream_tbEUlT_E1_NS1_11comp_targetILNS1_3genE10ELNS1_11target_archE1201ELNS1_3gpuE5ELNS1_3repE0EEENS1_30default_config_static_selectorELNS0_4arch9wavefront6targetE1EEEvSM_.num_vgpr, 0
	.set _ZN7rocprim17ROCPRIM_400000_NS6detail17trampoline_kernelINS0_14default_configENS1_22reduce_config_selectorIbEEZNS1_11reduce_implILb1ES3_N6hipcub16HIPCUB_304000_NS22TransformInputIteratorIb7NonZeroIsEPslEEPllNS8_6detail34convert_binary_result_type_wrapperINS8_3SumESD_lEEEE10hipError_tPvRmT1_T2_T3_mT4_P12ihipStream_tbEUlT_E1_NS1_11comp_targetILNS1_3genE10ELNS1_11target_archE1201ELNS1_3gpuE5ELNS1_3repE0EEENS1_30default_config_static_selectorELNS0_4arch9wavefront6targetE1EEEvSM_.num_agpr, 0
	.set _ZN7rocprim17ROCPRIM_400000_NS6detail17trampoline_kernelINS0_14default_configENS1_22reduce_config_selectorIbEEZNS1_11reduce_implILb1ES3_N6hipcub16HIPCUB_304000_NS22TransformInputIteratorIb7NonZeroIsEPslEEPllNS8_6detail34convert_binary_result_type_wrapperINS8_3SumESD_lEEEE10hipError_tPvRmT1_T2_T3_mT4_P12ihipStream_tbEUlT_E1_NS1_11comp_targetILNS1_3genE10ELNS1_11target_archE1201ELNS1_3gpuE5ELNS1_3repE0EEENS1_30default_config_static_selectorELNS0_4arch9wavefront6targetE1EEEvSM_.numbered_sgpr, 0
	.set _ZN7rocprim17ROCPRIM_400000_NS6detail17trampoline_kernelINS0_14default_configENS1_22reduce_config_selectorIbEEZNS1_11reduce_implILb1ES3_N6hipcub16HIPCUB_304000_NS22TransformInputIteratorIb7NonZeroIsEPslEEPllNS8_6detail34convert_binary_result_type_wrapperINS8_3SumESD_lEEEE10hipError_tPvRmT1_T2_T3_mT4_P12ihipStream_tbEUlT_E1_NS1_11comp_targetILNS1_3genE10ELNS1_11target_archE1201ELNS1_3gpuE5ELNS1_3repE0EEENS1_30default_config_static_selectorELNS0_4arch9wavefront6targetE1EEEvSM_.num_named_barrier, 0
	.set _ZN7rocprim17ROCPRIM_400000_NS6detail17trampoline_kernelINS0_14default_configENS1_22reduce_config_selectorIbEEZNS1_11reduce_implILb1ES3_N6hipcub16HIPCUB_304000_NS22TransformInputIteratorIb7NonZeroIsEPslEEPllNS8_6detail34convert_binary_result_type_wrapperINS8_3SumESD_lEEEE10hipError_tPvRmT1_T2_T3_mT4_P12ihipStream_tbEUlT_E1_NS1_11comp_targetILNS1_3genE10ELNS1_11target_archE1201ELNS1_3gpuE5ELNS1_3repE0EEENS1_30default_config_static_selectorELNS0_4arch9wavefront6targetE1EEEvSM_.private_seg_size, 0
	.set _ZN7rocprim17ROCPRIM_400000_NS6detail17trampoline_kernelINS0_14default_configENS1_22reduce_config_selectorIbEEZNS1_11reduce_implILb1ES3_N6hipcub16HIPCUB_304000_NS22TransformInputIteratorIb7NonZeroIsEPslEEPllNS8_6detail34convert_binary_result_type_wrapperINS8_3SumESD_lEEEE10hipError_tPvRmT1_T2_T3_mT4_P12ihipStream_tbEUlT_E1_NS1_11comp_targetILNS1_3genE10ELNS1_11target_archE1201ELNS1_3gpuE5ELNS1_3repE0EEENS1_30default_config_static_selectorELNS0_4arch9wavefront6targetE1EEEvSM_.uses_vcc, 0
	.set _ZN7rocprim17ROCPRIM_400000_NS6detail17trampoline_kernelINS0_14default_configENS1_22reduce_config_selectorIbEEZNS1_11reduce_implILb1ES3_N6hipcub16HIPCUB_304000_NS22TransformInputIteratorIb7NonZeroIsEPslEEPllNS8_6detail34convert_binary_result_type_wrapperINS8_3SumESD_lEEEE10hipError_tPvRmT1_T2_T3_mT4_P12ihipStream_tbEUlT_E1_NS1_11comp_targetILNS1_3genE10ELNS1_11target_archE1201ELNS1_3gpuE5ELNS1_3repE0EEENS1_30default_config_static_selectorELNS0_4arch9wavefront6targetE1EEEvSM_.uses_flat_scratch, 0
	.set _ZN7rocprim17ROCPRIM_400000_NS6detail17trampoline_kernelINS0_14default_configENS1_22reduce_config_selectorIbEEZNS1_11reduce_implILb1ES3_N6hipcub16HIPCUB_304000_NS22TransformInputIteratorIb7NonZeroIsEPslEEPllNS8_6detail34convert_binary_result_type_wrapperINS8_3SumESD_lEEEE10hipError_tPvRmT1_T2_T3_mT4_P12ihipStream_tbEUlT_E1_NS1_11comp_targetILNS1_3genE10ELNS1_11target_archE1201ELNS1_3gpuE5ELNS1_3repE0EEENS1_30default_config_static_selectorELNS0_4arch9wavefront6targetE1EEEvSM_.has_dyn_sized_stack, 0
	.set _ZN7rocprim17ROCPRIM_400000_NS6detail17trampoline_kernelINS0_14default_configENS1_22reduce_config_selectorIbEEZNS1_11reduce_implILb1ES3_N6hipcub16HIPCUB_304000_NS22TransformInputIteratorIb7NonZeroIsEPslEEPllNS8_6detail34convert_binary_result_type_wrapperINS8_3SumESD_lEEEE10hipError_tPvRmT1_T2_T3_mT4_P12ihipStream_tbEUlT_E1_NS1_11comp_targetILNS1_3genE10ELNS1_11target_archE1201ELNS1_3gpuE5ELNS1_3repE0EEENS1_30default_config_static_selectorELNS0_4arch9wavefront6targetE1EEEvSM_.has_recursion, 0
	.set _ZN7rocprim17ROCPRIM_400000_NS6detail17trampoline_kernelINS0_14default_configENS1_22reduce_config_selectorIbEEZNS1_11reduce_implILb1ES3_N6hipcub16HIPCUB_304000_NS22TransformInputIteratorIb7NonZeroIsEPslEEPllNS8_6detail34convert_binary_result_type_wrapperINS8_3SumESD_lEEEE10hipError_tPvRmT1_T2_T3_mT4_P12ihipStream_tbEUlT_E1_NS1_11comp_targetILNS1_3genE10ELNS1_11target_archE1201ELNS1_3gpuE5ELNS1_3repE0EEENS1_30default_config_static_selectorELNS0_4arch9wavefront6targetE1EEEvSM_.has_indirect_call, 0
	.section	.AMDGPU.csdata,"",@progbits
; Kernel info:
; codeLenInByte = 0
; TotalNumSgprs: 6
; NumVgprs: 0
; NumAgprs: 0
; TotalNumVgprs: 0
; ScratchSize: 0
; MemoryBound: 0
; FloatMode: 240
; IeeeMode: 1
; LDSByteSize: 0 bytes/workgroup (compile time only)
; SGPRBlocks: 0
; VGPRBlocks: 0
; NumSGPRsForWavesPerEU: 6
; NumVGPRsForWavesPerEU: 1
; AccumOffset: 4
; Occupancy: 8
; WaveLimiterHint : 0
; COMPUTE_PGM_RSRC2:SCRATCH_EN: 0
; COMPUTE_PGM_RSRC2:USER_SGPR: 2
; COMPUTE_PGM_RSRC2:TRAP_HANDLER: 0
; COMPUTE_PGM_RSRC2:TGID_X_EN: 1
; COMPUTE_PGM_RSRC2:TGID_Y_EN: 0
; COMPUTE_PGM_RSRC2:TGID_Z_EN: 0
; COMPUTE_PGM_RSRC2:TIDIG_COMP_CNT: 0
; COMPUTE_PGM_RSRC3_GFX90A:ACCUM_OFFSET: 0
; COMPUTE_PGM_RSRC3_GFX90A:TG_SPLIT: 0
	.section	.text._ZN7rocprim17ROCPRIM_400000_NS6detail17trampoline_kernelINS0_14default_configENS1_22reduce_config_selectorIbEEZNS1_11reduce_implILb1ES3_N6hipcub16HIPCUB_304000_NS22TransformInputIteratorIb7NonZeroIsEPslEEPllNS8_6detail34convert_binary_result_type_wrapperINS8_3SumESD_lEEEE10hipError_tPvRmT1_T2_T3_mT4_P12ihipStream_tbEUlT_E1_NS1_11comp_targetILNS1_3genE10ELNS1_11target_archE1200ELNS1_3gpuE4ELNS1_3repE0EEENS1_30default_config_static_selectorELNS0_4arch9wavefront6targetE1EEEvSM_,"axG",@progbits,_ZN7rocprim17ROCPRIM_400000_NS6detail17trampoline_kernelINS0_14default_configENS1_22reduce_config_selectorIbEEZNS1_11reduce_implILb1ES3_N6hipcub16HIPCUB_304000_NS22TransformInputIteratorIb7NonZeroIsEPslEEPllNS8_6detail34convert_binary_result_type_wrapperINS8_3SumESD_lEEEE10hipError_tPvRmT1_T2_T3_mT4_P12ihipStream_tbEUlT_E1_NS1_11comp_targetILNS1_3genE10ELNS1_11target_archE1200ELNS1_3gpuE4ELNS1_3repE0EEENS1_30default_config_static_selectorELNS0_4arch9wavefront6targetE1EEEvSM_,comdat
	.protected	_ZN7rocprim17ROCPRIM_400000_NS6detail17trampoline_kernelINS0_14default_configENS1_22reduce_config_selectorIbEEZNS1_11reduce_implILb1ES3_N6hipcub16HIPCUB_304000_NS22TransformInputIteratorIb7NonZeroIsEPslEEPllNS8_6detail34convert_binary_result_type_wrapperINS8_3SumESD_lEEEE10hipError_tPvRmT1_T2_T3_mT4_P12ihipStream_tbEUlT_E1_NS1_11comp_targetILNS1_3genE10ELNS1_11target_archE1200ELNS1_3gpuE4ELNS1_3repE0EEENS1_30default_config_static_selectorELNS0_4arch9wavefront6targetE1EEEvSM_ ; -- Begin function _ZN7rocprim17ROCPRIM_400000_NS6detail17trampoline_kernelINS0_14default_configENS1_22reduce_config_selectorIbEEZNS1_11reduce_implILb1ES3_N6hipcub16HIPCUB_304000_NS22TransformInputIteratorIb7NonZeroIsEPslEEPllNS8_6detail34convert_binary_result_type_wrapperINS8_3SumESD_lEEEE10hipError_tPvRmT1_T2_T3_mT4_P12ihipStream_tbEUlT_E1_NS1_11comp_targetILNS1_3genE10ELNS1_11target_archE1200ELNS1_3gpuE4ELNS1_3repE0EEENS1_30default_config_static_selectorELNS0_4arch9wavefront6targetE1EEEvSM_
	.globl	_ZN7rocprim17ROCPRIM_400000_NS6detail17trampoline_kernelINS0_14default_configENS1_22reduce_config_selectorIbEEZNS1_11reduce_implILb1ES3_N6hipcub16HIPCUB_304000_NS22TransformInputIteratorIb7NonZeroIsEPslEEPllNS8_6detail34convert_binary_result_type_wrapperINS8_3SumESD_lEEEE10hipError_tPvRmT1_T2_T3_mT4_P12ihipStream_tbEUlT_E1_NS1_11comp_targetILNS1_3genE10ELNS1_11target_archE1200ELNS1_3gpuE4ELNS1_3repE0EEENS1_30default_config_static_selectorELNS0_4arch9wavefront6targetE1EEEvSM_
	.p2align	8
	.type	_ZN7rocprim17ROCPRIM_400000_NS6detail17trampoline_kernelINS0_14default_configENS1_22reduce_config_selectorIbEEZNS1_11reduce_implILb1ES3_N6hipcub16HIPCUB_304000_NS22TransformInputIteratorIb7NonZeroIsEPslEEPllNS8_6detail34convert_binary_result_type_wrapperINS8_3SumESD_lEEEE10hipError_tPvRmT1_T2_T3_mT4_P12ihipStream_tbEUlT_E1_NS1_11comp_targetILNS1_3genE10ELNS1_11target_archE1200ELNS1_3gpuE4ELNS1_3repE0EEENS1_30default_config_static_selectorELNS0_4arch9wavefront6targetE1EEEvSM_,@function
_ZN7rocprim17ROCPRIM_400000_NS6detail17trampoline_kernelINS0_14default_configENS1_22reduce_config_selectorIbEEZNS1_11reduce_implILb1ES3_N6hipcub16HIPCUB_304000_NS22TransformInputIteratorIb7NonZeroIsEPslEEPllNS8_6detail34convert_binary_result_type_wrapperINS8_3SumESD_lEEEE10hipError_tPvRmT1_T2_T3_mT4_P12ihipStream_tbEUlT_E1_NS1_11comp_targetILNS1_3genE10ELNS1_11target_archE1200ELNS1_3gpuE4ELNS1_3repE0EEENS1_30default_config_static_selectorELNS0_4arch9wavefront6targetE1EEEvSM_: ; @_ZN7rocprim17ROCPRIM_400000_NS6detail17trampoline_kernelINS0_14default_configENS1_22reduce_config_selectorIbEEZNS1_11reduce_implILb1ES3_N6hipcub16HIPCUB_304000_NS22TransformInputIteratorIb7NonZeroIsEPslEEPllNS8_6detail34convert_binary_result_type_wrapperINS8_3SumESD_lEEEE10hipError_tPvRmT1_T2_T3_mT4_P12ihipStream_tbEUlT_E1_NS1_11comp_targetILNS1_3genE10ELNS1_11target_archE1200ELNS1_3gpuE4ELNS1_3repE0EEENS1_30default_config_static_selectorELNS0_4arch9wavefront6targetE1EEEvSM_
; %bb.0:
	.section	.rodata,"a",@progbits
	.p2align	6, 0x0
	.amdhsa_kernel _ZN7rocprim17ROCPRIM_400000_NS6detail17trampoline_kernelINS0_14default_configENS1_22reduce_config_selectorIbEEZNS1_11reduce_implILb1ES3_N6hipcub16HIPCUB_304000_NS22TransformInputIteratorIb7NonZeroIsEPslEEPllNS8_6detail34convert_binary_result_type_wrapperINS8_3SumESD_lEEEE10hipError_tPvRmT1_T2_T3_mT4_P12ihipStream_tbEUlT_E1_NS1_11comp_targetILNS1_3genE10ELNS1_11target_archE1200ELNS1_3gpuE4ELNS1_3repE0EEENS1_30default_config_static_selectorELNS0_4arch9wavefront6targetE1EEEvSM_
		.amdhsa_group_segment_fixed_size 0
		.amdhsa_private_segment_fixed_size 0
		.amdhsa_kernarg_size 56
		.amdhsa_user_sgpr_count 2
		.amdhsa_user_sgpr_dispatch_ptr 0
		.amdhsa_user_sgpr_queue_ptr 0
		.amdhsa_user_sgpr_kernarg_segment_ptr 1
		.amdhsa_user_sgpr_dispatch_id 0
		.amdhsa_user_sgpr_kernarg_preload_length 0
		.amdhsa_user_sgpr_kernarg_preload_offset 0
		.amdhsa_user_sgpr_private_segment_size 0
		.amdhsa_uses_dynamic_stack 0
		.amdhsa_enable_private_segment 0
		.amdhsa_system_sgpr_workgroup_id_x 1
		.amdhsa_system_sgpr_workgroup_id_y 0
		.amdhsa_system_sgpr_workgroup_id_z 0
		.amdhsa_system_sgpr_workgroup_info 0
		.amdhsa_system_vgpr_workitem_id 0
		.amdhsa_next_free_vgpr 1
		.amdhsa_next_free_sgpr 0
		.amdhsa_accum_offset 4
		.amdhsa_reserve_vcc 0
		.amdhsa_float_round_mode_32 0
		.amdhsa_float_round_mode_16_64 0
		.amdhsa_float_denorm_mode_32 3
		.amdhsa_float_denorm_mode_16_64 3
		.amdhsa_dx10_clamp 1
		.amdhsa_ieee_mode 1
		.amdhsa_fp16_overflow 0
		.amdhsa_tg_split 0
		.amdhsa_exception_fp_ieee_invalid_op 0
		.amdhsa_exception_fp_denorm_src 0
		.amdhsa_exception_fp_ieee_div_zero 0
		.amdhsa_exception_fp_ieee_overflow 0
		.amdhsa_exception_fp_ieee_underflow 0
		.amdhsa_exception_fp_ieee_inexact 0
		.amdhsa_exception_int_div_zero 0
	.end_amdhsa_kernel
	.section	.text._ZN7rocprim17ROCPRIM_400000_NS6detail17trampoline_kernelINS0_14default_configENS1_22reduce_config_selectorIbEEZNS1_11reduce_implILb1ES3_N6hipcub16HIPCUB_304000_NS22TransformInputIteratorIb7NonZeroIsEPslEEPllNS8_6detail34convert_binary_result_type_wrapperINS8_3SumESD_lEEEE10hipError_tPvRmT1_T2_T3_mT4_P12ihipStream_tbEUlT_E1_NS1_11comp_targetILNS1_3genE10ELNS1_11target_archE1200ELNS1_3gpuE4ELNS1_3repE0EEENS1_30default_config_static_selectorELNS0_4arch9wavefront6targetE1EEEvSM_,"axG",@progbits,_ZN7rocprim17ROCPRIM_400000_NS6detail17trampoline_kernelINS0_14default_configENS1_22reduce_config_selectorIbEEZNS1_11reduce_implILb1ES3_N6hipcub16HIPCUB_304000_NS22TransformInputIteratorIb7NonZeroIsEPslEEPllNS8_6detail34convert_binary_result_type_wrapperINS8_3SumESD_lEEEE10hipError_tPvRmT1_T2_T3_mT4_P12ihipStream_tbEUlT_E1_NS1_11comp_targetILNS1_3genE10ELNS1_11target_archE1200ELNS1_3gpuE4ELNS1_3repE0EEENS1_30default_config_static_selectorELNS0_4arch9wavefront6targetE1EEEvSM_,comdat
.Lfunc_end114:
	.size	_ZN7rocprim17ROCPRIM_400000_NS6detail17trampoline_kernelINS0_14default_configENS1_22reduce_config_selectorIbEEZNS1_11reduce_implILb1ES3_N6hipcub16HIPCUB_304000_NS22TransformInputIteratorIb7NonZeroIsEPslEEPllNS8_6detail34convert_binary_result_type_wrapperINS8_3SumESD_lEEEE10hipError_tPvRmT1_T2_T3_mT4_P12ihipStream_tbEUlT_E1_NS1_11comp_targetILNS1_3genE10ELNS1_11target_archE1200ELNS1_3gpuE4ELNS1_3repE0EEENS1_30default_config_static_selectorELNS0_4arch9wavefront6targetE1EEEvSM_, .Lfunc_end114-_ZN7rocprim17ROCPRIM_400000_NS6detail17trampoline_kernelINS0_14default_configENS1_22reduce_config_selectorIbEEZNS1_11reduce_implILb1ES3_N6hipcub16HIPCUB_304000_NS22TransformInputIteratorIb7NonZeroIsEPslEEPllNS8_6detail34convert_binary_result_type_wrapperINS8_3SumESD_lEEEE10hipError_tPvRmT1_T2_T3_mT4_P12ihipStream_tbEUlT_E1_NS1_11comp_targetILNS1_3genE10ELNS1_11target_archE1200ELNS1_3gpuE4ELNS1_3repE0EEENS1_30default_config_static_selectorELNS0_4arch9wavefront6targetE1EEEvSM_
                                        ; -- End function
	.set _ZN7rocprim17ROCPRIM_400000_NS6detail17trampoline_kernelINS0_14default_configENS1_22reduce_config_selectorIbEEZNS1_11reduce_implILb1ES3_N6hipcub16HIPCUB_304000_NS22TransformInputIteratorIb7NonZeroIsEPslEEPllNS8_6detail34convert_binary_result_type_wrapperINS8_3SumESD_lEEEE10hipError_tPvRmT1_T2_T3_mT4_P12ihipStream_tbEUlT_E1_NS1_11comp_targetILNS1_3genE10ELNS1_11target_archE1200ELNS1_3gpuE4ELNS1_3repE0EEENS1_30default_config_static_selectorELNS0_4arch9wavefront6targetE1EEEvSM_.num_vgpr, 0
	.set _ZN7rocprim17ROCPRIM_400000_NS6detail17trampoline_kernelINS0_14default_configENS1_22reduce_config_selectorIbEEZNS1_11reduce_implILb1ES3_N6hipcub16HIPCUB_304000_NS22TransformInputIteratorIb7NonZeroIsEPslEEPllNS8_6detail34convert_binary_result_type_wrapperINS8_3SumESD_lEEEE10hipError_tPvRmT1_T2_T3_mT4_P12ihipStream_tbEUlT_E1_NS1_11comp_targetILNS1_3genE10ELNS1_11target_archE1200ELNS1_3gpuE4ELNS1_3repE0EEENS1_30default_config_static_selectorELNS0_4arch9wavefront6targetE1EEEvSM_.num_agpr, 0
	.set _ZN7rocprim17ROCPRIM_400000_NS6detail17trampoline_kernelINS0_14default_configENS1_22reduce_config_selectorIbEEZNS1_11reduce_implILb1ES3_N6hipcub16HIPCUB_304000_NS22TransformInputIteratorIb7NonZeroIsEPslEEPllNS8_6detail34convert_binary_result_type_wrapperINS8_3SumESD_lEEEE10hipError_tPvRmT1_T2_T3_mT4_P12ihipStream_tbEUlT_E1_NS1_11comp_targetILNS1_3genE10ELNS1_11target_archE1200ELNS1_3gpuE4ELNS1_3repE0EEENS1_30default_config_static_selectorELNS0_4arch9wavefront6targetE1EEEvSM_.numbered_sgpr, 0
	.set _ZN7rocprim17ROCPRIM_400000_NS6detail17trampoline_kernelINS0_14default_configENS1_22reduce_config_selectorIbEEZNS1_11reduce_implILb1ES3_N6hipcub16HIPCUB_304000_NS22TransformInputIteratorIb7NonZeroIsEPslEEPllNS8_6detail34convert_binary_result_type_wrapperINS8_3SumESD_lEEEE10hipError_tPvRmT1_T2_T3_mT4_P12ihipStream_tbEUlT_E1_NS1_11comp_targetILNS1_3genE10ELNS1_11target_archE1200ELNS1_3gpuE4ELNS1_3repE0EEENS1_30default_config_static_selectorELNS0_4arch9wavefront6targetE1EEEvSM_.num_named_barrier, 0
	.set _ZN7rocprim17ROCPRIM_400000_NS6detail17trampoline_kernelINS0_14default_configENS1_22reduce_config_selectorIbEEZNS1_11reduce_implILb1ES3_N6hipcub16HIPCUB_304000_NS22TransformInputIteratorIb7NonZeroIsEPslEEPllNS8_6detail34convert_binary_result_type_wrapperINS8_3SumESD_lEEEE10hipError_tPvRmT1_T2_T3_mT4_P12ihipStream_tbEUlT_E1_NS1_11comp_targetILNS1_3genE10ELNS1_11target_archE1200ELNS1_3gpuE4ELNS1_3repE0EEENS1_30default_config_static_selectorELNS0_4arch9wavefront6targetE1EEEvSM_.private_seg_size, 0
	.set _ZN7rocprim17ROCPRIM_400000_NS6detail17trampoline_kernelINS0_14default_configENS1_22reduce_config_selectorIbEEZNS1_11reduce_implILb1ES3_N6hipcub16HIPCUB_304000_NS22TransformInputIteratorIb7NonZeroIsEPslEEPllNS8_6detail34convert_binary_result_type_wrapperINS8_3SumESD_lEEEE10hipError_tPvRmT1_T2_T3_mT4_P12ihipStream_tbEUlT_E1_NS1_11comp_targetILNS1_3genE10ELNS1_11target_archE1200ELNS1_3gpuE4ELNS1_3repE0EEENS1_30default_config_static_selectorELNS0_4arch9wavefront6targetE1EEEvSM_.uses_vcc, 0
	.set _ZN7rocprim17ROCPRIM_400000_NS6detail17trampoline_kernelINS0_14default_configENS1_22reduce_config_selectorIbEEZNS1_11reduce_implILb1ES3_N6hipcub16HIPCUB_304000_NS22TransformInputIteratorIb7NonZeroIsEPslEEPllNS8_6detail34convert_binary_result_type_wrapperINS8_3SumESD_lEEEE10hipError_tPvRmT1_T2_T3_mT4_P12ihipStream_tbEUlT_E1_NS1_11comp_targetILNS1_3genE10ELNS1_11target_archE1200ELNS1_3gpuE4ELNS1_3repE0EEENS1_30default_config_static_selectorELNS0_4arch9wavefront6targetE1EEEvSM_.uses_flat_scratch, 0
	.set _ZN7rocprim17ROCPRIM_400000_NS6detail17trampoline_kernelINS0_14default_configENS1_22reduce_config_selectorIbEEZNS1_11reduce_implILb1ES3_N6hipcub16HIPCUB_304000_NS22TransformInputIteratorIb7NonZeroIsEPslEEPllNS8_6detail34convert_binary_result_type_wrapperINS8_3SumESD_lEEEE10hipError_tPvRmT1_T2_T3_mT4_P12ihipStream_tbEUlT_E1_NS1_11comp_targetILNS1_3genE10ELNS1_11target_archE1200ELNS1_3gpuE4ELNS1_3repE0EEENS1_30default_config_static_selectorELNS0_4arch9wavefront6targetE1EEEvSM_.has_dyn_sized_stack, 0
	.set _ZN7rocprim17ROCPRIM_400000_NS6detail17trampoline_kernelINS0_14default_configENS1_22reduce_config_selectorIbEEZNS1_11reduce_implILb1ES3_N6hipcub16HIPCUB_304000_NS22TransformInputIteratorIb7NonZeroIsEPslEEPllNS8_6detail34convert_binary_result_type_wrapperINS8_3SumESD_lEEEE10hipError_tPvRmT1_T2_T3_mT4_P12ihipStream_tbEUlT_E1_NS1_11comp_targetILNS1_3genE10ELNS1_11target_archE1200ELNS1_3gpuE4ELNS1_3repE0EEENS1_30default_config_static_selectorELNS0_4arch9wavefront6targetE1EEEvSM_.has_recursion, 0
	.set _ZN7rocprim17ROCPRIM_400000_NS6detail17trampoline_kernelINS0_14default_configENS1_22reduce_config_selectorIbEEZNS1_11reduce_implILb1ES3_N6hipcub16HIPCUB_304000_NS22TransformInputIteratorIb7NonZeroIsEPslEEPllNS8_6detail34convert_binary_result_type_wrapperINS8_3SumESD_lEEEE10hipError_tPvRmT1_T2_T3_mT4_P12ihipStream_tbEUlT_E1_NS1_11comp_targetILNS1_3genE10ELNS1_11target_archE1200ELNS1_3gpuE4ELNS1_3repE0EEENS1_30default_config_static_selectorELNS0_4arch9wavefront6targetE1EEEvSM_.has_indirect_call, 0
	.section	.AMDGPU.csdata,"",@progbits
; Kernel info:
; codeLenInByte = 0
; TotalNumSgprs: 6
; NumVgprs: 0
; NumAgprs: 0
; TotalNumVgprs: 0
; ScratchSize: 0
; MemoryBound: 0
; FloatMode: 240
; IeeeMode: 1
; LDSByteSize: 0 bytes/workgroup (compile time only)
; SGPRBlocks: 0
; VGPRBlocks: 0
; NumSGPRsForWavesPerEU: 6
; NumVGPRsForWavesPerEU: 1
; AccumOffset: 4
; Occupancy: 8
; WaveLimiterHint : 0
; COMPUTE_PGM_RSRC2:SCRATCH_EN: 0
; COMPUTE_PGM_RSRC2:USER_SGPR: 2
; COMPUTE_PGM_RSRC2:TRAP_HANDLER: 0
; COMPUTE_PGM_RSRC2:TGID_X_EN: 1
; COMPUTE_PGM_RSRC2:TGID_Y_EN: 0
; COMPUTE_PGM_RSRC2:TGID_Z_EN: 0
; COMPUTE_PGM_RSRC2:TIDIG_COMP_CNT: 0
; COMPUTE_PGM_RSRC3_GFX90A:ACCUM_OFFSET: 0
; COMPUTE_PGM_RSRC3_GFX90A:TG_SPLIT: 0
	.section	.text._ZN7rocprim17ROCPRIM_400000_NS6detail17trampoline_kernelINS0_14default_configENS1_22reduce_config_selectorIbEEZNS1_11reduce_implILb1ES3_N6hipcub16HIPCUB_304000_NS22TransformInputIteratorIb7NonZeroIsEPslEEPllNS8_6detail34convert_binary_result_type_wrapperINS8_3SumESD_lEEEE10hipError_tPvRmT1_T2_T3_mT4_P12ihipStream_tbEUlT_E1_NS1_11comp_targetILNS1_3genE9ELNS1_11target_archE1100ELNS1_3gpuE3ELNS1_3repE0EEENS1_30default_config_static_selectorELNS0_4arch9wavefront6targetE1EEEvSM_,"axG",@progbits,_ZN7rocprim17ROCPRIM_400000_NS6detail17trampoline_kernelINS0_14default_configENS1_22reduce_config_selectorIbEEZNS1_11reduce_implILb1ES3_N6hipcub16HIPCUB_304000_NS22TransformInputIteratorIb7NonZeroIsEPslEEPllNS8_6detail34convert_binary_result_type_wrapperINS8_3SumESD_lEEEE10hipError_tPvRmT1_T2_T3_mT4_P12ihipStream_tbEUlT_E1_NS1_11comp_targetILNS1_3genE9ELNS1_11target_archE1100ELNS1_3gpuE3ELNS1_3repE0EEENS1_30default_config_static_selectorELNS0_4arch9wavefront6targetE1EEEvSM_,comdat
	.protected	_ZN7rocprim17ROCPRIM_400000_NS6detail17trampoline_kernelINS0_14default_configENS1_22reduce_config_selectorIbEEZNS1_11reduce_implILb1ES3_N6hipcub16HIPCUB_304000_NS22TransformInputIteratorIb7NonZeroIsEPslEEPllNS8_6detail34convert_binary_result_type_wrapperINS8_3SumESD_lEEEE10hipError_tPvRmT1_T2_T3_mT4_P12ihipStream_tbEUlT_E1_NS1_11comp_targetILNS1_3genE9ELNS1_11target_archE1100ELNS1_3gpuE3ELNS1_3repE0EEENS1_30default_config_static_selectorELNS0_4arch9wavefront6targetE1EEEvSM_ ; -- Begin function _ZN7rocprim17ROCPRIM_400000_NS6detail17trampoline_kernelINS0_14default_configENS1_22reduce_config_selectorIbEEZNS1_11reduce_implILb1ES3_N6hipcub16HIPCUB_304000_NS22TransformInputIteratorIb7NonZeroIsEPslEEPllNS8_6detail34convert_binary_result_type_wrapperINS8_3SumESD_lEEEE10hipError_tPvRmT1_T2_T3_mT4_P12ihipStream_tbEUlT_E1_NS1_11comp_targetILNS1_3genE9ELNS1_11target_archE1100ELNS1_3gpuE3ELNS1_3repE0EEENS1_30default_config_static_selectorELNS0_4arch9wavefront6targetE1EEEvSM_
	.globl	_ZN7rocprim17ROCPRIM_400000_NS6detail17trampoline_kernelINS0_14default_configENS1_22reduce_config_selectorIbEEZNS1_11reduce_implILb1ES3_N6hipcub16HIPCUB_304000_NS22TransformInputIteratorIb7NonZeroIsEPslEEPllNS8_6detail34convert_binary_result_type_wrapperINS8_3SumESD_lEEEE10hipError_tPvRmT1_T2_T3_mT4_P12ihipStream_tbEUlT_E1_NS1_11comp_targetILNS1_3genE9ELNS1_11target_archE1100ELNS1_3gpuE3ELNS1_3repE0EEENS1_30default_config_static_selectorELNS0_4arch9wavefront6targetE1EEEvSM_
	.p2align	8
	.type	_ZN7rocprim17ROCPRIM_400000_NS6detail17trampoline_kernelINS0_14default_configENS1_22reduce_config_selectorIbEEZNS1_11reduce_implILb1ES3_N6hipcub16HIPCUB_304000_NS22TransformInputIteratorIb7NonZeroIsEPslEEPllNS8_6detail34convert_binary_result_type_wrapperINS8_3SumESD_lEEEE10hipError_tPvRmT1_T2_T3_mT4_P12ihipStream_tbEUlT_E1_NS1_11comp_targetILNS1_3genE9ELNS1_11target_archE1100ELNS1_3gpuE3ELNS1_3repE0EEENS1_30default_config_static_selectorELNS0_4arch9wavefront6targetE1EEEvSM_,@function
_ZN7rocprim17ROCPRIM_400000_NS6detail17trampoline_kernelINS0_14default_configENS1_22reduce_config_selectorIbEEZNS1_11reduce_implILb1ES3_N6hipcub16HIPCUB_304000_NS22TransformInputIteratorIb7NonZeroIsEPslEEPllNS8_6detail34convert_binary_result_type_wrapperINS8_3SumESD_lEEEE10hipError_tPvRmT1_T2_T3_mT4_P12ihipStream_tbEUlT_E1_NS1_11comp_targetILNS1_3genE9ELNS1_11target_archE1100ELNS1_3gpuE3ELNS1_3repE0EEENS1_30default_config_static_selectorELNS0_4arch9wavefront6targetE1EEEvSM_: ; @_ZN7rocprim17ROCPRIM_400000_NS6detail17trampoline_kernelINS0_14default_configENS1_22reduce_config_selectorIbEEZNS1_11reduce_implILb1ES3_N6hipcub16HIPCUB_304000_NS22TransformInputIteratorIb7NonZeroIsEPslEEPllNS8_6detail34convert_binary_result_type_wrapperINS8_3SumESD_lEEEE10hipError_tPvRmT1_T2_T3_mT4_P12ihipStream_tbEUlT_E1_NS1_11comp_targetILNS1_3genE9ELNS1_11target_archE1100ELNS1_3gpuE3ELNS1_3repE0EEENS1_30default_config_static_selectorELNS0_4arch9wavefront6targetE1EEEvSM_
; %bb.0:
	.section	.rodata,"a",@progbits
	.p2align	6, 0x0
	.amdhsa_kernel _ZN7rocprim17ROCPRIM_400000_NS6detail17trampoline_kernelINS0_14default_configENS1_22reduce_config_selectorIbEEZNS1_11reduce_implILb1ES3_N6hipcub16HIPCUB_304000_NS22TransformInputIteratorIb7NonZeroIsEPslEEPllNS8_6detail34convert_binary_result_type_wrapperINS8_3SumESD_lEEEE10hipError_tPvRmT1_T2_T3_mT4_P12ihipStream_tbEUlT_E1_NS1_11comp_targetILNS1_3genE9ELNS1_11target_archE1100ELNS1_3gpuE3ELNS1_3repE0EEENS1_30default_config_static_selectorELNS0_4arch9wavefront6targetE1EEEvSM_
		.amdhsa_group_segment_fixed_size 0
		.amdhsa_private_segment_fixed_size 0
		.amdhsa_kernarg_size 56
		.amdhsa_user_sgpr_count 2
		.amdhsa_user_sgpr_dispatch_ptr 0
		.amdhsa_user_sgpr_queue_ptr 0
		.amdhsa_user_sgpr_kernarg_segment_ptr 1
		.amdhsa_user_sgpr_dispatch_id 0
		.amdhsa_user_sgpr_kernarg_preload_length 0
		.amdhsa_user_sgpr_kernarg_preload_offset 0
		.amdhsa_user_sgpr_private_segment_size 0
		.amdhsa_uses_dynamic_stack 0
		.amdhsa_enable_private_segment 0
		.amdhsa_system_sgpr_workgroup_id_x 1
		.amdhsa_system_sgpr_workgroup_id_y 0
		.amdhsa_system_sgpr_workgroup_id_z 0
		.amdhsa_system_sgpr_workgroup_info 0
		.amdhsa_system_vgpr_workitem_id 0
		.amdhsa_next_free_vgpr 1
		.amdhsa_next_free_sgpr 0
		.amdhsa_accum_offset 4
		.amdhsa_reserve_vcc 0
		.amdhsa_float_round_mode_32 0
		.amdhsa_float_round_mode_16_64 0
		.amdhsa_float_denorm_mode_32 3
		.amdhsa_float_denorm_mode_16_64 3
		.amdhsa_dx10_clamp 1
		.amdhsa_ieee_mode 1
		.amdhsa_fp16_overflow 0
		.amdhsa_tg_split 0
		.amdhsa_exception_fp_ieee_invalid_op 0
		.amdhsa_exception_fp_denorm_src 0
		.amdhsa_exception_fp_ieee_div_zero 0
		.amdhsa_exception_fp_ieee_overflow 0
		.amdhsa_exception_fp_ieee_underflow 0
		.amdhsa_exception_fp_ieee_inexact 0
		.amdhsa_exception_int_div_zero 0
	.end_amdhsa_kernel
	.section	.text._ZN7rocprim17ROCPRIM_400000_NS6detail17trampoline_kernelINS0_14default_configENS1_22reduce_config_selectorIbEEZNS1_11reduce_implILb1ES3_N6hipcub16HIPCUB_304000_NS22TransformInputIteratorIb7NonZeroIsEPslEEPllNS8_6detail34convert_binary_result_type_wrapperINS8_3SumESD_lEEEE10hipError_tPvRmT1_T2_T3_mT4_P12ihipStream_tbEUlT_E1_NS1_11comp_targetILNS1_3genE9ELNS1_11target_archE1100ELNS1_3gpuE3ELNS1_3repE0EEENS1_30default_config_static_selectorELNS0_4arch9wavefront6targetE1EEEvSM_,"axG",@progbits,_ZN7rocprim17ROCPRIM_400000_NS6detail17trampoline_kernelINS0_14default_configENS1_22reduce_config_selectorIbEEZNS1_11reduce_implILb1ES3_N6hipcub16HIPCUB_304000_NS22TransformInputIteratorIb7NonZeroIsEPslEEPllNS8_6detail34convert_binary_result_type_wrapperINS8_3SumESD_lEEEE10hipError_tPvRmT1_T2_T3_mT4_P12ihipStream_tbEUlT_E1_NS1_11comp_targetILNS1_3genE9ELNS1_11target_archE1100ELNS1_3gpuE3ELNS1_3repE0EEENS1_30default_config_static_selectorELNS0_4arch9wavefront6targetE1EEEvSM_,comdat
.Lfunc_end115:
	.size	_ZN7rocprim17ROCPRIM_400000_NS6detail17trampoline_kernelINS0_14default_configENS1_22reduce_config_selectorIbEEZNS1_11reduce_implILb1ES3_N6hipcub16HIPCUB_304000_NS22TransformInputIteratorIb7NonZeroIsEPslEEPllNS8_6detail34convert_binary_result_type_wrapperINS8_3SumESD_lEEEE10hipError_tPvRmT1_T2_T3_mT4_P12ihipStream_tbEUlT_E1_NS1_11comp_targetILNS1_3genE9ELNS1_11target_archE1100ELNS1_3gpuE3ELNS1_3repE0EEENS1_30default_config_static_selectorELNS0_4arch9wavefront6targetE1EEEvSM_, .Lfunc_end115-_ZN7rocprim17ROCPRIM_400000_NS6detail17trampoline_kernelINS0_14default_configENS1_22reduce_config_selectorIbEEZNS1_11reduce_implILb1ES3_N6hipcub16HIPCUB_304000_NS22TransformInputIteratorIb7NonZeroIsEPslEEPllNS8_6detail34convert_binary_result_type_wrapperINS8_3SumESD_lEEEE10hipError_tPvRmT1_T2_T3_mT4_P12ihipStream_tbEUlT_E1_NS1_11comp_targetILNS1_3genE9ELNS1_11target_archE1100ELNS1_3gpuE3ELNS1_3repE0EEENS1_30default_config_static_selectorELNS0_4arch9wavefront6targetE1EEEvSM_
                                        ; -- End function
	.set _ZN7rocprim17ROCPRIM_400000_NS6detail17trampoline_kernelINS0_14default_configENS1_22reduce_config_selectorIbEEZNS1_11reduce_implILb1ES3_N6hipcub16HIPCUB_304000_NS22TransformInputIteratorIb7NonZeroIsEPslEEPllNS8_6detail34convert_binary_result_type_wrapperINS8_3SumESD_lEEEE10hipError_tPvRmT1_T2_T3_mT4_P12ihipStream_tbEUlT_E1_NS1_11comp_targetILNS1_3genE9ELNS1_11target_archE1100ELNS1_3gpuE3ELNS1_3repE0EEENS1_30default_config_static_selectorELNS0_4arch9wavefront6targetE1EEEvSM_.num_vgpr, 0
	.set _ZN7rocprim17ROCPRIM_400000_NS6detail17trampoline_kernelINS0_14default_configENS1_22reduce_config_selectorIbEEZNS1_11reduce_implILb1ES3_N6hipcub16HIPCUB_304000_NS22TransformInputIteratorIb7NonZeroIsEPslEEPllNS8_6detail34convert_binary_result_type_wrapperINS8_3SumESD_lEEEE10hipError_tPvRmT1_T2_T3_mT4_P12ihipStream_tbEUlT_E1_NS1_11comp_targetILNS1_3genE9ELNS1_11target_archE1100ELNS1_3gpuE3ELNS1_3repE0EEENS1_30default_config_static_selectorELNS0_4arch9wavefront6targetE1EEEvSM_.num_agpr, 0
	.set _ZN7rocprim17ROCPRIM_400000_NS6detail17trampoline_kernelINS0_14default_configENS1_22reduce_config_selectorIbEEZNS1_11reduce_implILb1ES3_N6hipcub16HIPCUB_304000_NS22TransformInputIteratorIb7NonZeroIsEPslEEPllNS8_6detail34convert_binary_result_type_wrapperINS8_3SumESD_lEEEE10hipError_tPvRmT1_T2_T3_mT4_P12ihipStream_tbEUlT_E1_NS1_11comp_targetILNS1_3genE9ELNS1_11target_archE1100ELNS1_3gpuE3ELNS1_3repE0EEENS1_30default_config_static_selectorELNS0_4arch9wavefront6targetE1EEEvSM_.numbered_sgpr, 0
	.set _ZN7rocprim17ROCPRIM_400000_NS6detail17trampoline_kernelINS0_14default_configENS1_22reduce_config_selectorIbEEZNS1_11reduce_implILb1ES3_N6hipcub16HIPCUB_304000_NS22TransformInputIteratorIb7NonZeroIsEPslEEPllNS8_6detail34convert_binary_result_type_wrapperINS8_3SumESD_lEEEE10hipError_tPvRmT1_T2_T3_mT4_P12ihipStream_tbEUlT_E1_NS1_11comp_targetILNS1_3genE9ELNS1_11target_archE1100ELNS1_3gpuE3ELNS1_3repE0EEENS1_30default_config_static_selectorELNS0_4arch9wavefront6targetE1EEEvSM_.num_named_barrier, 0
	.set _ZN7rocprim17ROCPRIM_400000_NS6detail17trampoline_kernelINS0_14default_configENS1_22reduce_config_selectorIbEEZNS1_11reduce_implILb1ES3_N6hipcub16HIPCUB_304000_NS22TransformInputIteratorIb7NonZeroIsEPslEEPllNS8_6detail34convert_binary_result_type_wrapperINS8_3SumESD_lEEEE10hipError_tPvRmT1_T2_T3_mT4_P12ihipStream_tbEUlT_E1_NS1_11comp_targetILNS1_3genE9ELNS1_11target_archE1100ELNS1_3gpuE3ELNS1_3repE0EEENS1_30default_config_static_selectorELNS0_4arch9wavefront6targetE1EEEvSM_.private_seg_size, 0
	.set _ZN7rocprim17ROCPRIM_400000_NS6detail17trampoline_kernelINS0_14default_configENS1_22reduce_config_selectorIbEEZNS1_11reduce_implILb1ES3_N6hipcub16HIPCUB_304000_NS22TransformInputIteratorIb7NonZeroIsEPslEEPllNS8_6detail34convert_binary_result_type_wrapperINS8_3SumESD_lEEEE10hipError_tPvRmT1_T2_T3_mT4_P12ihipStream_tbEUlT_E1_NS1_11comp_targetILNS1_3genE9ELNS1_11target_archE1100ELNS1_3gpuE3ELNS1_3repE0EEENS1_30default_config_static_selectorELNS0_4arch9wavefront6targetE1EEEvSM_.uses_vcc, 0
	.set _ZN7rocprim17ROCPRIM_400000_NS6detail17trampoline_kernelINS0_14default_configENS1_22reduce_config_selectorIbEEZNS1_11reduce_implILb1ES3_N6hipcub16HIPCUB_304000_NS22TransformInputIteratorIb7NonZeroIsEPslEEPllNS8_6detail34convert_binary_result_type_wrapperINS8_3SumESD_lEEEE10hipError_tPvRmT1_T2_T3_mT4_P12ihipStream_tbEUlT_E1_NS1_11comp_targetILNS1_3genE9ELNS1_11target_archE1100ELNS1_3gpuE3ELNS1_3repE0EEENS1_30default_config_static_selectorELNS0_4arch9wavefront6targetE1EEEvSM_.uses_flat_scratch, 0
	.set _ZN7rocprim17ROCPRIM_400000_NS6detail17trampoline_kernelINS0_14default_configENS1_22reduce_config_selectorIbEEZNS1_11reduce_implILb1ES3_N6hipcub16HIPCUB_304000_NS22TransformInputIteratorIb7NonZeroIsEPslEEPllNS8_6detail34convert_binary_result_type_wrapperINS8_3SumESD_lEEEE10hipError_tPvRmT1_T2_T3_mT4_P12ihipStream_tbEUlT_E1_NS1_11comp_targetILNS1_3genE9ELNS1_11target_archE1100ELNS1_3gpuE3ELNS1_3repE0EEENS1_30default_config_static_selectorELNS0_4arch9wavefront6targetE1EEEvSM_.has_dyn_sized_stack, 0
	.set _ZN7rocprim17ROCPRIM_400000_NS6detail17trampoline_kernelINS0_14default_configENS1_22reduce_config_selectorIbEEZNS1_11reduce_implILb1ES3_N6hipcub16HIPCUB_304000_NS22TransformInputIteratorIb7NonZeroIsEPslEEPllNS8_6detail34convert_binary_result_type_wrapperINS8_3SumESD_lEEEE10hipError_tPvRmT1_T2_T3_mT4_P12ihipStream_tbEUlT_E1_NS1_11comp_targetILNS1_3genE9ELNS1_11target_archE1100ELNS1_3gpuE3ELNS1_3repE0EEENS1_30default_config_static_selectorELNS0_4arch9wavefront6targetE1EEEvSM_.has_recursion, 0
	.set _ZN7rocprim17ROCPRIM_400000_NS6detail17trampoline_kernelINS0_14default_configENS1_22reduce_config_selectorIbEEZNS1_11reduce_implILb1ES3_N6hipcub16HIPCUB_304000_NS22TransformInputIteratorIb7NonZeroIsEPslEEPllNS8_6detail34convert_binary_result_type_wrapperINS8_3SumESD_lEEEE10hipError_tPvRmT1_T2_T3_mT4_P12ihipStream_tbEUlT_E1_NS1_11comp_targetILNS1_3genE9ELNS1_11target_archE1100ELNS1_3gpuE3ELNS1_3repE0EEENS1_30default_config_static_selectorELNS0_4arch9wavefront6targetE1EEEvSM_.has_indirect_call, 0
	.section	.AMDGPU.csdata,"",@progbits
; Kernel info:
; codeLenInByte = 0
; TotalNumSgprs: 6
; NumVgprs: 0
; NumAgprs: 0
; TotalNumVgprs: 0
; ScratchSize: 0
; MemoryBound: 0
; FloatMode: 240
; IeeeMode: 1
; LDSByteSize: 0 bytes/workgroup (compile time only)
; SGPRBlocks: 0
; VGPRBlocks: 0
; NumSGPRsForWavesPerEU: 6
; NumVGPRsForWavesPerEU: 1
; AccumOffset: 4
; Occupancy: 8
; WaveLimiterHint : 0
; COMPUTE_PGM_RSRC2:SCRATCH_EN: 0
; COMPUTE_PGM_RSRC2:USER_SGPR: 2
; COMPUTE_PGM_RSRC2:TRAP_HANDLER: 0
; COMPUTE_PGM_RSRC2:TGID_X_EN: 1
; COMPUTE_PGM_RSRC2:TGID_Y_EN: 0
; COMPUTE_PGM_RSRC2:TGID_Z_EN: 0
; COMPUTE_PGM_RSRC2:TIDIG_COMP_CNT: 0
; COMPUTE_PGM_RSRC3_GFX90A:ACCUM_OFFSET: 0
; COMPUTE_PGM_RSRC3_GFX90A:TG_SPLIT: 0
	.section	.text._ZN7rocprim17ROCPRIM_400000_NS6detail17trampoline_kernelINS0_14default_configENS1_22reduce_config_selectorIbEEZNS1_11reduce_implILb1ES3_N6hipcub16HIPCUB_304000_NS22TransformInputIteratorIb7NonZeroIsEPslEEPllNS8_6detail34convert_binary_result_type_wrapperINS8_3SumESD_lEEEE10hipError_tPvRmT1_T2_T3_mT4_P12ihipStream_tbEUlT_E1_NS1_11comp_targetILNS1_3genE8ELNS1_11target_archE1030ELNS1_3gpuE2ELNS1_3repE0EEENS1_30default_config_static_selectorELNS0_4arch9wavefront6targetE1EEEvSM_,"axG",@progbits,_ZN7rocprim17ROCPRIM_400000_NS6detail17trampoline_kernelINS0_14default_configENS1_22reduce_config_selectorIbEEZNS1_11reduce_implILb1ES3_N6hipcub16HIPCUB_304000_NS22TransformInputIteratorIb7NonZeroIsEPslEEPllNS8_6detail34convert_binary_result_type_wrapperINS8_3SumESD_lEEEE10hipError_tPvRmT1_T2_T3_mT4_P12ihipStream_tbEUlT_E1_NS1_11comp_targetILNS1_3genE8ELNS1_11target_archE1030ELNS1_3gpuE2ELNS1_3repE0EEENS1_30default_config_static_selectorELNS0_4arch9wavefront6targetE1EEEvSM_,comdat
	.protected	_ZN7rocprim17ROCPRIM_400000_NS6detail17trampoline_kernelINS0_14default_configENS1_22reduce_config_selectorIbEEZNS1_11reduce_implILb1ES3_N6hipcub16HIPCUB_304000_NS22TransformInputIteratorIb7NonZeroIsEPslEEPllNS8_6detail34convert_binary_result_type_wrapperINS8_3SumESD_lEEEE10hipError_tPvRmT1_T2_T3_mT4_P12ihipStream_tbEUlT_E1_NS1_11comp_targetILNS1_3genE8ELNS1_11target_archE1030ELNS1_3gpuE2ELNS1_3repE0EEENS1_30default_config_static_selectorELNS0_4arch9wavefront6targetE1EEEvSM_ ; -- Begin function _ZN7rocprim17ROCPRIM_400000_NS6detail17trampoline_kernelINS0_14default_configENS1_22reduce_config_selectorIbEEZNS1_11reduce_implILb1ES3_N6hipcub16HIPCUB_304000_NS22TransformInputIteratorIb7NonZeroIsEPslEEPllNS8_6detail34convert_binary_result_type_wrapperINS8_3SumESD_lEEEE10hipError_tPvRmT1_T2_T3_mT4_P12ihipStream_tbEUlT_E1_NS1_11comp_targetILNS1_3genE8ELNS1_11target_archE1030ELNS1_3gpuE2ELNS1_3repE0EEENS1_30default_config_static_selectorELNS0_4arch9wavefront6targetE1EEEvSM_
	.globl	_ZN7rocprim17ROCPRIM_400000_NS6detail17trampoline_kernelINS0_14default_configENS1_22reduce_config_selectorIbEEZNS1_11reduce_implILb1ES3_N6hipcub16HIPCUB_304000_NS22TransformInputIteratorIb7NonZeroIsEPslEEPllNS8_6detail34convert_binary_result_type_wrapperINS8_3SumESD_lEEEE10hipError_tPvRmT1_T2_T3_mT4_P12ihipStream_tbEUlT_E1_NS1_11comp_targetILNS1_3genE8ELNS1_11target_archE1030ELNS1_3gpuE2ELNS1_3repE0EEENS1_30default_config_static_selectorELNS0_4arch9wavefront6targetE1EEEvSM_
	.p2align	8
	.type	_ZN7rocprim17ROCPRIM_400000_NS6detail17trampoline_kernelINS0_14default_configENS1_22reduce_config_selectorIbEEZNS1_11reduce_implILb1ES3_N6hipcub16HIPCUB_304000_NS22TransformInputIteratorIb7NonZeroIsEPslEEPllNS8_6detail34convert_binary_result_type_wrapperINS8_3SumESD_lEEEE10hipError_tPvRmT1_T2_T3_mT4_P12ihipStream_tbEUlT_E1_NS1_11comp_targetILNS1_3genE8ELNS1_11target_archE1030ELNS1_3gpuE2ELNS1_3repE0EEENS1_30default_config_static_selectorELNS0_4arch9wavefront6targetE1EEEvSM_,@function
_ZN7rocprim17ROCPRIM_400000_NS6detail17trampoline_kernelINS0_14default_configENS1_22reduce_config_selectorIbEEZNS1_11reduce_implILb1ES3_N6hipcub16HIPCUB_304000_NS22TransformInputIteratorIb7NonZeroIsEPslEEPllNS8_6detail34convert_binary_result_type_wrapperINS8_3SumESD_lEEEE10hipError_tPvRmT1_T2_T3_mT4_P12ihipStream_tbEUlT_E1_NS1_11comp_targetILNS1_3genE8ELNS1_11target_archE1030ELNS1_3gpuE2ELNS1_3repE0EEENS1_30default_config_static_selectorELNS0_4arch9wavefront6targetE1EEEvSM_: ; @_ZN7rocprim17ROCPRIM_400000_NS6detail17trampoline_kernelINS0_14default_configENS1_22reduce_config_selectorIbEEZNS1_11reduce_implILb1ES3_N6hipcub16HIPCUB_304000_NS22TransformInputIteratorIb7NonZeroIsEPslEEPllNS8_6detail34convert_binary_result_type_wrapperINS8_3SumESD_lEEEE10hipError_tPvRmT1_T2_T3_mT4_P12ihipStream_tbEUlT_E1_NS1_11comp_targetILNS1_3genE8ELNS1_11target_archE1030ELNS1_3gpuE2ELNS1_3repE0EEENS1_30default_config_static_selectorELNS0_4arch9wavefront6targetE1EEEvSM_
; %bb.0:
	.section	.rodata,"a",@progbits
	.p2align	6, 0x0
	.amdhsa_kernel _ZN7rocprim17ROCPRIM_400000_NS6detail17trampoline_kernelINS0_14default_configENS1_22reduce_config_selectorIbEEZNS1_11reduce_implILb1ES3_N6hipcub16HIPCUB_304000_NS22TransformInputIteratorIb7NonZeroIsEPslEEPllNS8_6detail34convert_binary_result_type_wrapperINS8_3SumESD_lEEEE10hipError_tPvRmT1_T2_T3_mT4_P12ihipStream_tbEUlT_E1_NS1_11comp_targetILNS1_3genE8ELNS1_11target_archE1030ELNS1_3gpuE2ELNS1_3repE0EEENS1_30default_config_static_selectorELNS0_4arch9wavefront6targetE1EEEvSM_
		.amdhsa_group_segment_fixed_size 0
		.amdhsa_private_segment_fixed_size 0
		.amdhsa_kernarg_size 56
		.amdhsa_user_sgpr_count 2
		.amdhsa_user_sgpr_dispatch_ptr 0
		.amdhsa_user_sgpr_queue_ptr 0
		.amdhsa_user_sgpr_kernarg_segment_ptr 1
		.amdhsa_user_sgpr_dispatch_id 0
		.amdhsa_user_sgpr_kernarg_preload_length 0
		.amdhsa_user_sgpr_kernarg_preload_offset 0
		.amdhsa_user_sgpr_private_segment_size 0
		.amdhsa_uses_dynamic_stack 0
		.amdhsa_enable_private_segment 0
		.amdhsa_system_sgpr_workgroup_id_x 1
		.amdhsa_system_sgpr_workgroup_id_y 0
		.amdhsa_system_sgpr_workgroup_id_z 0
		.amdhsa_system_sgpr_workgroup_info 0
		.amdhsa_system_vgpr_workitem_id 0
		.amdhsa_next_free_vgpr 1
		.amdhsa_next_free_sgpr 0
		.amdhsa_accum_offset 4
		.amdhsa_reserve_vcc 0
		.amdhsa_float_round_mode_32 0
		.amdhsa_float_round_mode_16_64 0
		.amdhsa_float_denorm_mode_32 3
		.amdhsa_float_denorm_mode_16_64 3
		.amdhsa_dx10_clamp 1
		.amdhsa_ieee_mode 1
		.amdhsa_fp16_overflow 0
		.amdhsa_tg_split 0
		.amdhsa_exception_fp_ieee_invalid_op 0
		.amdhsa_exception_fp_denorm_src 0
		.amdhsa_exception_fp_ieee_div_zero 0
		.amdhsa_exception_fp_ieee_overflow 0
		.amdhsa_exception_fp_ieee_underflow 0
		.amdhsa_exception_fp_ieee_inexact 0
		.amdhsa_exception_int_div_zero 0
	.end_amdhsa_kernel
	.section	.text._ZN7rocprim17ROCPRIM_400000_NS6detail17trampoline_kernelINS0_14default_configENS1_22reduce_config_selectorIbEEZNS1_11reduce_implILb1ES3_N6hipcub16HIPCUB_304000_NS22TransformInputIteratorIb7NonZeroIsEPslEEPllNS8_6detail34convert_binary_result_type_wrapperINS8_3SumESD_lEEEE10hipError_tPvRmT1_T2_T3_mT4_P12ihipStream_tbEUlT_E1_NS1_11comp_targetILNS1_3genE8ELNS1_11target_archE1030ELNS1_3gpuE2ELNS1_3repE0EEENS1_30default_config_static_selectorELNS0_4arch9wavefront6targetE1EEEvSM_,"axG",@progbits,_ZN7rocprim17ROCPRIM_400000_NS6detail17trampoline_kernelINS0_14default_configENS1_22reduce_config_selectorIbEEZNS1_11reduce_implILb1ES3_N6hipcub16HIPCUB_304000_NS22TransformInputIteratorIb7NonZeroIsEPslEEPllNS8_6detail34convert_binary_result_type_wrapperINS8_3SumESD_lEEEE10hipError_tPvRmT1_T2_T3_mT4_P12ihipStream_tbEUlT_E1_NS1_11comp_targetILNS1_3genE8ELNS1_11target_archE1030ELNS1_3gpuE2ELNS1_3repE0EEENS1_30default_config_static_selectorELNS0_4arch9wavefront6targetE1EEEvSM_,comdat
.Lfunc_end116:
	.size	_ZN7rocprim17ROCPRIM_400000_NS6detail17trampoline_kernelINS0_14default_configENS1_22reduce_config_selectorIbEEZNS1_11reduce_implILb1ES3_N6hipcub16HIPCUB_304000_NS22TransformInputIteratorIb7NonZeroIsEPslEEPllNS8_6detail34convert_binary_result_type_wrapperINS8_3SumESD_lEEEE10hipError_tPvRmT1_T2_T3_mT4_P12ihipStream_tbEUlT_E1_NS1_11comp_targetILNS1_3genE8ELNS1_11target_archE1030ELNS1_3gpuE2ELNS1_3repE0EEENS1_30default_config_static_selectorELNS0_4arch9wavefront6targetE1EEEvSM_, .Lfunc_end116-_ZN7rocprim17ROCPRIM_400000_NS6detail17trampoline_kernelINS0_14default_configENS1_22reduce_config_selectorIbEEZNS1_11reduce_implILb1ES3_N6hipcub16HIPCUB_304000_NS22TransformInputIteratorIb7NonZeroIsEPslEEPllNS8_6detail34convert_binary_result_type_wrapperINS8_3SumESD_lEEEE10hipError_tPvRmT1_T2_T3_mT4_P12ihipStream_tbEUlT_E1_NS1_11comp_targetILNS1_3genE8ELNS1_11target_archE1030ELNS1_3gpuE2ELNS1_3repE0EEENS1_30default_config_static_selectorELNS0_4arch9wavefront6targetE1EEEvSM_
                                        ; -- End function
	.set _ZN7rocprim17ROCPRIM_400000_NS6detail17trampoline_kernelINS0_14default_configENS1_22reduce_config_selectorIbEEZNS1_11reduce_implILb1ES3_N6hipcub16HIPCUB_304000_NS22TransformInputIteratorIb7NonZeroIsEPslEEPllNS8_6detail34convert_binary_result_type_wrapperINS8_3SumESD_lEEEE10hipError_tPvRmT1_T2_T3_mT4_P12ihipStream_tbEUlT_E1_NS1_11comp_targetILNS1_3genE8ELNS1_11target_archE1030ELNS1_3gpuE2ELNS1_3repE0EEENS1_30default_config_static_selectorELNS0_4arch9wavefront6targetE1EEEvSM_.num_vgpr, 0
	.set _ZN7rocprim17ROCPRIM_400000_NS6detail17trampoline_kernelINS0_14default_configENS1_22reduce_config_selectorIbEEZNS1_11reduce_implILb1ES3_N6hipcub16HIPCUB_304000_NS22TransformInputIteratorIb7NonZeroIsEPslEEPllNS8_6detail34convert_binary_result_type_wrapperINS8_3SumESD_lEEEE10hipError_tPvRmT1_T2_T3_mT4_P12ihipStream_tbEUlT_E1_NS1_11comp_targetILNS1_3genE8ELNS1_11target_archE1030ELNS1_3gpuE2ELNS1_3repE0EEENS1_30default_config_static_selectorELNS0_4arch9wavefront6targetE1EEEvSM_.num_agpr, 0
	.set _ZN7rocprim17ROCPRIM_400000_NS6detail17trampoline_kernelINS0_14default_configENS1_22reduce_config_selectorIbEEZNS1_11reduce_implILb1ES3_N6hipcub16HIPCUB_304000_NS22TransformInputIteratorIb7NonZeroIsEPslEEPllNS8_6detail34convert_binary_result_type_wrapperINS8_3SumESD_lEEEE10hipError_tPvRmT1_T2_T3_mT4_P12ihipStream_tbEUlT_E1_NS1_11comp_targetILNS1_3genE8ELNS1_11target_archE1030ELNS1_3gpuE2ELNS1_3repE0EEENS1_30default_config_static_selectorELNS0_4arch9wavefront6targetE1EEEvSM_.numbered_sgpr, 0
	.set _ZN7rocprim17ROCPRIM_400000_NS6detail17trampoline_kernelINS0_14default_configENS1_22reduce_config_selectorIbEEZNS1_11reduce_implILb1ES3_N6hipcub16HIPCUB_304000_NS22TransformInputIteratorIb7NonZeroIsEPslEEPllNS8_6detail34convert_binary_result_type_wrapperINS8_3SumESD_lEEEE10hipError_tPvRmT1_T2_T3_mT4_P12ihipStream_tbEUlT_E1_NS1_11comp_targetILNS1_3genE8ELNS1_11target_archE1030ELNS1_3gpuE2ELNS1_3repE0EEENS1_30default_config_static_selectorELNS0_4arch9wavefront6targetE1EEEvSM_.num_named_barrier, 0
	.set _ZN7rocprim17ROCPRIM_400000_NS6detail17trampoline_kernelINS0_14default_configENS1_22reduce_config_selectorIbEEZNS1_11reduce_implILb1ES3_N6hipcub16HIPCUB_304000_NS22TransformInputIteratorIb7NonZeroIsEPslEEPllNS8_6detail34convert_binary_result_type_wrapperINS8_3SumESD_lEEEE10hipError_tPvRmT1_T2_T3_mT4_P12ihipStream_tbEUlT_E1_NS1_11comp_targetILNS1_3genE8ELNS1_11target_archE1030ELNS1_3gpuE2ELNS1_3repE0EEENS1_30default_config_static_selectorELNS0_4arch9wavefront6targetE1EEEvSM_.private_seg_size, 0
	.set _ZN7rocprim17ROCPRIM_400000_NS6detail17trampoline_kernelINS0_14default_configENS1_22reduce_config_selectorIbEEZNS1_11reduce_implILb1ES3_N6hipcub16HIPCUB_304000_NS22TransformInputIteratorIb7NonZeroIsEPslEEPllNS8_6detail34convert_binary_result_type_wrapperINS8_3SumESD_lEEEE10hipError_tPvRmT1_T2_T3_mT4_P12ihipStream_tbEUlT_E1_NS1_11comp_targetILNS1_3genE8ELNS1_11target_archE1030ELNS1_3gpuE2ELNS1_3repE0EEENS1_30default_config_static_selectorELNS0_4arch9wavefront6targetE1EEEvSM_.uses_vcc, 0
	.set _ZN7rocprim17ROCPRIM_400000_NS6detail17trampoline_kernelINS0_14default_configENS1_22reduce_config_selectorIbEEZNS1_11reduce_implILb1ES3_N6hipcub16HIPCUB_304000_NS22TransformInputIteratorIb7NonZeroIsEPslEEPllNS8_6detail34convert_binary_result_type_wrapperINS8_3SumESD_lEEEE10hipError_tPvRmT1_T2_T3_mT4_P12ihipStream_tbEUlT_E1_NS1_11comp_targetILNS1_3genE8ELNS1_11target_archE1030ELNS1_3gpuE2ELNS1_3repE0EEENS1_30default_config_static_selectorELNS0_4arch9wavefront6targetE1EEEvSM_.uses_flat_scratch, 0
	.set _ZN7rocprim17ROCPRIM_400000_NS6detail17trampoline_kernelINS0_14default_configENS1_22reduce_config_selectorIbEEZNS1_11reduce_implILb1ES3_N6hipcub16HIPCUB_304000_NS22TransformInputIteratorIb7NonZeroIsEPslEEPllNS8_6detail34convert_binary_result_type_wrapperINS8_3SumESD_lEEEE10hipError_tPvRmT1_T2_T3_mT4_P12ihipStream_tbEUlT_E1_NS1_11comp_targetILNS1_3genE8ELNS1_11target_archE1030ELNS1_3gpuE2ELNS1_3repE0EEENS1_30default_config_static_selectorELNS0_4arch9wavefront6targetE1EEEvSM_.has_dyn_sized_stack, 0
	.set _ZN7rocprim17ROCPRIM_400000_NS6detail17trampoline_kernelINS0_14default_configENS1_22reduce_config_selectorIbEEZNS1_11reduce_implILb1ES3_N6hipcub16HIPCUB_304000_NS22TransformInputIteratorIb7NonZeroIsEPslEEPllNS8_6detail34convert_binary_result_type_wrapperINS8_3SumESD_lEEEE10hipError_tPvRmT1_T2_T3_mT4_P12ihipStream_tbEUlT_E1_NS1_11comp_targetILNS1_3genE8ELNS1_11target_archE1030ELNS1_3gpuE2ELNS1_3repE0EEENS1_30default_config_static_selectorELNS0_4arch9wavefront6targetE1EEEvSM_.has_recursion, 0
	.set _ZN7rocprim17ROCPRIM_400000_NS6detail17trampoline_kernelINS0_14default_configENS1_22reduce_config_selectorIbEEZNS1_11reduce_implILb1ES3_N6hipcub16HIPCUB_304000_NS22TransformInputIteratorIb7NonZeroIsEPslEEPllNS8_6detail34convert_binary_result_type_wrapperINS8_3SumESD_lEEEE10hipError_tPvRmT1_T2_T3_mT4_P12ihipStream_tbEUlT_E1_NS1_11comp_targetILNS1_3genE8ELNS1_11target_archE1030ELNS1_3gpuE2ELNS1_3repE0EEENS1_30default_config_static_selectorELNS0_4arch9wavefront6targetE1EEEvSM_.has_indirect_call, 0
	.section	.AMDGPU.csdata,"",@progbits
; Kernel info:
; codeLenInByte = 0
; TotalNumSgprs: 6
; NumVgprs: 0
; NumAgprs: 0
; TotalNumVgprs: 0
; ScratchSize: 0
; MemoryBound: 0
; FloatMode: 240
; IeeeMode: 1
; LDSByteSize: 0 bytes/workgroup (compile time only)
; SGPRBlocks: 0
; VGPRBlocks: 0
; NumSGPRsForWavesPerEU: 6
; NumVGPRsForWavesPerEU: 1
; AccumOffset: 4
; Occupancy: 8
; WaveLimiterHint : 0
; COMPUTE_PGM_RSRC2:SCRATCH_EN: 0
; COMPUTE_PGM_RSRC2:USER_SGPR: 2
; COMPUTE_PGM_RSRC2:TRAP_HANDLER: 0
; COMPUTE_PGM_RSRC2:TGID_X_EN: 1
; COMPUTE_PGM_RSRC2:TGID_Y_EN: 0
; COMPUTE_PGM_RSRC2:TGID_Z_EN: 0
; COMPUTE_PGM_RSRC2:TIDIG_COMP_CNT: 0
; COMPUTE_PGM_RSRC3_GFX90A:ACCUM_OFFSET: 0
; COMPUTE_PGM_RSRC3_GFX90A:TG_SPLIT: 0
	.section	.text._ZN7rocprim17ROCPRIM_400000_NS6detail17trampoline_kernelINS0_14default_configENS1_25partition_config_selectorILNS1_17partition_subalgoE5ElNS0_10empty_typeEbEEZZNS1_14partition_implILS5_5ELb0ES3_mN6hipcub16HIPCUB_304000_NS21CountingInputIteratorIllEEPS6_NSA_22TransformInputIteratorIb7NonZeroIsEPslEENS0_5tupleIJPlS6_EEENSJ_IJSD_SD_EEES6_SK_JS6_EEE10hipError_tPvRmT3_T4_T5_T6_T7_T9_mT8_P12ihipStream_tbDpT10_ENKUlT_T0_E_clISt17integral_constantIbLb0EES16_EEDaS11_S12_EUlS11_E_NS1_11comp_targetILNS1_3genE0ELNS1_11target_archE4294967295ELNS1_3gpuE0ELNS1_3repE0EEENS1_30default_config_static_selectorELNS0_4arch9wavefront6targetE1EEEvT1_,"axG",@progbits,_ZN7rocprim17ROCPRIM_400000_NS6detail17trampoline_kernelINS0_14default_configENS1_25partition_config_selectorILNS1_17partition_subalgoE5ElNS0_10empty_typeEbEEZZNS1_14partition_implILS5_5ELb0ES3_mN6hipcub16HIPCUB_304000_NS21CountingInputIteratorIllEEPS6_NSA_22TransformInputIteratorIb7NonZeroIsEPslEENS0_5tupleIJPlS6_EEENSJ_IJSD_SD_EEES6_SK_JS6_EEE10hipError_tPvRmT3_T4_T5_T6_T7_T9_mT8_P12ihipStream_tbDpT10_ENKUlT_T0_E_clISt17integral_constantIbLb0EES16_EEDaS11_S12_EUlS11_E_NS1_11comp_targetILNS1_3genE0ELNS1_11target_archE4294967295ELNS1_3gpuE0ELNS1_3repE0EEENS1_30default_config_static_selectorELNS0_4arch9wavefront6targetE1EEEvT1_,comdat
	.protected	_ZN7rocprim17ROCPRIM_400000_NS6detail17trampoline_kernelINS0_14default_configENS1_25partition_config_selectorILNS1_17partition_subalgoE5ElNS0_10empty_typeEbEEZZNS1_14partition_implILS5_5ELb0ES3_mN6hipcub16HIPCUB_304000_NS21CountingInputIteratorIllEEPS6_NSA_22TransformInputIteratorIb7NonZeroIsEPslEENS0_5tupleIJPlS6_EEENSJ_IJSD_SD_EEES6_SK_JS6_EEE10hipError_tPvRmT3_T4_T5_T6_T7_T9_mT8_P12ihipStream_tbDpT10_ENKUlT_T0_E_clISt17integral_constantIbLb0EES16_EEDaS11_S12_EUlS11_E_NS1_11comp_targetILNS1_3genE0ELNS1_11target_archE4294967295ELNS1_3gpuE0ELNS1_3repE0EEENS1_30default_config_static_selectorELNS0_4arch9wavefront6targetE1EEEvT1_ ; -- Begin function _ZN7rocprim17ROCPRIM_400000_NS6detail17trampoline_kernelINS0_14default_configENS1_25partition_config_selectorILNS1_17partition_subalgoE5ElNS0_10empty_typeEbEEZZNS1_14partition_implILS5_5ELb0ES3_mN6hipcub16HIPCUB_304000_NS21CountingInputIteratorIllEEPS6_NSA_22TransformInputIteratorIb7NonZeroIsEPslEENS0_5tupleIJPlS6_EEENSJ_IJSD_SD_EEES6_SK_JS6_EEE10hipError_tPvRmT3_T4_T5_T6_T7_T9_mT8_P12ihipStream_tbDpT10_ENKUlT_T0_E_clISt17integral_constantIbLb0EES16_EEDaS11_S12_EUlS11_E_NS1_11comp_targetILNS1_3genE0ELNS1_11target_archE4294967295ELNS1_3gpuE0ELNS1_3repE0EEENS1_30default_config_static_selectorELNS0_4arch9wavefront6targetE1EEEvT1_
	.globl	_ZN7rocprim17ROCPRIM_400000_NS6detail17trampoline_kernelINS0_14default_configENS1_25partition_config_selectorILNS1_17partition_subalgoE5ElNS0_10empty_typeEbEEZZNS1_14partition_implILS5_5ELb0ES3_mN6hipcub16HIPCUB_304000_NS21CountingInputIteratorIllEEPS6_NSA_22TransformInputIteratorIb7NonZeroIsEPslEENS0_5tupleIJPlS6_EEENSJ_IJSD_SD_EEES6_SK_JS6_EEE10hipError_tPvRmT3_T4_T5_T6_T7_T9_mT8_P12ihipStream_tbDpT10_ENKUlT_T0_E_clISt17integral_constantIbLb0EES16_EEDaS11_S12_EUlS11_E_NS1_11comp_targetILNS1_3genE0ELNS1_11target_archE4294967295ELNS1_3gpuE0ELNS1_3repE0EEENS1_30default_config_static_selectorELNS0_4arch9wavefront6targetE1EEEvT1_
	.p2align	8
	.type	_ZN7rocprim17ROCPRIM_400000_NS6detail17trampoline_kernelINS0_14default_configENS1_25partition_config_selectorILNS1_17partition_subalgoE5ElNS0_10empty_typeEbEEZZNS1_14partition_implILS5_5ELb0ES3_mN6hipcub16HIPCUB_304000_NS21CountingInputIteratorIllEEPS6_NSA_22TransformInputIteratorIb7NonZeroIsEPslEENS0_5tupleIJPlS6_EEENSJ_IJSD_SD_EEES6_SK_JS6_EEE10hipError_tPvRmT3_T4_T5_T6_T7_T9_mT8_P12ihipStream_tbDpT10_ENKUlT_T0_E_clISt17integral_constantIbLb0EES16_EEDaS11_S12_EUlS11_E_NS1_11comp_targetILNS1_3genE0ELNS1_11target_archE4294967295ELNS1_3gpuE0ELNS1_3repE0EEENS1_30default_config_static_selectorELNS0_4arch9wavefront6targetE1EEEvT1_,@function
_ZN7rocprim17ROCPRIM_400000_NS6detail17trampoline_kernelINS0_14default_configENS1_25partition_config_selectorILNS1_17partition_subalgoE5ElNS0_10empty_typeEbEEZZNS1_14partition_implILS5_5ELb0ES3_mN6hipcub16HIPCUB_304000_NS21CountingInputIteratorIllEEPS6_NSA_22TransformInputIteratorIb7NonZeroIsEPslEENS0_5tupleIJPlS6_EEENSJ_IJSD_SD_EEES6_SK_JS6_EEE10hipError_tPvRmT3_T4_T5_T6_T7_T9_mT8_P12ihipStream_tbDpT10_ENKUlT_T0_E_clISt17integral_constantIbLb0EES16_EEDaS11_S12_EUlS11_E_NS1_11comp_targetILNS1_3genE0ELNS1_11target_archE4294967295ELNS1_3gpuE0ELNS1_3repE0EEENS1_30default_config_static_selectorELNS0_4arch9wavefront6targetE1EEEvT1_: ; @_ZN7rocprim17ROCPRIM_400000_NS6detail17trampoline_kernelINS0_14default_configENS1_25partition_config_selectorILNS1_17partition_subalgoE5ElNS0_10empty_typeEbEEZZNS1_14partition_implILS5_5ELb0ES3_mN6hipcub16HIPCUB_304000_NS21CountingInputIteratorIllEEPS6_NSA_22TransformInputIteratorIb7NonZeroIsEPslEENS0_5tupleIJPlS6_EEENSJ_IJSD_SD_EEES6_SK_JS6_EEE10hipError_tPvRmT3_T4_T5_T6_T7_T9_mT8_P12ihipStream_tbDpT10_ENKUlT_T0_E_clISt17integral_constantIbLb0EES16_EEDaS11_S12_EUlS11_E_NS1_11comp_targetILNS1_3genE0ELNS1_11target_archE4294967295ELNS1_3gpuE0ELNS1_3repE0EEENS1_30default_config_static_selectorELNS0_4arch9wavefront6targetE1EEEvT1_
; %bb.0:
	s_load_dwordx4 s[4:7], s[0:1], 0x8
	s_load_dwordx2 s[20:21], s[0:1], 0x58
	s_load_dwordx4 s[16:19], s[0:1], 0x48
	s_load_dwordx2 s[10:11], s[0:1], 0x20
	s_load_dword s3, s[0:1], 0x70
	s_waitcnt lgkmcnt(0)
	s_add_u32 s12, s6, s4
	s_addc_u32 s13, s7, s5
	s_load_dwordx2 s[14:15], s[18:19], 0x0
	s_mul_i32 s8, s2, 0x380
	s_mul_i32 s4, s3, 0x380
	s_add_i32 s18, s3, -1
	s_add_i32 s3, s4, s6
	s_sub_i32 s3, s20, s3
	s_add_u32 s4, s6, s4
	s_addc_u32 s5, s7, 0
	v_mov_b64_e32 v[2:3], s[4:5]
	s_cmp_eq_u32 s2, s18
	v_cmp_le_u64_e32 vcc, s[20:21], v[2:3]
	s_cselect_b64 s[18:19], -1, 0
	s_and_b64 s[20:21], s[18:19], vcc
	s_xor_b64 s[20:21], s[20:21], -1
	s_mov_b32 s9, 0
	s_mov_b64 s[4:5], -1
	s_and_b64 vcc, exec, s[20:21]
	s_cbranch_vccz .LBB117_2
; %bb.1:
	s_add_u32 s4, s12, s8
	v_mov_b32_e32 v1, 0
	s_addc_u32 s5, s13, 0
	v_lshl_add_u64 v[2:3], s[4:5], 0, v[0:1]
	s_mov_b64 s[4:5], 0x80
	v_lshl_add_u64 v[4:5], v[2:3], 0, s[4:5]
	s_mov_b64 s[4:5], 0x100
	;; [unrolled: 2-line block ×6, first 2 shown]
	v_lshlrev_b32_e32 v1, 3, v0
	v_lshl_add_u64 v[14:15], v[2:3], 0, s[4:5]
	ds_write2st64_b64 v1, v[2:3], v[4:5] offset1:2
	ds_write2st64_b64 v1, v[6:7], v[8:9] offset0:4 offset1:6
	ds_write2st64_b64 v1, v[10:11], v[12:13] offset0:8 offset1:10
	ds_write_b64 v1, v[14:15] offset:6144
	s_waitcnt lgkmcnt(0)
	s_barrier
	s_mov_b64 s[4:5], 0
.LBB117_2:
	s_addk_i32 s3, 0x380
	s_andn2_b64 vcc, exec, s[4:5]
	v_cmp_gt_u32_e64 s[4:5], s3, v0
	s_cbranch_vccnz .LBB117_4
; %bb.3:
	s_add_u32 s12, s12, s8
	v_mov_b32_e32 v1, 0
	s_addc_u32 s13, s13, 0
	v_or_b32_e32 v4, 0x80, v0
	v_mov_b32_e32 v5, v1
	v_lshl_add_u64 v[6:7], s[12:13], 0, v[4:5]
	v_cmp_gt_u32_e32 vcc, s3, v4
	v_lshl_add_u64 v[2:3], s[12:13], 0, v[0:1]
	v_cndmask_b32_e64 v3, 0, v3, s[4:5]
	v_cndmask_b32_e32 v5, 0, v7, vcc
	v_cndmask_b32_e32 v4, 0, v6, vcc
	v_or_b32_e32 v6, 0x100, v0
	v_mov_b32_e32 v7, v1
	v_lshl_add_u64 v[8:9], s[12:13], 0, v[6:7]
	v_cmp_gt_u32_e32 vcc, s3, v6
	v_cndmask_b32_e64 v2, 0, v2, s[4:5]
	s_nop 0
	v_cndmask_b32_e32 v7, 0, v9, vcc
	v_cndmask_b32_e32 v6, 0, v8, vcc
	v_or_b32_e32 v8, 0x180, v0
	v_mov_b32_e32 v9, v1
	v_lshl_add_u64 v[10:11], s[12:13], 0, v[8:9]
	v_cmp_gt_u32_e32 vcc, s3, v8
	s_nop 1
	v_cndmask_b32_e32 v9, 0, v11, vcc
	v_cndmask_b32_e32 v8, 0, v10, vcc
	v_or_b32_e32 v10, 0x200, v0
	v_mov_b32_e32 v11, v1
	v_lshl_add_u64 v[12:13], s[12:13], 0, v[10:11]
	v_cmp_gt_u32_e32 vcc, s3, v10
	;; [unrolled: 7-line block ×4, first 2 shown]
	v_lshlrev_b32_e32 v1, 3, v0
	s_nop 0
	v_cndmask_b32_e32 v15, 0, v17, vcc
	v_cndmask_b32_e32 v14, 0, v16, vcc
	ds_write2st64_b64 v1, v[2:3], v[4:5] offset1:2
	ds_write2st64_b64 v1, v[6:7], v[8:9] offset0:4 offset1:6
	ds_write2st64_b64 v1, v[10:11], v[12:13] offset0:8 offset1:10
	ds_write_b64 v1, v[14:15] offset:6144
	s_waitcnt lgkmcnt(0)
	s_barrier
.LBB117_4:
	v_mul_u32_u24_e32 v1, 7, v0
	v_lshlrev_b32_e32 v3, 3, v1
	s_waitcnt lgkmcnt(0)
	ds_read2_b64 v[66:69], v3 offset1:1
	ds_read2_b64 v[62:65], v3 offset0:2 offset1:3
	ds_read2_b64 v[58:61], v3 offset0:4 offset1:5
	ds_read_b64 v[10:11], v3 offset:48
	s_lshl_b64 s[4:5], s[6:7], 1
	s_add_u32 s6, s10, s4
	s_addc_u32 s7, s11, s5
	s_lshl_b64 s[4:5], s[8:9], 1
	s_add_u32 s4, s6, s4
	s_addc_u32 s5, s7, s5
	s_mov_b64 s[6:7], -1
	s_and_b64 vcc, exec, s[20:21]
	v_lshlrev_b32_e32 v4, 1, v0
	s_waitcnt lgkmcnt(0)
	s_barrier
	s_cbranch_vccz .LBB117_6
; %bb.5:
	global_load_ushort v1, v4, s[4:5]
	global_load_ushort v2, v4, s[4:5] offset:256
	global_load_ushort v5, v4, s[4:5] offset:512
	;; [unrolled: 1-line block ×6, first 2 shown]
	s_mov_b64 s[6:7], 0
	s_waitcnt vmcnt(6)
	v_cmp_ne_u16_e32 vcc, 0, v1
	s_nop 1
	v_cndmask_b32_e64 v1, 0, 1, vcc
	s_waitcnt vmcnt(5)
	v_cmp_ne_u16_e32 vcc, 0, v2
	s_nop 1
	v_cndmask_b32_e64 v2, 0, 1, vcc
	;; [unrolled: 4-line block ×7, first 2 shown]
	ds_write_b8 v0, v1
	ds_write_b8 v0, v2 offset:128
	ds_write_b8 v0, v5 offset:256
	;; [unrolled: 1-line block ×6, first 2 shown]
	s_waitcnt lgkmcnt(0)
	s_barrier
.LBB117_6:
	s_load_dwordx2 s[22:23], s[0:1], 0x68
	s_andn2_b64 vcc, exec, s[6:7]
	s_cbranch_vccnz .LBB117_22
; %bb.7:
	v_mov_b32_e32 v2, 0
	v_cmp_gt_u32_e32 vcc, s3, v0
	s_mov_b32 s8, 0
	v_mov_b32_e32 v1, v2
	v_mov_b32_e32 v5, v2
	s_and_saveexec_b64 s[6:7], vcc
	s_cbranch_execz .LBB117_9
; %bb.8:
	global_load_ushort v1, v4, s[4:5]
	s_waitcnt vmcnt(0)
	v_cmp_ne_u16_e32 vcc, 0, v1
	s_nop 1
	v_cndmask_b32_e64 v2, 0, 1, vcc
	v_mov_b32_e32 v1, s8
	v_mov_b32_e32 v5, v2
.LBB117_9:
	s_or_b64 exec, exec, s[6:7]
	v_or_b32_e32 v6, 0x80, v0
	v_cmp_gt_u32_e32 vcc, s3, v6
	s_and_saveexec_b64 s[6:7], vcc
	s_cbranch_execz .LBB117_11
; %bb.10:
	global_load_ushort v6, v4, s[4:5] offset:256
	v_lshrrev_b32_e32 v7, 24, v2
	v_mov_b32_e32 v9, 8
	v_lshrrev_b32_e32 v8, 16, v2
	s_movk_i32 s8, 0xff
	v_lshlrev_b16_e32 v7, 8, v7
	v_lshrrev_b32_sdwa v9, v9, v1 dst_sel:BYTE_1 dst_unused:UNUSED_PAD src0_sel:DWORD src1_sel:DWORD
	v_bfe_u32 v12, v1, 16, 8
	v_bitop3_b16 v7, v8, v7, s8 bitop3:0xec
	v_bitop3_b16 v1, v1, v9, s8 bitop3:0xec
	v_lshlrev_b32_e32 v7, 16, v7
	v_and_b32_e32 v1, 0xffff, v1
	v_lshl_or_b32 v1, v12, 16, v1
	s_waitcnt vmcnt(0)
	v_cmp_ne_u16_e32 vcc, 0, v6
	s_nop 1
	v_cndmask_b32_e64 v6, 0, 1, vcc
	v_lshlrev_b16_e32 v6, 8, v6
	v_bitop3_b16 v2, v2, v6, s8 bitop3:0xec
	v_or_b32_sdwa v2, v2, v7 dst_sel:DWORD dst_unused:UNUSED_PAD src0_sel:WORD_0 src1_sel:DWORD
.LBB117_11:
	s_or_b64 exec, exec, s[6:7]
	v_or_b32_e32 v6, 0x100, v0
	v_cmp_gt_u32_e32 vcc, s3, v6
	s_and_saveexec_b64 s[6:7], vcc
	s_cbranch_execz .LBB117_13
; %bb.12:
	global_load_ushort v6, v4, s[4:5] offset:512
	v_mov_b32_e32 v8, 8
	v_lshrrev_b32_e32 v7, 24, v2
	s_movk_i32 s9, 0xff
	v_lshrrev_b32_sdwa v8, v8, v1 dst_sel:BYTE_1 dst_unused:UNUSED_PAD src0_sel:DWORD src1_sel:DWORD
	s_mov_b32 s8, 0xc0c0104
	v_bfe_u32 v9, v1, 16, 8
	v_lshlrev_b16_e32 v7, 8, v7
	v_bitop3_b16 v1, v1, v8, s9 bitop3:0xec
	v_perm_b32 v2, v2, v2, s8
	v_and_b32_e32 v1, 0xffff, v1
	v_lshl_or_b32 v1, v9, 16, v1
	s_waitcnt vmcnt(0)
	v_cmp_ne_u16_e32 vcc, 0, v6
	s_nop 1
	v_cndmask_b32_e64 v6, 0, 1, vcc
	v_or_b32_sdwa v6, v6, v7 dst_sel:WORD_1 dst_unused:UNUSED_PAD src0_sel:DWORD src1_sel:DWORD
	s_nop 0
	v_or_b32_e32 v2, v2, v6
.LBB117_13:
	s_or_b64 exec, exec, s[6:7]
	v_or_b32_e32 v6, 0x180, v0
	v_cmp_gt_u32_e32 vcc, s3, v6
	s_and_saveexec_b64 s[6:7], vcc
	s_cbranch_execz .LBB117_15
; %bb.14:
	global_load_ushort v6, v4, s[4:5] offset:768
	v_mov_b32_e32 v8, 8
	v_lshrrev_b32_e32 v7, 16, v2
	s_movk_i32 s8, 0xff
	v_lshrrev_b32_sdwa v8, v8, v1 dst_sel:BYTE_1 dst_unused:UNUSED_PAD src0_sel:DWORD src1_sel:DWORD
	s_mov_b32 s9, 0xc0c0104
	v_bfe_u32 v9, v1, 16, 8
	v_bitop3_b16 v1, v1, v8, s8 bitop3:0xec
	v_perm_b32 v2, v2, v2, s9
	v_and_b32_e32 v1, 0xffff, v1
	v_lshl_or_b32 v1, v9, 16, v1
	s_waitcnt vmcnt(0)
	v_cmp_ne_u16_e32 vcc, 0, v6
	s_nop 1
	v_cndmask_b32_e64 v6, 0, 1, vcc
	v_lshlrev_b16_e32 v6, 8, v6
	v_bitop3_b16 v6, v7, v6, s8 bitop3:0xec
	v_lshlrev_b32_e32 v6, 16, v6
	v_or_b32_e32 v2, v2, v6
.LBB117_15:
	s_or_b64 exec, exec, s[6:7]
	v_or_b32_e32 v6, 0x200, v0
	v_cmp_gt_u32_e32 vcc, s3, v6
	s_and_saveexec_b64 s[6:7], vcc
	s_cbranch_execz .LBB117_17
; %bb.16:
	global_load_ushort v6, v4, s[4:5] offset:1024
	v_mov_b32_e32 v7, 8
	v_bfe_u32 v8, v1, 16, 8
	v_lshrrev_b32_sdwa v1, v7, v1 dst_sel:BYTE_1 dst_unused:UNUSED_PAD src0_sel:DWORD src1_sel:DWORD
	s_mov_b32 s8, 0x3020104
	v_perm_b32 v2, v2, v2, s8
	s_waitcnt vmcnt(0)
	v_cmp_ne_u16_e32 vcc, 0, v6
	s_nop 1
	v_cndmask_b32_e64 v6, 0, 1, vcc
	v_or_b32_e32 v1, v6, v1
	v_and_b32_e32 v1, 0xffff, v1
	v_lshl_or_b32 v1, v8, 16, v1
.LBB117_17:
	s_or_b64 exec, exec, s[6:7]
	v_or_b32_e32 v6, 0x280, v0
	v_cmp_gt_u32_e32 vcc, s3, v6
	s_and_saveexec_b64 s[6:7], vcc
	s_cbranch_execz .LBB117_19
; %bb.18:
	global_load_ushort v6, v4, s[4:5] offset:1280
	s_movk_i32 s8, 0xff
	v_bfe_u32 v7, v1, 16, 8
	s_mov_b32 s9, 0x3020104
	v_perm_b32 v2, v2, v2, s9
	s_waitcnt vmcnt(0)
	v_cmp_ne_u16_e32 vcc, 0, v6
	s_nop 1
	v_cndmask_b32_e64 v6, 0, 1, vcc
	v_lshlrev_b16_e32 v6, 8, v6
	v_bitop3_b16 v1, v1, v6, s8 bitop3:0xec
	v_and_b32_e32 v1, 0xffff, v1
	v_lshl_or_b32 v1, v7, 16, v1
.LBB117_19:
	s_or_b64 exec, exec, s[6:7]
	v_or_b32_e32 v6, 0x300, v0
	v_cmp_gt_u32_e32 vcc, s3, v6
	s_and_saveexec_b64 s[6:7], vcc
	s_cbranch_execz .LBB117_21
; %bb.20:
	global_load_ushort v4, v4, s[4:5] offset:1536
	v_mov_b32_e32 v6, 8
	s_movk_i32 s3, 0xff
	v_lshrrev_b32_sdwa v6, v6, v1 dst_sel:BYTE_1 dst_unused:UNUSED_PAD src0_sel:DWORD src1_sel:DWORD
	s_mov_b32 s4, 0x3020104
	v_bitop3_b16 v1, v1, v6, s3 bitop3:0xec
	v_and_b32_e32 v1, 0xffff, v1
	v_perm_b32 v2, v2, v2, s4
	s_waitcnt vmcnt(0)
	v_cmp_ne_u16_e32 vcc, 0, v4
	s_nop 1
	v_cndmask_b32_e64 v4, 0, 1, vcc
	v_lshl_or_b32 v1, v4, 16, v1
.LBB117_21:
	s_or_b64 exec, exec, s[6:7]
	v_lshrrev_b32_e32 v4, 8, v2
	ds_write_b8 v0, v5
	ds_write_b8 v0, v4 offset:128
	ds_write_b8_d16_hi v0, v2 offset:256
	v_lshrrev_b32_e32 v2, 24, v2
	ds_write_b8 v0, v2 offset:384
	ds_write_b8 v0, v1 offset:512
	v_lshrrev_b32_e32 v2, 8, v1
	ds_write_b8 v0, v2 offset:640
	ds_write_b8_d16_hi v0, v1 offset:768
	s_waitcnt lgkmcnt(0)
	s_barrier
.LBB117_22:
	s_movk_i32 s3, 0xffcf
	v_mad_i32_i24 v1, v0, s3, v3
	s_waitcnt lgkmcnt(0)
	ds_read_u8 v2, v1
	ds_read_u8 v3, v1 offset:1
	ds_read_u8 v4, v1 offset:2
	;; [unrolled: 1-line block ×6, first 2 shown]
	s_waitcnt lgkmcnt(6)
	v_and_b32_e32 v24, 1, v2
	v_mov_b32_e32 v25, 0
	s_waitcnt lgkmcnt(5)
	v_and_b32_e32 v22, 1, v3
	s_waitcnt lgkmcnt(4)
	v_and_b32_e32 v20, 1, v4
	;; [unrolled: 2-line block ×3, first 2 shown]
	v_mov_b32_e32 v19, v25
	v_add3_u32 v2, v22, v24, v20
	v_mov_b32_e32 v3, v25
	s_waitcnt lgkmcnt(2)
	v_and_b32_e32 v16, 1, v6
	v_mov_b32_e32 v17, v25
	v_lshl_add_u64 v[2:3], v[2:3], 0, v[18:19]
	s_waitcnt lgkmcnt(1)
	v_and_b32_e32 v14, 1, v7
	v_mov_b32_e32 v15, v25
	v_lshl_add_u64 v[2:3], v[2:3], 0, v[16:17]
	;; [unrolled: 4-line block ×3, first 2 shown]
	v_lshl_add_u64 v[26:27], v[2:3], 0, v[12:13]
	v_mbcnt_lo_u32_b32 v2, -1, 0
	v_mbcnt_hi_u32_b32 v13, -1, v2
	v_and_b32_e32 v39, 15, v13
	s_cmp_lg_u32 s2, 0
	v_mov_b32_e32 v23, v25
	v_mov_b32_e32 v21, v25
	v_cmp_eq_u32_e64 s[4:5], 0, v39
	v_cmp_lt_u32_e64 s[12:13], 1, v39
	v_cmp_lt_u32_e64 s[10:11], 3, v39
	;; [unrolled: 1-line block ×3, first 2 shown]
	v_and_b32_e32 v38, 16, v13
	v_cmp_eq_u32_e64 s[6:7], 0, v13
	v_cmp_ne_u32_e32 vcc, 0, v13
	s_barrier
	s_cbranch_scc0 .LBB117_50
; %bb.23:
	v_mov_b32_dpp v2, v26 row_shr:1 row_mask:0xf bank_mask:0xf
	v_mov_b32_e32 v3, v25
	v_mov_b32_dpp v5, v25 row_shr:1 row_mask:0xf bank_mask:0xf
	v_mov_b32_e32 v4, v25
	v_lshl_add_u64 v[2:3], v[26:27], 0, v[2:3]
	v_lshl_add_u64 v[4:5], v[4:5], 0, v[2:3]
	v_cndmask_b32_e64 v6, v5, 0, s[4:5]
	v_cndmask_b32_e64 v7, v2, v26, s[4:5]
	v_cndmask_b32_e64 v3, v5, v27, s[4:5]
	v_cndmask_b32_e64 v2, v4, v26, s[4:5]
	v_mov_b32_dpp v4, v7 row_shr:2 row_mask:0xf bank_mask:0xf
	v_mov_b32_dpp v5, v6 row_shr:2 row_mask:0xf bank_mask:0xf
	v_lshl_add_u64 v[4:5], v[4:5], 0, v[2:3]
	v_cndmask_b32_e64 v6, v6, v5, s[12:13]
	v_cndmask_b32_e64 v7, v7, v4, s[12:13]
	v_cndmask_b32_e64 v3, v3, v5, s[12:13]
	v_cndmask_b32_e64 v2, v2, v4, s[12:13]
	v_mov_b32_dpp v4, v7 row_shr:4 row_mask:0xf bank_mask:0xf
	v_mov_b32_dpp v5, v6 row_shr:4 row_mask:0xf bank_mask:0xf
	v_lshl_add_u64 v[4:5], v[4:5], 0, v[2:3]
	v_cndmask_b32_e64 v6, v6, v5, s[10:11]
	v_cndmask_b32_e64 v7, v7, v4, s[10:11]
	v_cndmask_b32_e64 v3, v3, v5, s[10:11]
	v_cndmask_b32_e64 v2, v2, v4, s[10:11]
	v_mov_b32_dpp v4, v7 row_shr:8 row_mask:0xf bank_mask:0xf
	v_mov_b32_dpp v5, v6 row_shr:8 row_mask:0xf bank_mask:0xf
	v_lshl_add_u64 v[4:5], v[4:5], 0, v[2:3]
	v_cndmask_b32_e64 v8, v6, v5, s[8:9]
	v_cndmask_b32_e64 v9, v7, v4, s[8:9]
	;; [unrolled: 1-line block ×4, first 2 shown]
	v_mov_b32_dpp v2, v9 row_bcast:15 row_mask:0xf bank_mask:0xf
	v_mov_b32_dpp v3, v8 row_bcast:15 row_mask:0xf bank_mask:0xf
	v_lshl_add_u64 v[6:7], v[2:3], 0, v[4:5]
	v_cmp_eq_u32_e64 s[8:9], 0, v38
	s_nop 1
	v_cndmask_b32_e64 v2, v7, v8, s[8:9]
	v_cndmask_b32_e64 v3, v6, v9, s[8:9]
	s_nop 0
	v_mov_b32_dpp v9, v2 row_bcast:31 row_mask:0xf bank_mask:0xf
	v_mov_b32_dpp v8, v3 row_bcast:31 row_mask:0xf bank_mask:0xf
	v_mov_b64_e32 v[2:3], v[26:27]
	s_and_saveexec_b64 s[10:11], vcc
; %bb.24:
	v_cmp_lt_u32_e32 vcc, 31, v13
	v_cndmask_b32_e64 v3, v7, v5, s[8:9]
	v_cndmask_b32_e64 v2, v6, v4, s[8:9]
	v_cndmask_b32_e32 v5, 0, v9, vcc
	v_cndmask_b32_e32 v4, 0, v8, vcc
	v_lshl_add_u64 v[2:3], v[4:5], 0, v[2:3]
; %bb.25:
	s_or_b64 exec, exec, s[10:11]
	v_or_b32_e32 v5, 63, v0
	v_lshrrev_b32_e32 v4, 6, v0
	v_cmp_eq_u32_e32 vcc, v0, v5
	s_and_saveexec_b64 s[8:9], vcc
; %bb.26:
	v_lshlrev_b32_e32 v5, 3, v4
	ds_write_b64 v5, v[2:3]
; %bb.27:
	s_or_b64 exec, exec, s[8:9]
	v_cmp_gt_u32_e32 vcc, 2, v0
	s_waitcnt lgkmcnt(0)
	s_barrier
	s_and_saveexec_b64 s[8:9], vcc
	s_cbranch_execz .LBB117_29
; %bb.28:
	v_lshlrev_b32_e32 v5, 3, v0
	ds_read_b64 v[6:7], v5
	v_and_b32_e32 v8, 1, v13
	v_cmp_eq_u32_e32 vcc, 1, v8
	s_waitcnt lgkmcnt(0)
	v_mov_b32_dpp v28, v6 row_shr:1 row_mask:0xf bank_mask:0xf
	v_mov_b32_dpp v9, v7 row_shr:1 row_mask:0xf bank_mask:0xf
	v_cndmask_b32_e32 v9, 0, v9, vcc
	v_cndmask_b32_e32 v8, 0, v28, vcc
	v_lshl_add_u64 v[6:7], v[8:9], 0, v[6:7]
	ds_write_b64 v5, v[6:7]
.LBB117_29:
	s_or_b64 exec, exec, s[8:9]
	v_cmp_gt_u32_e32 vcc, 64, v0
	v_cmp_lt_u32_e64 s[8:9], 63, v0
	s_waitcnt lgkmcnt(0)
	s_barrier
                                        ; implicit-def: $vgpr28_vgpr29
	s_and_saveexec_b64 s[10:11], s[8:9]
	s_cbranch_execz .LBB117_31
; %bb.30:
	v_lshl_add_u32 v4, v4, 3, -8
	ds_read_b64 v[28:29], v4
	s_waitcnt lgkmcnt(0)
	v_lshl_add_u64 v[2:3], v[28:29], 0, v[2:3]
.LBB117_31:
	s_or_b64 exec, exec, s[10:11]
	v_add_u32_e32 v4, -1, v13
	v_and_b32_e32 v5, 64, v13
	v_cmp_lt_i32_e64 s[8:9], v4, v5
	s_nop 1
	v_cndmask_b32_e64 v4, v4, v13, s[8:9]
	v_lshlrev_b32_e32 v4, 2, v4
	ds_bpermute_b32 v41, v4, v2
	ds_bpermute_b32 v40, v4, v3
	s_and_saveexec_b64 s[24:25], vcc
	s_cbranch_execz .LBB117_55
; %bb.32:
	v_mov_b32_e32 v5, 0
	ds_read_b64 v[2:3], v5 offset:8
	s_and_saveexec_b64 s[8:9], s[6:7]
	s_cbranch_execz .LBB117_34
; %bb.33:
	s_add_i32 s10, s2, 64
	s_mov_b32 s11, 0
	s_lshl_b64 s[10:11], s[10:11], 4
	s_add_u32 s10, s22, s10
	s_addc_u32 s11, s23, s11
	v_mov_b32_e32 v4, 1
	v_mov_b64_e32 v[6:7], s[10:11]
	s_waitcnt lgkmcnt(0)
	;;#ASMSTART
	global_store_dwordx4 v[6:7], v[2:5] off sc1	
s_waitcnt vmcnt(0)
	;;#ASMEND
.LBB117_34:
	s_or_b64 exec, exec, s[8:9]
	v_xad_u32 v30, v13, -1, s2
	v_add_u32_e32 v4, 64, v30
	v_lshl_add_u64 v[32:33], v[4:5], 4, s[22:23]
	;;#ASMSTART
	global_load_dwordx4 v[6:9], v[32:33] off sc1	
s_waitcnt vmcnt(0)
	;;#ASMEND
	s_nop 0
	v_cmp_eq_u16_sdwa s[10:11], v8, v5 src0_sel:BYTE_0 src1_sel:DWORD
	s_and_saveexec_b64 s[8:9], s[10:11]
	s_cbranch_execz .LBB117_38
; %bb.35:
	s_mov_b64 s[10:11], 0
	v_mov_b32_e32 v4, 0
.LBB117_36:                             ; =>This Inner Loop Header: Depth=1
	;;#ASMSTART
	global_load_dwordx4 v[6:9], v[32:33] off sc1	
s_waitcnt vmcnt(0)
	;;#ASMEND
	s_nop 0
	v_cmp_ne_u16_sdwa s[26:27], v8, v4 src0_sel:BYTE_0 src1_sel:DWORD
	s_or_b64 s[10:11], s[26:27], s[10:11]
	s_andn2_b64 exec, exec, s[10:11]
	s_cbranch_execnz .LBB117_36
; %bb.37:
	s_or_b64 exec, exec, s[10:11]
.LBB117_38:
	s_or_b64 exec, exec, s[8:9]
	v_mov_b32_e32 v42, 2
	v_cmp_eq_u16_sdwa s[8:9], v8, v42 src0_sel:BYTE_0 src1_sel:DWORD
	v_lshlrev_b64 v[32:33], v13, -1
	v_and_b32_e32 v43, 63, v13
	v_and_b32_e32 v4, s9, v33
	v_or_b32_e32 v4, 0x80000000, v4
	v_and_b32_e32 v5, s8, v32
	v_ffbl_b32_e32 v4, v4
	v_add_u32_e32 v4, 32, v4
	v_ffbl_b32_e32 v5, v5
	v_cmp_ne_u32_e32 vcc, 63, v43
	v_min_u32_e32 v9, v5, v4
	v_mov_b32_e32 v31, 0
	v_addc_co_u32_e32 v4, vcc, 0, v13, vcc
	v_lshlrev_b32_e32 v44, 2, v4
	ds_bpermute_b32 v4, v44, v6
	ds_bpermute_b32 v35, v44, v7
	v_mov_b32_e32 v5, v31
	v_mov_b32_e32 v34, v31
	v_cmp_lt_u32_e64 s[8:9], v43, v9
	s_waitcnt lgkmcnt(1)
	v_lshl_add_u64 v[4:5], v[6:7], 0, v[4:5]
	v_cmp_gt_u32_e32 vcc, 62, v43
	s_waitcnt lgkmcnt(0)
	v_lshl_add_u64 v[34:35], v[34:35], 0, v[4:5]
	v_cndmask_b32_e64 v47, v6, v4, s[8:9]
	v_cndmask_b32_e64 v4, 0, 2, vcc
	v_cndmask_b32_e64 v5, v7, v35, s[8:9]
	v_add_lshl_u32 v45, v4, v13, 2
	ds_bpermute_b32 v36, v45, v47
	ds_bpermute_b32 v37, v45, v5
	v_cndmask_b32_e64 v4, v6, v34, s[8:9]
	v_add_u32_e32 v46, 2, v43
	v_cmp_gt_u32_e32 vcc, v46, v9
	v_cmp_gt_u32_e64 s[10:11], 60, v43
	s_waitcnt lgkmcnt(0)
	v_lshl_add_u64 v[34:35], v[36:37], 0, v[4:5]
	v_cndmask_b32_e32 v5, v35, v5, vcc
	v_cndmask_b32_e64 v35, 0, 4, s[10:11]
	v_cndmask_b32_e32 v49, v34, v47, vcc
	v_add_lshl_u32 v47, v35, v13, 2
	ds_bpermute_b32 v36, v47, v49
	ds_bpermute_b32 v37, v47, v5
	v_cndmask_b32_e32 v4, v34, v4, vcc
	v_add_u32_e32 v48, 4, v43
	v_cmp_gt_u32_e32 vcc, v48, v9
	v_cmp_gt_u32_e64 s[10:11], 56, v43
	s_waitcnt lgkmcnt(0)
	v_lshl_add_u64 v[34:35], v[36:37], 0, v[4:5]
	v_cndmask_b32_e32 v5, v35, v5, vcc
	v_cndmask_b32_e64 v35, 0, 8, s[10:11]
	v_cndmask_b32_e32 v51, v34, v49, vcc
	v_add_lshl_u32 v49, v35, v13, 2
	ds_bpermute_b32 v36, v49, v51
	ds_bpermute_b32 v37, v49, v5
	v_cndmask_b32_e32 v4, v34, v4, vcc
	;; [unrolled: 12-line block ×3, first 2 shown]
	v_add_u32_e32 v52, 16, v43
	v_cmp_gt_u32_e32 vcc, v52, v9
	v_add_u32_e32 v54, 32, v43
	s_waitcnt lgkmcnt(0)
	v_lshl_add_u64 v[34:35], v[36:37], 0, v[4:5]
	v_cndmask_b32_e32 v36, v34, v53, vcc
	v_mov_b32_e32 v53, 0x80
	v_cndmask_b32_e32 v37, v35, v5, vcc
	v_lshl_or_b32 v53, v13, 2, v53
	ds_bpermute_b32 v36, v53, v36
	ds_bpermute_b32 v37, v53, v37
	s_and_saveexec_b64 s[10:11], s[8:9]
	s_cbranch_execz .LBB117_40
; %bb.39:
	v_cndmask_b32_e32 v5, v35, v5, vcc
	v_cndmask_b32_e32 v4, v34, v4, vcc
	v_cmp_le_u32_e32 vcc, v54, v9
	s_waitcnt lgkmcnt(0)
	s_nop 0
	v_cndmask_b32_e32 v7, 0, v37, vcc
	v_cndmask_b32_e32 v6, 0, v36, vcc
	v_lshl_add_u64 v[6:7], v[6:7], 0, v[4:5]
.LBB117_40:
	s_or_b64 exec, exec, s[10:11]
	s_branch .LBB117_43
.LBB117_41:                             ;   in Loop: Header=BB117_43 Depth=1
	s_or_b64 exec, exec, s[10:11]
	v_subrev_u32_e32 v30, 64, v30
	v_lshl_add_u64 v[6:7], v[6:7], 0, v[4:5]
	s_mov_b64 s[8:9], 0
.LBB117_42:                             ;   in Loop: Header=BB117_43 Depth=1
	s_and_b64 vcc, exec, s[8:9]
	s_cbranch_vccnz .LBB117_51
.LBB117_43:                             ; =>This Loop Header: Depth=1
                                        ;     Child Loop BB117_46 Depth 2
	v_cmp_ne_u16_sdwa s[8:9], v8, v42 src0_sel:BYTE_0 src1_sel:DWORD
	v_mov_b64_e32 v[4:5], v[6:7]
	s_cmp_lg_u64 s[8:9], exec
	s_mov_b64 s[8:9], -1
                                        ; implicit-def: $vgpr6_vgpr7
	s_cbranch_scc1 .LBB117_42
; %bb.44:                               ;   in Loop: Header=BB117_43 Depth=1
	v_lshl_add_u64 v[34:35], v[30:31], 4, s[22:23]
	;;#ASMSTART
	global_load_dwordx4 v[6:9], v[34:35] off sc1	
s_waitcnt vmcnt(0)
	;;#ASMEND
	s_nop 0
	v_cmp_eq_u16_sdwa s[10:11], v8, v31 src0_sel:BYTE_0 src1_sel:DWORD
	s_and_saveexec_b64 s[8:9], s[10:11]
	s_cbranch_execz .LBB117_48
; %bb.45:                               ;   in Loop: Header=BB117_43 Depth=1
	s_mov_b64 s[10:11], 0
.LBB117_46:                             ;   Parent Loop BB117_43 Depth=1
                                        ; =>  This Inner Loop Header: Depth=2
	;;#ASMSTART
	global_load_dwordx4 v[6:9], v[34:35] off sc1	
s_waitcnt vmcnt(0)
	;;#ASMEND
	s_nop 0
	v_cmp_ne_u16_sdwa s[26:27], v8, v31 src0_sel:BYTE_0 src1_sel:DWORD
	s_or_b64 s[10:11], s[26:27], s[10:11]
	s_andn2_b64 exec, exec, s[10:11]
	s_cbranch_execnz .LBB117_46
; %bb.47:                               ;   in Loop: Header=BB117_43 Depth=1
	s_or_b64 exec, exec, s[10:11]
.LBB117_48:                             ;   in Loop: Header=BB117_43 Depth=1
	s_or_b64 exec, exec, s[8:9]
	v_cmp_eq_u16_sdwa s[8:9], v8, v42 src0_sel:BYTE_0 src1_sel:DWORD
	s_waitcnt lgkmcnt(0)
	ds_bpermute_b32 v37, v44, v7
	v_mov_b32_e32 v36, v31
	v_and_b32_e32 v34, s8, v32
	v_and_b32_e32 v9, s9, v33
	v_ffbl_b32_e32 v35, v34
	ds_bpermute_b32 v34, v44, v6
	v_or_b32_e32 v9, 0x80000000, v9
	v_ffbl_b32_e32 v9, v9
	v_add_u32_e32 v9, 32, v9
	v_min_u32_e32 v9, v35, v9
	v_mov_b32_e32 v35, v31
	s_waitcnt lgkmcnt(0)
	v_lshl_add_u64 v[34:35], v[6:7], 0, v[34:35]
	v_lshl_add_u64 v[36:37], v[36:37], 0, v[34:35]
	v_cmp_lt_u32_e64 s[8:9], v43, v9
	v_cmp_gt_u32_e32 vcc, v46, v9
	s_nop 0
	v_cndmask_b32_e64 v55, v6, v34, s[8:9]
	v_cndmask_b32_e64 v35, v7, v37, s[8:9]
	ds_bpermute_b32 v56, v45, v55
	ds_bpermute_b32 v57, v45, v35
	v_cndmask_b32_e64 v34, v6, v36, s[8:9]
	s_waitcnt lgkmcnt(0)
	v_lshl_add_u64 v[36:37], v[56:57], 0, v[34:35]
	v_cndmask_b32_e32 v55, v36, v55, vcc
	v_cndmask_b32_e32 v35, v37, v35, vcc
	ds_bpermute_b32 v56, v47, v55
	ds_bpermute_b32 v57, v47, v35
	v_cndmask_b32_e32 v34, v36, v34, vcc
	v_cmp_gt_u32_e32 vcc, v48, v9
	s_waitcnt lgkmcnt(0)
	v_lshl_add_u64 v[36:37], v[56:57], 0, v[34:35]
	v_cndmask_b32_e32 v55, v36, v55, vcc
	v_cndmask_b32_e32 v35, v37, v35, vcc
	ds_bpermute_b32 v56, v49, v55
	ds_bpermute_b32 v57, v49, v35
	v_cndmask_b32_e32 v34, v36, v34, vcc
	v_cmp_gt_u32_e32 vcc, v50, v9
	;; [unrolled: 8-line block ×3, first 2 shown]
	s_waitcnt lgkmcnt(0)
	v_lshl_add_u64 v[36:37], v[56:57], 0, v[34:35]
	v_cndmask_b32_e32 v56, v37, v35, vcc
	v_cndmask_b32_e32 v55, v36, v55, vcc
	ds_bpermute_b32 v55, v53, v55
	ds_bpermute_b32 v56, v53, v56
	s_and_saveexec_b64 s[10:11], s[8:9]
	s_cbranch_execz .LBB117_41
; %bb.49:                               ;   in Loop: Header=BB117_43 Depth=1
	v_cndmask_b32_e32 v7, v37, v35, vcc
	v_cndmask_b32_e32 v6, v36, v34, vcc
	v_cmp_le_u32_e32 vcc, v54, v9
	s_waitcnt lgkmcnt(0)
	s_nop 0
	v_cndmask_b32_e32 v35, 0, v56, vcc
	v_cndmask_b32_e32 v34, 0, v55, vcc
	v_lshl_add_u64 v[6:7], v[34:35], 0, v[6:7]
	s_branch .LBB117_41
.LBB117_50:
                                        ; implicit-def: $vgpr6_vgpr7
                                        ; implicit-def: $vgpr8_vgpr9
                                        ; implicit-def: $vgpr28_vgpr29
                                        ; implicit-def: $vgpr30_vgpr31
                                        ; implicit-def: $vgpr32_vgpr33
                                        ; implicit-def: $vgpr34_vgpr35
                                        ; implicit-def: $vgpr36_vgpr37
                                        ; implicit-def: $vgpr4_vgpr5
	s_load_dwordx2 s[6:7], s[0:1], 0x30
	s_cbranch_execnz .LBB117_56
	s_branch .LBB117_67
.LBB117_51:
	s_and_saveexec_b64 s[8:9], s[6:7]
	s_cbranch_execz .LBB117_53
; %bb.52:
	s_add_i32 s2, s2, 64
	s_mov_b32 s3, 0
	s_lshl_b64 s[2:3], s[2:3], 4
	s_add_u32 s2, s22, s2
	s_addc_u32 s3, s23, s3
	v_lshl_add_u64 v[6:7], v[4:5], 0, v[2:3]
	v_mov_b32_e32 v8, 2
	v_mov_b32_e32 v9, 0
	v_mov_b64_e32 v[30:31], s[2:3]
	;;#ASMSTART
	global_store_dwordx4 v[30:31], v[6:9] off sc1	
s_waitcnt vmcnt(0)
	;;#ASMEND
	ds_write_b128 v9, v[2:5] offset:7168
.LBB117_53:
	s_or_b64 exec, exec, s[8:9]
	v_cmp_eq_u32_e32 vcc, 0, v0
	s_and_b64 exec, exec, vcc
; %bb.54:
	v_mov_b32_e32 v2, 0
	ds_write_b64 v2, v[4:5] offset:8
.LBB117_55:
	s_or_b64 exec, exec, s[24:25]
	v_mov_b32_e32 v6, 0
	s_waitcnt lgkmcnt(0)
	s_barrier
	ds_read_b64 v[2:3], v6 offset:8
	v_cndmask_b32_e64 v4, v41, v28, s[6:7]
	v_cndmask_b32_e64 v5, v40, v29, s[6:7]
	v_cmp_ne_u32_e32 vcc, 0, v0
	s_waitcnt lgkmcnt(0)
	s_barrier
	v_cndmask_b32_e32 v5, 0, v5, vcc
	v_cndmask_b32_e32 v4, 0, v4, vcc
	v_lshl_add_u64 v[36:37], v[2:3], 0, v[4:5]
	v_lshl_add_u64 v[34:35], v[36:37], 0, v[24:25]
	;; [unrolled: 1-line block ×3, first 2 shown]
	ds_read_b128 v[2:5], v6 offset:7168
	v_lshl_add_u64 v[30:31], v[32:33], 0, v[20:21]
	v_lshl_add_u64 v[28:29], v[30:31], 0, v[18:19]
	;; [unrolled: 1-line block ×4, first 2 shown]
	s_load_dwordx2 s[6:7], s[0:1], 0x30
	s_branch .LBB117_67
.LBB117_56:
	s_waitcnt lgkmcnt(0)
	v_mov_b32_e32 v4, 0
	v_mov_b32_dpp v2, v26 row_shr:1 row_mask:0xf bank_mask:0xf
	v_mov_b32_e32 v3, v4
	v_mov_b32_dpp v5, v4 row_shr:1 row_mask:0xf bank_mask:0xf
	v_lshl_add_u64 v[2:3], v[26:27], 0, v[2:3]
	v_lshl_add_u64 v[4:5], v[4:5], 0, v[2:3]
	v_cndmask_b32_e64 v6, v5, 0, s[4:5]
	v_cndmask_b32_e64 v7, v2, v26, s[4:5]
	;; [unrolled: 1-line block ×4, first 2 shown]
	v_mov_b32_dpp v4, v7 row_shr:2 row_mask:0xf bank_mask:0xf
	v_mov_b32_dpp v5, v6 row_shr:2 row_mask:0xf bank_mask:0xf
	v_lshl_add_u64 v[4:5], v[4:5], 0, v[2:3]
	v_cndmask_b32_e64 v6, v6, v5, s[12:13]
	v_cndmask_b32_e64 v7, v7, v4, s[12:13]
	;; [unrolled: 1-line block ×4, first 2 shown]
	v_mov_b32_dpp v4, v7 row_shr:4 row_mask:0xf bank_mask:0xf
	v_mov_b32_dpp v5, v6 row_shr:4 row_mask:0xf bank_mask:0xf
	v_lshl_add_u64 v[4:5], v[4:5], 0, v[2:3]
	v_cmp_lt_u32_e32 vcc, 3, v39
	v_cmp_eq_u32_e64 s[0:1], 0, v38
	v_cmp_ne_u32_e64 s[2:3], 0, v13
	v_cndmask_b32_e32 v6, v6, v5, vcc
	v_cndmask_b32_e32 v7, v7, v4, vcc
	;; [unrolled: 1-line block ×4, first 2 shown]
	v_mov_b32_dpp v4, v7 row_shr:8 row_mask:0xf bank_mask:0xf
	v_mov_b32_dpp v5, v6 row_shr:8 row_mask:0xf bank_mask:0xf
	v_lshl_add_u64 v[4:5], v[4:5], 0, v[2:3]
	v_cmp_lt_u32_e32 vcc, 7, v39
	s_nop 1
	v_cndmask_b32_e32 v6, v6, v5, vcc
	v_cndmask_b32_e32 v7, v7, v4, vcc
	;; [unrolled: 1-line block ×4, first 2 shown]
	v_mov_b32_dpp v4, v7 row_bcast:15 row_mask:0xf bank_mask:0xf
	v_mov_b32_dpp v5, v6 row_bcast:15 row_mask:0xf bank_mask:0xf
	v_lshl_add_u64 v[4:5], v[4:5], 0, v[2:3]
	v_cndmask_b32_e64 v8, v5, v6, s[0:1]
	v_cndmask_b32_e64 v6, v4, v7, s[0:1]
	v_cmp_eq_u32_e32 vcc, 0, v13
	v_mov_b32_dpp v7, v8 row_bcast:31 row_mask:0xf bank_mask:0xf
	v_mov_b32_dpp v6, v6 row_bcast:31 row_mask:0xf bank_mask:0xf
	s_and_saveexec_b64 s[4:5], s[2:3]
; %bb.57:
	v_cndmask_b32_e64 v3, v5, v3, s[0:1]
	v_cndmask_b32_e64 v2, v4, v2, s[0:1]
	v_cmp_lt_u32_e64 s[0:1], 31, v13
	s_nop 1
	v_cndmask_b32_e64 v5, 0, v7, s[0:1]
	v_cndmask_b32_e64 v4, 0, v6, s[0:1]
	v_lshl_add_u64 v[26:27], v[4:5], 0, v[2:3]
; %bb.58:
	s_or_b64 exec, exec, s[4:5]
	v_or_b32_e32 v3, 63, v0
	v_lshrrev_b32_e32 v2, 6, v0
	v_cmp_eq_u32_e64 s[0:1], v0, v3
	s_and_saveexec_b64 s[2:3], s[0:1]
; %bb.59:
	v_lshlrev_b32_e32 v3, 3, v2
	ds_write_b64 v3, v[26:27]
; %bb.60:
	s_or_b64 exec, exec, s[2:3]
	v_cmp_gt_u32_e64 s[0:1], 2, v0
	s_waitcnt lgkmcnt(0)
	s_barrier
	s_and_saveexec_b64 s[2:3], s[0:1]
	s_cbranch_execz .LBB117_62
; %bb.61:
	v_add_u32_e32 v1, v1, v0
	ds_read_b64 v[4:5], v1
	v_and_b32_e32 v3, 1, v13
	v_cmp_eq_u32_e64 s[0:1], 1, v3
	s_waitcnt lgkmcnt(0)
	v_mov_b32_dpp v6, v4 row_shr:1 row_mask:0xf bank_mask:0xf
	v_mov_b32_dpp v7, v5 row_shr:1 row_mask:0xf bank_mask:0xf
	v_cndmask_b32_e64 v7, 0, v7, s[0:1]
	v_cndmask_b32_e64 v6, 0, v6, s[0:1]
	v_lshl_add_u64 v[4:5], v[6:7], 0, v[4:5]
	ds_write_b64 v1, v[4:5]
.LBB117_62:
	s_or_b64 exec, exec, s[2:3]
	v_cmp_lt_u32_e64 s[0:1], 63, v0
	v_mov_b64_e32 v[6:7], 0
	s_waitcnt lgkmcnt(0)
	s_barrier
	s_and_saveexec_b64 s[2:3], s[0:1]
; %bb.63:
	v_lshl_add_u32 v1, v2, 3, -8
	ds_read_b64 v[6:7], v1
; %bb.64:
	s_or_b64 exec, exec, s[2:3]
	v_add_u32_e32 v1, -1, v13
	v_and_b32_e32 v4, 64, v13
	v_cmp_lt_i32_e64 s[0:1], v1, v4
	s_waitcnt lgkmcnt(0)
	v_lshl_add_u64 v[2:3], v[6:7], 0, v[26:27]
	v_mov_b32_e32 v5, 0
	v_cndmask_b32_e64 v1, v1, v13, s[0:1]
	v_lshlrev_b32_e32 v4, 2, v1
	ds_bpermute_b32 v1, v4, v2
	ds_bpermute_b32 v8, v4, v3
	ds_read_b64 v[2:3], v5 offset:8
	v_cmp_eq_u32_e64 s[0:1], 0, v0
	s_and_saveexec_b64 s[2:3], s[0:1]
	s_cbranch_execz .LBB117_66
; %bb.65:
	s_add_u32 s4, s22, 0x400
	s_addc_u32 s5, s23, 0
	v_mov_b32_e32 v4, 2
	v_mov_b64_e32 v[26:27], s[4:5]
	s_waitcnt lgkmcnt(0)
	;;#ASMSTART
	global_store_dwordx4 v[26:27], v[2:5] off sc1	
s_waitcnt vmcnt(0)
	;;#ASMEND
.LBB117_66:
	s_or_b64 exec, exec, s[2:3]
	s_waitcnt lgkmcnt(2)
	v_cndmask_b32_e32 v1, v1, v6, vcc
	s_waitcnt lgkmcnt(1)
	v_cndmask_b32_e32 v4, v8, v7, vcc
	v_cndmask_b32_e64 v37, v4, 0, s[0:1]
	v_cndmask_b32_e64 v36, v1, 0, s[0:1]
	v_lshl_add_u64 v[34:35], v[36:37], 0, v[24:25]
	v_lshl_add_u64 v[32:33], v[34:35], 0, v[22:23]
	;; [unrolled: 1-line block ×6, first 2 shown]
	s_waitcnt lgkmcnt(0)
	s_barrier
	v_mov_b64_e32 v[4:5], 0
.LBB117_67:
	s_mov_b64 s[0:1], 0x81
	s_waitcnt lgkmcnt(0)
	v_cmp_gt_u64_e32 vcc, s[0:1], v[2:3]
	s_mov_b64 s[2:3], -1
	v_lshl_add_u64 v[26:27], v[4:5], 0, v[2:3]
	v_cmp_eq_u32_e64 s[0:1], 1, v24
	s_cbranch_vccnz .LBB117_71
; %bb.68:
	s_and_b64 vcc, exec, s[2:3]
	s_cbranch_vccnz .LBB117_86
.LBB117_69:
	v_cmp_eq_u32_e32 vcc, 0, v0
	s_and_b64 s[0:1], vcc, s[18:19]
	s_and_saveexec_b64 s[2:3], s[0:1]
	s_cbranch_execnz .LBB117_97
.LBB117_70:
	s_endpgm
.LBB117_71:
	v_cmp_lt_u64_e32 vcc, v[36:37], v[26:27]
	s_or_b64 s[2:3], s[20:21], vcc
	s_and_b64 s[2:3], s[2:3], s[0:1]
	s_and_saveexec_b64 s[0:1], s[2:3]
	s_cbranch_execz .LBB117_73
; %bb.72:
	s_lshl_b64 s[2:3], s[14:15], 3
	s_add_u32 s2, s6, s2
	s_addc_u32 s3, s7, s3
	v_lshl_add_u64 v[38:39], v[36:37], 3, s[2:3]
	global_store_dwordx2 v[38:39], v[66:67], off
.LBB117_73:
	s_or_b64 exec, exec, s[0:1]
	v_cmp_lt_u64_e32 vcc, v[34:35], v[26:27]
	s_or_b64 s[0:1], s[20:21], vcc
	v_cmp_eq_u32_e32 vcc, 1, v22
	s_and_b64 s[2:3], s[0:1], vcc
	s_and_saveexec_b64 s[0:1], s[2:3]
	s_cbranch_execz .LBB117_75
; %bb.74:
	s_lshl_b64 s[2:3], s[14:15], 3
	s_add_u32 s2, s6, s2
	s_addc_u32 s3, s7, s3
	v_lshl_add_u64 v[38:39], v[34:35], 3, s[2:3]
	global_store_dwordx2 v[38:39], v[68:69], off
.LBB117_75:
	s_or_b64 exec, exec, s[0:1]
	v_cmp_lt_u64_e32 vcc, v[32:33], v[26:27]
	s_or_b64 s[0:1], s[20:21], vcc
	v_cmp_eq_u32_e32 vcc, 1, v20
	s_and_b64 s[2:3], s[0:1], vcc
	;; [unrolled: 14-line block ×6, first 2 shown]
	s_and_saveexec_b64 s[0:1], s[2:3]
	s_cbranch_execz .LBB117_85
; %bb.84:
	s_lshl_b64 s[2:3], s[14:15], 3
	s_add_u32 s2, s6, s2
	s_addc_u32 s3, s7, s3
	v_lshl_add_u64 v[38:39], v[6:7], 3, s[2:3]
	global_store_dwordx2 v[38:39], v[10:11], off
.LBB117_85:
	s_or_b64 exec, exec, s[0:1]
	s_branch .LBB117_69
.LBB117_86:
	v_cmp_eq_u32_e32 vcc, 1, v24
	s_and_saveexec_b64 s[0:1], vcc
	s_cbranch_execnz .LBB117_98
; %bb.87:
	s_or_b64 exec, exec, s[0:1]
	v_cmp_eq_u32_e32 vcc, 1, v22
	s_and_saveexec_b64 s[0:1], vcc
	s_cbranch_execnz .LBB117_99
.LBB117_88:
	s_or_b64 exec, exec, s[0:1]
	v_cmp_eq_u32_e32 vcc, 1, v20
	s_and_saveexec_b64 s[0:1], vcc
	s_cbranch_execnz .LBB117_100
.LBB117_89:
	s_or_b64 exec, exec, s[0:1]
	v_cmp_eq_u32_e32 vcc, 1, v18
	s_and_saveexec_b64 s[0:1], vcc
	s_cbranch_execnz .LBB117_101
.LBB117_90:
	s_or_b64 exec, exec, s[0:1]
	v_cmp_eq_u32_e32 vcc, 1, v16
	s_and_saveexec_b64 s[0:1], vcc
	s_cbranch_execnz .LBB117_102
.LBB117_91:
	s_or_b64 exec, exec, s[0:1]
	v_cmp_eq_u32_e32 vcc, 1, v14
	s_and_saveexec_b64 s[0:1], vcc
	s_cbranch_execnz .LBB117_103
.LBB117_92:
	s_or_b64 exec, exec, s[0:1]
	v_cmp_eq_u32_e32 vcc, 1, v12
	s_and_saveexec_b64 s[0:1], vcc
.LBB117_93:
	v_sub_u32_e32 v1, v6, v4
	v_lshlrev_b32_e32 v1, 3, v1
	ds_write_b64 v1, v[10:11]
.LBB117_94:
	s_or_b64 exec, exec, s[0:1]
	v_mov_b32_e32 v7, 0
	v_lshlrev_b64 v[4:5], 3, v[4:5]
	v_mov_b32_e32 v1, v7
	v_lshl_add_u64 v[4:5], s[6:7], 0, v[4:5]
	s_lshl_b64 s[0:1], s[14:15], 3
	v_lshl_add_u64 v[4:5], v[4:5], 0, s[0:1]
	v_or_b32_e32 v6, 0x80, v0
	s_mov_b64 s[0:1], 0
	v_mov_b64_e32 v[8:9], v[0:1]
	s_waitcnt lgkmcnt(0)
	s_barrier
.LBB117_95:                             ; =>This Inner Loop Header: Depth=1
	v_lshlrev_b32_e32 v1, 3, v8
	ds_read_b64 v[12:13], v1
	v_cmp_le_u64_e32 vcc, v[2:3], v[6:7]
	v_lshl_add_u64 v[10:11], v[8:9], 3, v[4:5]
	v_mov_b64_e32 v[8:9], v[6:7]
	v_add_u32_e32 v6, 0x80, v6
	s_or_b64 s[0:1], vcc, s[0:1]
	s_waitcnt lgkmcnt(0)
	global_store_dwordx2 v[10:11], v[12:13], off
	s_andn2_b64 exec, exec, s[0:1]
	s_cbranch_execnz .LBB117_95
; %bb.96:
	s_or_b64 exec, exec, s[0:1]
	v_cmp_eq_u32_e32 vcc, 0, v0
	s_and_b64 s[0:1], vcc, s[18:19]
	s_and_saveexec_b64 s[2:3], s[0:1]
	s_cbranch_execz .LBB117_70
.LBB117_97:
	v_mov_b32_e32 v2, 0
	v_lshl_add_u64 v[0:1], v[26:27], 0, s[14:15]
	global_store_dwordx2 v2, v[0:1], s[16:17]
	s_endpgm
.LBB117_98:
	v_sub_u32_e32 v1, v36, v4
	v_lshlrev_b32_e32 v1, 3, v1
	ds_write_b64 v1, v[66:67]
	s_or_b64 exec, exec, s[0:1]
	v_cmp_eq_u32_e32 vcc, 1, v22
	s_and_saveexec_b64 s[0:1], vcc
	s_cbranch_execz .LBB117_88
.LBB117_99:
	v_sub_u32_e32 v1, v34, v4
	v_lshlrev_b32_e32 v1, 3, v1
	ds_write_b64 v1, v[68:69]
	s_or_b64 exec, exec, s[0:1]
	v_cmp_eq_u32_e32 vcc, 1, v20
	s_and_saveexec_b64 s[0:1], vcc
	s_cbranch_execz .LBB117_89
.LBB117_100:
	v_sub_u32_e32 v1, v32, v4
	v_lshlrev_b32_e32 v1, 3, v1
	ds_write_b64 v1, v[62:63]
	s_or_b64 exec, exec, s[0:1]
	v_cmp_eq_u32_e32 vcc, 1, v18
	s_and_saveexec_b64 s[0:1], vcc
	s_cbranch_execz .LBB117_90
.LBB117_101:
	v_sub_u32_e32 v1, v30, v4
	v_lshlrev_b32_e32 v1, 3, v1
	ds_write_b64 v1, v[64:65]
	s_or_b64 exec, exec, s[0:1]
	v_cmp_eq_u32_e32 vcc, 1, v16
	s_and_saveexec_b64 s[0:1], vcc
	s_cbranch_execz .LBB117_91
.LBB117_102:
	v_sub_u32_e32 v1, v28, v4
	v_lshlrev_b32_e32 v1, 3, v1
	ds_write_b64 v1, v[58:59]
	s_or_b64 exec, exec, s[0:1]
	v_cmp_eq_u32_e32 vcc, 1, v14
	s_and_saveexec_b64 s[0:1], vcc
	s_cbranch_execz .LBB117_92
.LBB117_103:
	v_sub_u32_e32 v1, v8, v4
	v_lshlrev_b32_e32 v1, 3, v1
	ds_write_b64 v1, v[60:61]
	s_or_b64 exec, exec, s[0:1]
	v_cmp_eq_u32_e32 vcc, 1, v12
	s_and_saveexec_b64 s[0:1], vcc
	s_cbranch_execnz .LBB117_93
	s_branch .LBB117_94
	.section	.rodata,"a",@progbits
	.p2align	6, 0x0
	.amdhsa_kernel _ZN7rocprim17ROCPRIM_400000_NS6detail17trampoline_kernelINS0_14default_configENS1_25partition_config_selectorILNS1_17partition_subalgoE5ElNS0_10empty_typeEbEEZZNS1_14partition_implILS5_5ELb0ES3_mN6hipcub16HIPCUB_304000_NS21CountingInputIteratorIllEEPS6_NSA_22TransformInputIteratorIb7NonZeroIsEPslEENS0_5tupleIJPlS6_EEENSJ_IJSD_SD_EEES6_SK_JS6_EEE10hipError_tPvRmT3_T4_T5_T6_T7_T9_mT8_P12ihipStream_tbDpT10_ENKUlT_T0_E_clISt17integral_constantIbLb0EES16_EEDaS11_S12_EUlS11_E_NS1_11comp_targetILNS1_3genE0ELNS1_11target_archE4294967295ELNS1_3gpuE0ELNS1_3repE0EEENS1_30default_config_static_selectorELNS0_4arch9wavefront6targetE1EEEvT1_
		.amdhsa_group_segment_fixed_size 7184
		.amdhsa_private_segment_fixed_size 0
		.amdhsa_kernarg_size 120
		.amdhsa_user_sgpr_count 2
		.amdhsa_user_sgpr_dispatch_ptr 0
		.amdhsa_user_sgpr_queue_ptr 0
		.amdhsa_user_sgpr_kernarg_segment_ptr 1
		.amdhsa_user_sgpr_dispatch_id 0
		.amdhsa_user_sgpr_kernarg_preload_length 0
		.amdhsa_user_sgpr_kernarg_preload_offset 0
		.amdhsa_user_sgpr_private_segment_size 0
		.amdhsa_uses_dynamic_stack 0
		.amdhsa_enable_private_segment 0
		.amdhsa_system_sgpr_workgroup_id_x 1
		.amdhsa_system_sgpr_workgroup_id_y 0
		.amdhsa_system_sgpr_workgroup_id_z 0
		.amdhsa_system_sgpr_workgroup_info 0
		.amdhsa_system_vgpr_workitem_id 0
		.amdhsa_next_free_vgpr 70
		.amdhsa_next_free_sgpr 28
		.amdhsa_accum_offset 72
		.amdhsa_reserve_vcc 1
		.amdhsa_float_round_mode_32 0
		.amdhsa_float_round_mode_16_64 0
		.amdhsa_float_denorm_mode_32 3
		.amdhsa_float_denorm_mode_16_64 3
		.amdhsa_dx10_clamp 1
		.amdhsa_ieee_mode 1
		.amdhsa_fp16_overflow 0
		.amdhsa_tg_split 0
		.amdhsa_exception_fp_ieee_invalid_op 0
		.amdhsa_exception_fp_denorm_src 0
		.amdhsa_exception_fp_ieee_div_zero 0
		.amdhsa_exception_fp_ieee_overflow 0
		.amdhsa_exception_fp_ieee_underflow 0
		.amdhsa_exception_fp_ieee_inexact 0
		.amdhsa_exception_int_div_zero 0
	.end_amdhsa_kernel
	.section	.text._ZN7rocprim17ROCPRIM_400000_NS6detail17trampoline_kernelINS0_14default_configENS1_25partition_config_selectorILNS1_17partition_subalgoE5ElNS0_10empty_typeEbEEZZNS1_14partition_implILS5_5ELb0ES3_mN6hipcub16HIPCUB_304000_NS21CountingInputIteratorIllEEPS6_NSA_22TransformInputIteratorIb7NonZeroIsEPslEENS0_5tupleIJPlS6_EEENSJ_IJSD_SD_EEES6_SK_JS6_EEE10hipError_tPvRmT3_T4_T5_T6_T7_T9_mT8_P12ihipStream_tbDpT10_ENKUlT_T0_E_clISt17integral_constantIbLb0EES16_EEDaS11_S12_EUlS11_E_NS1_11comp_targetILNS1_3genE0ELNS1_11target_archE4294967295ELNS1_3gpuE0ELNS1_3repE0EEENS1_30default_config_static_selectorELNS0_4arch9wavefront6targetE1EEEvT1_,"axG",@progbits,_ZN7rocprim17ROCPRIM_400000_NS6detail17trampoline_kernelINS0_14default_configENS1_25partition_config_selectorILNS1_17partition_subalgoE5ElNS0_10empty_typeEbEEZZNS1_14partition_implILS5_5ELb0ES3_mN6hipcub16HIPCUB_304000_NS21CountingInputIteratorIllEEPS6_NSA_22TransformInputIteratorIb7NonZeroIsEPslEENS0_5tupleIJPlS6_EEENSJ_IJSD_SD_EEES6_SK_JS6_EEE10hipError_tPvRmT3_T4_T5_T6_T7_T9_mT8_P12ihipStream_tbDpT10_ENKUlT_T0_E_clISt17integral_constantIbLb0EES16_EEDaS11_S12_EUlS11_E_NS1_11comp_targetILNS1_3genE0ELNS1_11target_archE4294967295ELNS1_3gpuE0ELNS1_3repE0EEENS1_30default_config_static_selectorELNS0_4arch9wavefront6targetE1EEEvT1_,comdat
.Lfunc_end117:
	.size	_ZN7rocprim17ROCPRIM_400000_NS6detail17trampoline_kernelINS0_14default_configENS1_25partition_config_selectorILNS1_17partition_subalgoE5ElNS0_10empty_typeEbEEZZNS1_14partition_implILS5_5ELb0ES3_mN6hipcub16HIPCUB_304000_NS21CountingInputIteratorIllEEPS6_NSA_22TransformInputIteratorIb7NonZeroIsEPslEENS0_5tupleIJPlS6_EEENSJ_IJSD_SD_EEES6_SK_JS6_EEE10hipError_tPvRmT3_T4_T5_T6_T7_T9_mT8_P12ihipStream_tbDpT10_ENKUlT_T0_E_clISt17integral_constantIbLb0EES16_EEDaS11_S12_EUlS11_E_NS1_11comp_targetILNS1_3genE0ELNS1_11target_archE4294967295ELNS1_3gpuE0ELNS1_3repE0EEENS1_30default_config_static_selectorELNS0_4arch9wavefront6targetE1EEEvT1_, .Lfunc_end117-_ZN7rocprim17ROCPRIM_400000_NS6detail17trampoline_kernelINS0_14default_configENS1_25partition_config_selectorILNS1_17partition_subalgoE5ElNS0_10empty_typeEbEEZZNS1_14partition_implILS5_5ELb0ES3_mN6hipcub16HIPCUB_304000_NS21CountingInputIteratorIllEEPS6_NSA_22TransformInputIteratorIb7NonZeroIsEPslEENS0_5tupleIJPlS6_EEENSJ_IJSD_SD_EEES6_SK_JS6_EEE10hipError_tPvRmT3_T4_T5_T6_T7_T9_mT8_P12ihipStream_tbDpT10_ENKUlT_T0_E_clISt17integral_constantIbLb0EES16_EEDaS11_S12_EUlS11_E_NS1_11comp_targetILNS1_3genE0ELNS1_11target_archE4294967295ELNS1_3gpuE0ELNS1_3repE0EEENS1_30default_config_static_selectorELNS0_4arch9wavefront6targetE1EEEvT1_
                                        ; -- End function
	.set _ZN7rocprim17ROCPRIM_400000_NS6detail17trampoline_kernelINS0_14default_configENS1_25partition_config_selectorILNS1_17partition_subalgoE5ElNS0_10empty_typeEbEEZZNS1_14partition_implILS5_5ELb0ES3_mN6hipcub16HIPCUB_304000_NS21CountingInputIteratorIllEEPS6_NSA_22TransformInputIteratorIb7NonZeroIsEPslEENS0_5tupleIJPlS6_EEENSJ_IJSD_SD_EEES6_SK_JS6_EEE10hipError_tPvRmT3_T4_T5_T6_T7_T9_mT8_P12ihipStream_tbDpT10_ENKUlT_T0_E_clISt17integral_constantIbLb0EES16_EEDaS11_S12_EUlS11_E_NS1_11comp_targetILNS1_3genE0ELNS1_11target_archE4294967295ELNS1_3gpuE0ELNS1_3repE0EEENS1_30default_config_static_selectorELNS0_4arch9wavefront6targetE1EEEvT1_.num_vgpr, 70
	.set _ZN7rocprim17ROCPRIM_400000_NS6detail17trampoline_kernelINS0_14default_configENS1_25partition_config_selectorILNS1_17partition_subalgoE5ElNS0_10empty_typeEbEEZZNS1_14partition_implILS5_5ELb0ES3_mN6hipcub16HIPCUB_304000_NS21CountingInputIteratorIllEEPS6_NSA_22TransformInputIteratorIb7NonZeroIsEPslEENS0_5tupleIJPlS6_EEENSJ_IJSD_SD_EEES6_SK_JS6_EEE10hipError_tPvRmT3_T4_T5_T6_T7_T9_mT8_P12ihipStream_tbDpT10_ENKUlT_T0_E_clISt17integral_constantIbLb0EES16_EEDaS11_S12_EUlS11_E_NS1_11comp_targetILNS1_3genE0ELNS1_11target_archE4294967295ELNS1_3gpuE0ELNS1_3repE0EEENS1_30default_config_static_selectorELNS0_4arch9wavefront6targetE1EEEvT1_.num_agpr, 0
	.set _ZN7rocprim17ROCPRIM_400000_NS6detail17trampoline_kernelINS0_14default_configENS1_25partition_config_selectorILNS1_17partition_subalgoE5ElNS0_10empty_typeEbEEZZNS1_14partition_implILS5_5ELb0ES3_mN6hipcub16HIPCUB_304000_NS21CountingInputIteratorIllEEPS6_NSA_22TransformInputIteratorIb7NonZeroIsEPslEENS0_5tupleIJPlS6_EEENSJ_IJSD_SD_EEES6_SK_JS6_EEE10hipError_tPvRmT3_T4_T5_T6_T7_T9_mT8_P12ihipStream_tbDpT10_ENKUlT_T0_E_clISt17integral_constantIbLb0EES16_EEDaS11_S12_EUlS11_E_NS1_11comp_targetILNS1_3genE0ELNS1_11target_archE4294967295ELNS1_3gpuE0ELNS1_3repE0EEENS1_30default_config_static_selectorELNS0_4arch9wavefront6targetE1EEEvT1_.numbered_sgpr, 28
	.set _ZN7rocprim17ROCPRIM_400000_NS6detail17trampoline_kernelINS0_14default_configENS1_25partition_config_selectorILNS1_17partition_subalgoE5ElNS0_10empty_typeEbEEZZNS1_14partition_implILS5_5ELb0ES3_mN6hipcub16HIPCUB_304000_NS21CountingInputIteratorIllEEPS6_NSA_22TransformInputIteratorIb7NonZeroIsEPslEENS0_5tupleIJPlS6_EEENSJ_IJSD_SD_EEES6_SK_JS6_EEE10hipError_tPvRmT3_T4_T5_T6_T7_T9_mT8_P12ihipStream_tbDpT10_ENKUlT_T0_E_clISt17integral_constantIbLb0EES16_EEDaS11_S12_EUlS11_E_NS1_11comp_targetILNS1_3genE0ELNS1_11target_archE4294967295ELNS1_3gpuE0ELNS1_3repE0EEENS1_30default_config_static_selectorELNS0_4arch9wavefront6targetE1EEEvT1_.num_named_barrier, 0
	.set _ZN7rocprim17ROCPRIM_400000_NS6detail17trampoline_kernelINS0_14default_configENS1_25partition_config_selectorILNS1_17partition_subalgoE5ElNS0_10empty_typeEbEEZZNS1_14partition_implILS5_5ELb0ES3_mN6hipcub16HIPCUB_304000_NS21CountingInputIteratorIllEEPS6_NSA_22TransformInputIteratorIb7NonZeroIsEPslEENS0_5tupleIJPlS6_EEENSJ_IJSD_SD_EEES6_SK_JS6_EEE10hipError_tPvRmT3_T4_T5_T6_T7_T9_mT8_P12ihipStream_tbDpT10_ENKUlT_T0_E_clISt17integral_constantIbLb0EES16_EEDaS11_S12_EUlS11_E_NS1_11comp_targetILNS1_3genE0ELNS1_11target_archE4294967295ELNS1_3gpuE0ELNS1_3repE0EEENS1_30default_config_static_selectorELNS0_4arch9wavefront6targetE1EEEvT1_.private_seg_size, 0
	.set _ZN7rocprim17ROCPRIM_400000_NS6detail17trampoline_kernelINS0_14default_configENS1_25partition_config_selectorILNS1_17partition_subalgoE5ElNS0_10empty_typeEbEEZZNS1_14partition_implILS5_5ELb0ES3_mN6hipcub16HIPCUB_304000_NS21CountingInputIteratorIllEEPS6_NSA_22TransformInputIteratorIb7NonZeroIsEPslEENS0_5tupleIJPlS6_EEENSJ_IJSD_SD_EEES6_SK_JS6_EEE10hipError_tPvRmT3_T4_T5_T6_T7_T9_mT8_P12ihipStream_tbDpT10_ENKUlT_T0_E_clISt17integral_constantIbLb0EES16_EEDaS11_S12_EUlS11_E_NS1_11comp_targetILNS1_3genE0ELNS1_11target_archE4294967295ELNS1_3gpuE0ELNS1_3repE0EEENS1_30default_config_static_selectorELNS0_4arch9wavefront6targetE1EEEvT1_.uses_vcc, 1
	.set _ZN7rocprim17ROCPRIM_400000_NS6detail17trampoline_kernelINS0_14default_configENS1_25partition_config_selectorILNS1_17partition_subalgoE5ElNS0_10empty_typeEbEEZZNS1_14partition_implILS5_5ELb0ES3_mN6hipcub16HIPCUB_304000_NS21CountingInputIteratorIllEEPS6_NSA_22TransformInputIteratorIb7NonZeroIsEPslEENS0_5tupleIJPlS6_EEENSJ_IJSD_SD_EEES6_SK_JS6_EEE10hipError_tPvRmT3_T4_T5_T6_T7_T9_mT8_P12ihipStream_tbDpT10_ENKUlT_T0_E_clISt17integral_constantIbLb0EES16_EEDaS11_S12_EUlS11_E_NS1_11comp_targetILNS1_3genE0ELNS1_11target_archE4294967295ELNS1_3gpuE0ELNS1_3repE0EEENS1_30default_config_static_selectorELNS0_4arch9wavefront6targetE1EEEvT1_.uses_flat_scratch, 0
	.set _ZN7rocprim17ROCPRIM_400000_NS6detail17trampoline_kernelINS0_14default_configENS1_25partition_config_selectorILNS1_17partition_subalgoE5ElNS0_10empty_typeEbEEZZNS1_14partition_implILS5_5ELb0ES3_mN6hipcub16HIPCUB_304000_NS21CountingInputIteratorIllEEPS6_NSA_22TransformInputIteratorIb7NonZeroIsEPslEENS0_5tupleIJPlS6_EEENSJ_IJSD_SD_EEES6_SK_JS6_EEE10hipError_tPvRmT3_T4_T5_T6_T7_T9_mT8_P12ihipStream_tbDpT10_ENKUlT_T0_E_clISt17integral_constantIbLb0EES16_EEDaS11_S12_EUlS11_E_NS1_11comp_targetILNS1_3genE0ELNS1_11target_archE4294967295ELNS1_3gpuE0ELNS1_3repE0EEENS1_30default_config_static_selectorELNS0_4arch9wavefront6targetE1EEEvT1_.has_dyn_sized_stack, 0
	.set _ZN7rocprim17ROCPRIM_400000_NS6detail17trampoline_kernelINS0_14default_configENS1_25partition_config_selectorILNS1_17partition_subalgoE5ElNS0_10empty_typeEbEEZZNS1_14partition_implILS5_5ELb0ES3_mN6hipcub16HIPCUB_304000_NS21CountingInputIteratorIllEEPS6_NSA_22TransformInputIteratorIb7NonZeroIsEPslEENS0_5tupleIJPlS6_EEENSJ_IJSD_SD_EEES6_SK_JS6_EEE10hipError_tPvRmT3_T4_T5_T6_T7_T9_mT8_P12ihipStream_tbDpT10_ENKUlT_T0_E_clISt17integral_constantIbLb0EES16_EEDaS11_S12_EUlS11_E_NS1_11comp_targetILNS1_3genE0ELNS1_11target_archE4294967295ELNS1_3gpuE0ELNS1_3repE0EEENS1_30default_config_static_selectorELNS0_4arch9wavefront6targetE1EEEvT1_.has_recursion, 0
	.set _ZN7rocprim17ROCPRIM_400000_NS6detail17trampoline_kernelINS0_14default_configENS1_25partition_config_selectorILNS1_17partition_subalgoE5ElNS0_10empty_typeEbEEZZNS1_14partition_implILS5_5ELb0ES3_mN6hipcub16HIPCUB_304000_NS21CountingInputIteratorIllEEPS6_NSA_22TransformInputIteratorIb7NonZeroIsEPslEENS0_5tupleIJPlS6_EEENSJ_IJSD_SD_EEES6_SK_JS6_EEE10hipError_tPvRmT3_T4_T5_T6_T7_T9_mT8_P12ihipStream_tbDpT10_ENKUlT_T0_E_clISt17integral_constantIbLb0EES16_EEDaS11_S12_EUlS11_E_NS1_11comp_targetILNS1_3genE0ELNS1_11target_archE4294967295ELNS1_3gpuE0ELNS1_3repE0EEENS1_30default_config_static_selectorELNS0_4arch9wavefront6targetE1EEEvT1_.has_indirect_call, 0
	.section	.AMDGPU.csdata,"",@progbits
; Kernel info:
; codeLenInByte = 6032
; TotalNumSgprs: 34
; NumVgprs: 70
; NumAgprs: 0
; TotalNumVgprs: 70
; ScratchSize: 0
; MemoryBound: 0
; FloatMode: 240
; IeeeMode: 1
; LDSByteSize: 7184 bytes/workgroup (compile time only)
; SGPRBlocks: 4
; VGPRBlocks: 8
; NumSGPRsForWavesPerEU: 34
; NumVGPRsForWavesPerEU: 70
; AccumOffset: 72
; Occupancy: 7
; WaveLimiterHint : 1
; COMPUTE_PGM_RSRC2:SCRATCH_EN: 0
; COMPUTE_PGM_RSRC2:USER_SGPR: 2
; COMPUTE_PGM_RSRC2:TRAP_HANDLER: 0
; COMPUTE_PGM_RSRC2:TGID_X_EN: 1
; COMPUTE_PGM_RSRC2:TGID_Y_EN: 0
; COMPUTE_PGM_RSRC2:TGID_Z_EN: 0
; COMPUTE_PGM_RSRC2:TIDIG_COMP_CNT: 0
; COMPUTE_PGM_RSRC3_GFX90A:ACCUM_OFFSET: 17
; COMPUTE_PGM_RSRC3_GFX90A:TG_SPLIT: 0
	.section	.text._ZN7rocprim17ROCPRIM_400000_NS6detail17trampoline_kernelINS0_14default_configENS1_25partition_config_selectorILNS1_17partition_subalgoE5ElNS0_10empty_typeEbEEZZNS1_14partition_implILS5_5ELb0ES3_mN6hipcub16HIPCUB_304000_NS21CountingInputIteratorIllEEPS6_NSA_22TransformInputIteratorIb7NonZeroIsEPslEENS0_5tupleIJPlS6_EEENSJ_IJSD_SD_EEES6_SK_JS6_EEE10hipError_tPvRmT3_T4_T5_T6_T7_T9_mT8_P12ihipStream_tbDpT10_ENKUlT_T0_E_clISt17integral_constantIbLb0EES16_EEDaS11_S12_EUlS11_E_NS1_11comp_targetILNS1_3genE5ELNS1_11target_archE942ELNS1_3gpuE9ELNS1_3repE0EEENS1_30default_config_static_selectorELNS0_4arch9wavefront6targetE1EEEvT1_,"axG",@progbits,_ZN7rocprim17ROCPRIM_400000_NS6detail17trampoline_kernelINS0_14default_configENS1_25partition_config_selectorILNS1_17partition_subalgoE5ElNS0_10empty_typeEbEEZZNS1_14partition_implILS5_5ELb0ES3_mN6hipcub16HIPCUB_304000_NS21CountingInputIteratorIllEEPS6_NSA_22TransformInputIteratorIb7NonZeroIsEPslEENS0_5tupleIJPlS6_EEENSJ_IJSD_SD_EEES6_SK_JS6_EEE10hipError_tPvRmT3_T4_T5_T6_T7_T9_mT8_P12ihipStream_tbDpT10_ENKUlT_T0_E_clISt17integral_constantIbLb0EES16_EEDaS11_S12_EUlS11_E_NS1_11comp_targetILNS1_3genE5ELNS1_11target_archE942ELNS1_3gpuE9ELNS1_3repE0EEENS1_30default_config_static_selectorELNS0_4arch9wavefront6targetE1EEEvT1_,comdat
	.protected	_ZN7rocprim17ROCPRIM_400000_NS6detail17trampoline_kernelINS0_14default_configENS1_25partition_config_selectorILNS1_17partition_subalgoE5ElNS0_10empty_typeEbEEZZNS1_14partition_implILS5_5ELb0ES3_mN6hipcub16HIPCUB_304000_NS21CountingInputIteratorIllEEPS6_NSA_22TransformInputIteratorIb7NonZeroIsEPslEENS0_5tupleIJPlS6_EEENSJ_IJSD_SD_EEES6_SK_JS6_EEE10hipError_tPvRmT3_T4_T5_T6_T7_T9_mT8_P12ihipStream_tbDpT10_ENKUlT_T0_E_clISt17integral_constantIbLb0EES16_EEDaS11_S12_EUlS11_E_NS1_11comp_targetILNS1_3genE5ELNS1_11target_archE942ELNS1_3gpuE9ELNS1_3repE0EEENS1_30default_config_static_selectorELNS0_4arch9wavefront6targetE1EEEvT1_ ; -- Begin function _ZN7rocprim17ROCPRIM_400000_NS6detail17trampoline_kernelINS0_14default_configENS1_25partition_config_selectorILNS1_17partition_subalgoE5ElNS0_10empty_typeEbEEZZNS1_14partition_implILS5_5ELb0ES3_mN6hipcub16HIPCUB_304000_NS21CountingInputIteratorIllEEPS6_NSA_22TransformInputIteratorIb7NonZeroIsEPslEENS0_5tupleIJPlS6_EEENSJ_IJSD_SD_EEES6_SK_JS6_EEE10hipError_tPvRmT3_T4_T5_T6_T7_T9_mT8_P12ihipStream_tbDpT10_ENKUlT_T0_E_clISt17integral_constantIbLb0EES16_EEDaS11_S12_EUlS11_E_NS1_11comp_targetILNS1_3genE5ELNS1_11target_archE942ELNS1_3gpuE9ELNS1_3repE0EEENS1_30default_config_static_selectorELNS0_4arch9wavefront6targetE1EEEvT1_
	.globl	_ZN7rocprim17ROCPRIM_400000_NS6detail17trampoline_kernelINS0_14default_configENS1_25partition_config_selectorILNS1_17partition_subalgoE5ElNS0_10empty_typeEbEEZZNS1_14partition_implILS5_5ELb0ES3_mN6hipcub16HIPCUB_304000_NS21CountingInputIteratorIllEEPS6_NSA_22TransformInputIteratorIb7NonZeroIsEPslEENS0_5tupleIJPlS6_EEENSJ_IJSD_SD_EEES6_SK_JS6_EEE10hipError_tPvRmT3_T4_T5_T6_T7_T9_mT8_P12ihipStream_tbDpT10_ENKUlT_T0_E_clISt17integral_constantIbLb0EES16_EEDaS11_S12_EUlS11_E_NS1_11comp_targetILNS1_3genE5ELNS1_11target_archE942ELNS1_3gpuE9ELNS1_3repE0EEENS1_30default_config_static_selectorELNS0_4arch9wavefront6targetE1EEEvT1_
	.p2align	8
	.type	_ZN7rocprim17ROCPRIM_400000_NS6detail17trampoline_kernelINS0_14default_configENS1_25partition_config_selectorILNS1_17partition_subalgoE5ElNS0_10empty_typeEbEEZZNS1_14partition_implILS5_5ELb0ES3_mN6hipcub16HIPCUB_304000_NS21CountingInputIteratorIllEEPS6_NSA_22TransformInputIteratorIb7NonZeroIsEPslEENS0_5tupleIJPlS6_EEENSJ_IJSD_SD_EEES6_SK_JS6_EEE10hipError_tPvRmT3_T4_T5_T6_T7_T9_mT8_P12ihipStream_tbDpT10_ENKUlT_T0_E_clISt17integral_constantIbLb0EES16_EEDaS11_S12_EUlS11_E_NS1_11comp_targetILNS1_3genE5ELNS1_11target_archE942ELNS1_3gpuE9ELNS1_3repE0EEENS1_30default_config_static_selectorELNS0_4arch9wavefront6targetE1EEEvT1_,@function
_ZN7rocprim17ROCPRIM_400000_NS6detail17trampoline_kernelINS0_14default_configENS1_25partition_config_selectorILNS1_17partition_subalgoE5ElNS0_10empty_typeEbEEZZNS1_14partition_implILS5_5ELb0ES3_mN6hipcub16HIPCUB_304000_NS21CountingInputIteratorIllEEPS6_NSA_22TransformInputIteratorIb7NonZeroIsEPslEENS0_5tupleIJPlS6_EEENSJ_IJSD_SD_EEES6_SK_JS6_EEE10hipError_tPvRmT3_T4_T5_T6_T7_T9_mT8_P12ihipStream_tbDpT10_ENKUlT_T0_E_clISt17integral_constantIbLb0EES16_EEDaS11_S12_EUlS11_E_NS1_11comp_targetILNS1_3genE5ELNS1_11target_archE942ELNS1_3gpuE9ELNS1_3repE0EEENS1_30default_config_static_selectorELNS0_4arch9wavefront6targetE1EEEvT1_: ; @_ZN7rocprim17ROCPRIM_400000_NS6detail17trampoline_kernelINS0_14default_configENS1_25partition_config_selectorILNS1_17partition_subalgoE5ElNS0_10empty_typeEbEEZZNS1_14partition_implILS5_5ELb0ES3_mN6hipcub16HIPCUB_304000_NS21CountingInputIteratorIllEEPS6_NSA_22TransformInputIteratorIb7NonZeroIsEPslEENS0_5tupleIJPlS6_EEENSJ_IJSD_SD_EEES6_SK_JS6_EEE10hipError_tPvRmT3_T4_T5_T6_T7_T9_mT8_P12ihipStream_tbDpT10_ENKUlT_T0_E_clISt17integral_constantIbLb0EES16_EEDaS11_S12_EUlS11_E_NS1_11comp_targetILNS1_3genE5ELNS1_11target_archE942ELNS1_3gpuE9ELNS1_3repE0EEENS1_30default_config_static_selectorELNS0_4arch9wavefront6targetE1EEEvT1_
; %bb.0:
	.section	.rodata,"a",@progbits
	.p2align	6, 0x0
	.amdhsa_kernel _ZN7rocprim17ROCPRIM_400000_NS6detail17trampoline_kernelINS0_14default_configENS1_25partition_config_selectorILNS1_17partition_subalgoE5ElNS0_10empty_typeEbEEZZNS1_14partition_implILS5_5ELb0ES3_mN6hipcub16HIPCUB_304000_NS21CountingInputIteratorIllEEPS6_NSA_22TransformInputIteratorIb7NonZeroIsEPslEENS0_5tupleIJPlS6_EEENSJ_IJSD_SD_EEES6_SK_JS6_EEE10hipError_tPvRmT3_T4_T5_T6_T7_T9_mT8_P12ihipStream_tbDpT10_ENKUlT_T0_E_clISt17integral_constantIbLb0EES16_EEDaS11_S12_EUlS11_E_NS1_11comp_targetILNS1_3genE5ELNS1_11target_archE942ELNS1_3gpuE9ELNS1_3repE0EEENS1_30default_config_static_selectorELNS0_4arch9wavefront6targetE1EEEvT1_
		.amdhsa_group_segment_fixed_size 0
		.amdhsa_private_segment_fixed_size 0
		.amdhsa_kernarg_size 120
		.amdhsa_user_sgpr_count 2
		.amdhsa_user_sgpr_dispatch_ptr 0
		.amdhsa_user_sgpr_queue_ptr 0
		.amdhsa_user_sgpr_kernarg_segment_ptr 1
		.amdhsa_user_sgpr_dispatch_id 0
		.amdhsa_user_sgpr_kernarg_preload_length 0
		.amdhsa_user_sgpr_kernarg_preload_offset 0
		.amdhsa_user_sgpr_private_segment_size 0
		.amdhsa_uses_dynamic_stack 0
		.amdhsa_enable_private_segment 0
		.amdhsa_system_sgpr_workgroup_id_x 1
		.amdhsa_system_sgpr_workgroup_id_y 0
		.amdhsa_system_sgpr_workgroup_id_z 0
		.amdhsa_system_sgpr_workgroup_info 0
		.amdhsa_system_vgpr_workitem_id 0
		.amdhsa_next_free_vgpr 1
		.amdhsa_next_free_sgpr 0
		.amdhsa_accum_offset 4
		.amdhsa_reserve_vcc 0
		.amdhsa_float_round_mode_32 0
		.amdhsa_float_round_mode_16_64 0
		.amdhsa_float_denorm_mode_32 3
		.amdhsa_float_denorm_mode_16_64 3
		.amdhsa_dx10_clamp 1
		.amdhsa_ieee_mode 1
		.amdhsa_fp16_overflow 0
		.amdhsa_tg_split 0
		.amdhsa_exception_fp_ieee_invalid_op 0
		.amdhsa_exception_fp_denorm_src 0
		.amdhsa_exception_fp_ieee_div_zero 0
		.amdhsa_exception_fp_ieee_overflow 0
		.amdhsa_exception_fp_ieee_underflow 0
		.amdhsa_exception_fp_ieee_inexact 0
		.amdhsa_exception_int_div_zero 0
	.end_amdhsa_kernel
	.section	.text._ZN7rocprim17ROCPRIM_400000_NS6detail17trampoline_kernelINS0_14default_configENS1_25partition_config_selectorILNS1_17partition_subalgoE5ElNS0_10empty_typeEbEEZZNS1_14partition_implILS5_5ELb0ES3_mN6hipcub16HIPCUB_304000_NS21CountingInputIteratorIllEEPS6_NSA_22TransformInputIteratorIb7NonZeroIsEPslEENS0_5tupleIJPlS6_EEENSJ_IJSD_SD_EEES6_SK_JS6_EEE10hipError_tPvRmT3_T4_T5_T6_T7_T9_mT8_P12ihipStream_tbDpT10_ENKUlT_T0_E_clISt17integral_constantIbLb0EES16_EEDaS11_S12_EUlS11_E_NS1_11comp_targetILNS1_3genE5ELNS1_11target_archE942ELNS1_3gpuE9ELNS1_3repE0EEENS1_30default_config_static_selectorELNS0_4arch9wavefront6targetE1EEEvT1_,"axG",@progbits,_ZN7rocprim17ROCPRIM_400000_NS6detail17trampoline_kernelINS0_14default_configENS1_25partition_config_selectorILNS1_17partition_subalgoE5ElNS0_10empty_typeEbEEZZNS1_14partition_implILS5_5ELb0ES3_mN6hipcub16HIPCUB_304000_NS21CountingInputIteratorIllEEPS6_NSA_22TransformInputIteratorIb7NonZeroIsEPslEENS0_5tupleIJPlS6_EEENSJ_IJSD_SD_EEES6_SK_JS6_EEE10hipError_tPvRmT3_T4_T5_T6_T7_T9_mT8_P12ihipStream_tbDpT10_ENKUlT_T0_E_clISt17integral_constantIbLb0EES16_EEDaS11_S12_EUlS11_E_NS1_11comp_targetILNS1_3genE5ELNS1_11target_archE942ELNS1_3gpuE9ELNS1_3repE0EEENS1_30default_config_static_selectorELNS0_4arch9wavefront6targetE1EEEvT1_,comdat
.Lfunc_end118:
	.size	_ZN7rocprim17ROCPRIM_400000_NS6detail17trampoline_kernelINS0_14default_configENS1_25partition_config_selectorILNS1_17partition_subalgoE5ElNS0_10empty_typeEbEEZZNS1_14partition_implILS5_5ELb0ES3_mN6hipcub16HIPCUB_304000_NS21CountingInputIteratorIllEEPS6_NSA_22TransformInputIteratorIb7NonZeroIsEPslEENS0_5tupleIJPlS6_EEENSJ_IJSD_SD_EEES6_SK_JS6_EEE10hipError_tPvRmT3_T4_T5_T6_T7_T9_mT8_P12ihipStream_tbDpT10_ENKUlT_T0_E_clISt17integral_constantIbLb0EES16_EEDaS11_S12_EUlS11_E_NS1_11comp_targetILNS1_3genE5ELNS1_11target_archE942ELNS1_3gpuE9ELNS1_3repE0EEENS1_30default_config_static_selectorELNS0_4arch9wavefront6targetE1EEEvT1_, .Lfunc_end118-_ZN7rocprim17ROCPRIM_400000_NS6detail17trampoline_kernelINS0_14default_configENS1_25partition_config_selectorILNS1_17partition_subalgoE5ElNS0_10empty_typeEbEEZZNS1_14partition_implILS5_5ELb0ES3_mN6hipcub16HIPCUB_304000_NS21CountingInputIteratorIllEEPS6_NSA_22TransformInputIteratorIb7NonZeroIsEPslEENS0_5tupleIJPlS6_EEENSJ_IJSD_SD_EEES6_SK_JS6_EEE10hipError_tPvRmT3_T4_T5_T6_T7_T9_mT8_P12ihipStream_tbDpT10_ENKUlT_T0_E_clISt17integral_constantIbLb0EES16_EEDaS11_S12_EUlS11_E_NS1_11comp_targetILNS1_3genE5ELNS1_11target_archE942ELNS1_3gpuE9ELNS1_3repE0EEENS1_30default_config_static_selectorELNS0_4arch9wavefront6targetE1EEEvT1_
                                        ; -- End function
	.set _ZN7rocprim17ROCPRIM_400000_NS6detail17trampoline_kernelINS0_14default_configENS1_25partition_config_selectorILNS1_17partition_subalgoE5ElNS0_10empty_typeEbEEZZNS1_14partition_implILS5_5ELb0ES3_mN6hipcub16HIPCUB_304000_NS21CountingInputIteratorIllEEPS6_NSA_22TransformInputIteratorIb7NonZeroIsEPslEENS0_5tupleIJPlS6_EEENSJ_IJSD_SD_EEES6_SK_JS6_EEE10hipError_tPvRmT3_T4_T5_T6_T7_T9_mT8_P12ihipStream_tbDpT10_ENKUlT_T0_E_clISt17integral_constantIbLb0EES16_EEDaS11_S12_EUlS11_E_NS1_11comp_targetILNS1_3genE5ELNS1_11target_archE942ELNS1_3gpuE9ELNS1_3repE0EEENS1_30default_config_static_selectorELNS0_4arch9wavefront6targetE1EEEvT1_.num_vgpr, 0
	.set _ZN7rocprim17ROCPRIM_400000_NS6detail17trampoline_kernelINS0_14default_configENS1_25partition_config_selectorILNS1_17partition_subalgoE5ElNS0_10empty_typeEbEEZZNS1_14partition_implILS5_5ELb0ES3_mN6hipcub16HIPCUB_304000_NS21CountingInputIteratorIllEEPS6_NSA_22TransformInputIteratorIb7NonZeroIsEPslEENS0_5tupleIJPlS6_EEENSJ_IJSD_SD_EEES6_SK_JS6_EEE10hipError_tPvRmT3_T4_T5_T6_T7_T9_mT8_P12ihipStream_tbDpT10_ENKUlT_T0_E_clISt17integral_constantIbLb0EES16_EEDaS11_S12_EUlS11_E_NS1_11comp_targetILNS1_3genE5ELNS1_11target_archE942ELNS1_3gpuE9ELNS1_3repE0EEENS1_30default_config_static_selectorELNS0_4arch9wavefront6targetE1EEEvT1_.num_agpr, 0
	.set _ZN7rocprim17ROCPRIM_400000_NS6detail17trampoline_kernelINS0_14default_configENS1_25partition_config_selectorILNS1_17partition_subalgoE5ElNS0_10empty_typeEbEEZZNS1_14partition_implILS5_5ELb0ES3_mN6hipcub16HIPCUB_304000_NS21CountingInputIteratorIllEEPS6_NSA_22TransformInputIteratorIb7NonZeroIsEPslEENS0_5tupleIJPlS6_EEENSJ_IJSD_SD_EEES6_SK_JS6_EEE10hipError_tPvRmT3_T4_T5_T6_T7_T9_mT8_P12ihipStream_tbDpT10_ENKUlT_T0_E_clISt17integral_constantIbLb0EES16_EEDaS11_S12_EUlS11_E_NS1_11comp_targetILNS1_3genE5ELNS1_11target_archE942ELNS1_3gpuE9ELNS1_3repE0EEENS1_30default_config_static_selectorELNS0_4arch9wavefront6targetE1EEEvT1_.numbered_sgpr, 0
	.set _ZN7rocprim17ROCPRIM_400000_NS6detail17trampoline_kernelINS0_14default_configENS1_25partition_config_selectorILNS1_17partition_subalgoE5ElNS0_10empty_typeEbEEZZNS1_14partition_implILS5_5ELb0ES3_mN6hipcub16HIPCUB_304000_NS21CountingInputIteratorIllEEPS6_NSA_22TransformInputIteratorIb7NonZeroIsEPslEENS0_5tupleIJPlS6_EEENSJ_IJSD_SD_EEES6_SK_JS6_EEE10hipError_tPvRmT3_T4_T5_T6_T7_T9_mT8_P12ihipStream_tbDpT10_ENKUlT_T0_E_clISt17integral_constantIbLb0EES16_EEDaS11_S12_EUlS11_E_NS1_11comp_targetILNS1_3genE5ELNS1_11target_archE942ELNS1_3gpuE9ELNS1_3repE0EEENS1_30default_config_static_selectorELNS0_4arch9wavefront6targetE1EEEvT1_.num_named_barrier, 0
	.set _ZN7rocprim17ROCPRIM_400000_NS6detail17trampoline_kernelINS0_14default_configENS1_25partition_config_selectorILNS1_17partition_subalgoE5ElNS0_10empty_typeEbEEZZNS1_14partition_implILS5_5ELb0ES3_mN6hipcub16HIPCUB_304000_NS21CountingInputIteratorIllEEPS6_NSA_22TransformInputIteratorIb7NonZeroIsEPslEENS0_5tupleIJPlS6_EEENSJ_IJSD_SD_EEES6_SK_JS6_EEE10hipError_tPvRmT3_T4_T5_T6_T7_T9_mT8_P12ihipStream_tbDpT10_ENKUlT_T0_E_clISt17integral_constantIbLb0EES16_EEDaS11_S12_EUlS11_E_NS1_11comp_targetILNS1_3genE5ELNS1_11target_archE942ELNS1_3gpuE9ELNS1_3repE0EEENS1_30default_config_static_selectorELNS0_4arch9wavefront6targetE1EEEvT1_.private_seg_size, 0
	.set _ZN7rocprim17ROCPRIM_400000_NS6detail17trampoline_kernelINS0_14default_configENS1_25partition_config_selectorILNS1_17partition_subalgoE5ElNS0_10empty_typeEbEEZZNS1_14partition_implILS5_5ELb0ES3_mN6hipcub16HIPCUB_304000_NS21CountingInputIteratorIllEEPS6_NSA_22TransformInputIteratorIb7NonZeroIsEPslEENS0_5tupleIJPlS6_EEENSJ_IJSD_SD_EEES6_SK_JS6_EEE10hipError_tPvRmT3_T4_T5_T6_T7_T9_mT8_P12ihipStream_tbDpT10_ENKUlT_T0_E_clISt17integral_constantIbLb0EES16_EEDaS11_S12_EUlS11_E_NS1_11comp_targetILNS1_3genE5ELNS1_11target_archE942ELNS1_3gpuE9ELNS1_3repE0EEENS1_30default_config_static_selectorELNS0_4arch9wavefront6targetE1EEEvT1_.uses_vcc, 0
	.set _ZN7rocprim17ROCPRIM_400000_NS6detail17trampoline_kernelINS0_14default_configENS1_25partition_config_selectorILNS1_17partition_subalgoE5ElNS0_10empty_typeEbEEZZNS1_14partition_implILS5_5ELb0ES3_mN6hipcub16HIPCUB_304000_NS21CountingInputIteratorIllEEPS6_NSA_22TransformInputIteratorIb7NonZeroIsEPslEENS0_5tupleIJPlS6_EEENSJ_IJSD_SD_EEES6_SK_JS6_EEE10hipError_tPvRmT3_T4_T5_T6_T7_T9_mT8_P12ihipStream_tbDpT10_ENKUlT_T0_E_clISt17integral_constantIbLb0EES16_EEDaS11_S12_EUlS11_E_NS1_11comp_targetILNS1_3genE5ELNS1_11target_archE942ELNS1_3gpuE9ELNS1_3repE0EEENS1_30default_config_static_selectorELNS0_4arch9wavefront6targetE1EEEvT1_.uses_flat_scratch, 0
	.set _ZN7rocprim17ROCPRIM_400000_NS6detail17trampoline_kernelINS0_14default_configENS1_25partition_config_selectorILNS1_17partition_subalgoE5ElNS0_10empty_typeEbEEZZNS1_14partition_implILS5_5ELb0ES3_mN6hipcub16HIPCUB_304000_NS21CountingInputIteratorIllEEPS6_NSA_22TransformInputIteratorIb7NonZeroIsEPslEENS0_5tupleIJPlS6_EEENSJ_IJSD_SD_EEES6_SK_JS6_EEE10hipError_tPvRmT3_T4_T5_T6_T7_T9_mT8_P12ihipStream_tbDpT10_ENKUlT_T0_E_clISt17integral_constantIbLb0EES16_EEDaS11_S12_EUlS11_E_NS1_11comp_targetILNS1_3genE5ELNS1_11target_archE942ELNS1_3gpuE9ELNS1_3repE0EEENS1_30default_config_static_selectorELNS0_4arch9wavefront6targetE1EEEvT1_.has_dyn_sized_stack, 0
	.set _ZN7rocprim17ROCPRIM_400000_NS6detail17trampoline_kernelINS0_14default_configENS1_25partition_config_selectorILNS1_17partition_subalgoE5ElNS0_10empty_typeEbEEZZNS1_14partition_implILS5_5ELb0ES3_mN6hipcub16HIPCUB_304000_NS21CountingInputIteratorIllEEPS6_NSA_22TransformInputIteratorIb7NonZeroIsEPslEENS0_5tupleIJPlS6_EEENSJ_IJSD_SD_EEES6_SK_JS6_EEE10hipError_tPvRmT3_T4_T5_T6_T7_T9_mT8_P12ihipStream_tbDpT10_ENKUlT_T0_E_clISt17integral_constantIbLb0EES16_EEDaS11_S12_EUlS11_E_NS1_11comp_targetILNS1_3genE5ELNS1_11target_archE942ELNS1_3gpuE9ELNS1_3repE0EEENS1_30default_config_static_selectorELNS0_4arch9wavefront6targetE1EEEvT1_.has_recursion, 0
	.set _ZN7rocprim17ROCPRIM_400000_NS6detail17trampoline_kernelINS0_14default_configENS1_25partition_config_selectorILNS1_17partition_subalgoE5ElNS0_10empty_typeEbEEZZNS1_14partition_implILS5_5ELb0ES3_mN6hipcub16HIPCUB_304000_NS21CountingInputIteratorIllEEPS6_NSA_22TransformInputIteratorIb7NonZeroIsEPslEENS0_5tupleIJPlS6_EEENSJ_IJSD_SD_EEES6_SK_JS6_EEE10hipError_tPvRmT3_T4_T5_T6_T7_T9_mT8_P12ihipStream_tbDpT10_ENKUlT_T0_E_clISt17integral_constantIbLb0EES16_EEDaS11_S12_EUlS11_E_NS1_11comp_targetILNS1_3genE5ELNS1_11target_archE942ELNS1_3gpuE9ELNS1_3repE0EEENS1_30default_config_static_selectorELNS0_4arch9wavefront6targetE1EEEvT1_.has_indirect_call, 0
	.section	.AMDGPU.csdata,"",@progbits
; Kernel info:
; codeLenInByte = 0
; TotalNumSgprs: 6
; NumVgprs: 0
; NumAgprs: 0
; TotalNumVgprs: 0
; ScratchSize: 0
; MemoryBound: 0
; FloatMode: 240
; IeeeMode: 1
; LDSByteSize: 0 bytes/workgroup (compile time only)
; SGPRBlocks: 0
; VGPRBlocks: 0
; NumSGPRsForWavesPerEU: 6
; NumVGPRsForWavesPerEU: 1
; AccumOffset: 4
; Occupancy: 8
; WaveLimiterHint : 0
; COMPUTE_PGM_RSRC2:SCRATCH_EN: 0
; COMPUTE_PGM_RSRC2:USER_SGPR: 2
; COMPUTE_PGM_RSRC2:TRAP_HANDLER: 0
; COMPUTE_PGM_RSRC2:TGID_X_EN: 1
; COMPUTE_PGM_RSRC2:TGID_Y_EN: 0
; COMPUTE_PGM_RSRC2:TGID_Z_EN: 0
; COMPUTE_PGM_RSRC2:TIDIG_COMP_CNT: 0
; COMPUTE_PGM_RSRC3_GFX90A:ACCUM_OFFSET: 0
; COMPUTE_PGM_RSRC3_GFX90A:TG_SPLIT: 0
	.section	.text._ZN7rocprim17ROCPRIM_400000_NS6detail17trampoline_kernelINS0_14default_configENS1_25partition_config_selectorILNS1_17partition_subalgoE5ElNS0_10empty_typeEbEEZZNS1_14partition_implILS5_5ELb0ES3_mN6hipcub16HIPCUB_304000_NS21CountingInputIteratorIllEEPS6_NSA_22TransformInputIteratorIb7NonZeroIsEPslEENS0_5tupleIJPlS6_EEENSJ_IJSD_SD_EEES6_SK_JS6_EEE10hipError_tPvRmT3_T4_T5_T6_T7_T9_mT8_P12ihipStream_tbDpT10_ENKUlT_T0_E_clISt17integral_constantIbLb0EES16_EEDaS11_S12_EUlS11_E_NS1_11comp_targetILNS1_3genE4ELNS1_11target_archE910ELNS1_3gpuE8ELNS1_3repE0EEENS1_30default_config_static_selectorELNS0_4arch9wavefront6targetE1EEEvT1_,"axG",@progbits,_ZN7rocprim17ROCPRIM_400000_NS6detail17trampoline_kernelINS0_14default_configENS1_25partition_config_selectorILNS1_17partition_subalgoE5ElNS0_10empty_typeEbEEZZNS1_14partition_implILS5_5ELb0ES3_mN6hipcub16HIPCUB_304000_NS21CountingInputIteratorIllEEPS6_NSA_22TransformInputIteratorIb7NonZeroIsEPslEENS0_5tupleIJPlS6_EEENSJ_IJSD_SD_EEES6_SK_JS6_EEE10hipError_tPvRmT3_T4_T5_T6_T7_T9_mT8_P12ihipStream_tbDpT10_ENKUlT_T0_E_clISt17integral_constantIbLb0EES16_EEDaS11_S12_EUlS11_E_NS1_11comp_targetILNS1_3genE4ELNS1_11target_archE910ELNS1_3gpuE8ELNS1_3repE0EEENS1_30default_config_static_selectorELNS0_4arch9wavefront6targetE1EEEvT1_,comdat
	.protected	_ZN7rocprim17ROCPRIM_400000_NS6detail17trampoline_kernelINS0_14default_configENS1_25partition_config_selectorILNS1_17partition_subalgoE5ElNS0_10empty_typeEbEEZZNS1_14partition_implILS5_5ELb0ES3_mN6hipcub16HIPCUB_304000_NS21CountingInputIteratorIllEEPS6_NSA_22TransformInputIteratorIb7NonZeroIsEPslEENS0_5tupleIJPlS6_EEENSJ_IJSD_SD_EEES6_SK_JS6_EEE10hipError_tPvRmT3_T4_T5_T6_T7_T9_mT8_P12ihipStream_tbDpT10_ENKUlT_T0_E_clISt17integral_constantIbLb0EES16_EEDaS11_S12_EUlS11_E_NS1_11comp_targetILNS1_3genE4ELNS1_11target_archE910ELNS1_3gpuE8ELNS1_3repE0EEENS1_30default_config_static_selectorELNS0_4arch9wavefront6targetE1EEEvT1_ ; -- Begin function _ZN7rocprim17ROCPRIM_400000_NS6detail17trampoline_kernelINS0_14default_configENS1_25partition_config_selectorILNS1_17partition_subalgoE5ElNS0_10empty_typeEbEEZZNS1_14partition_implILS5_5ELb0ES3_mN6hipcub16HIPCUB_304000_NS21CountingInputIteratorIllEEPS6_NSA_22TransformInputIteratorIb7NonZeroIsEPslEENS0_5tupleIJPlS6_EEENSJ_IJSD_SD_EEES6_SK_JS6_EEE10hipError_tPvRmT3_T4_T5_T6_T7_T9_mT8_P12ihipStream_tbDpT10_ENKUlT_T0_E_clISt17integral_constantIbLb0EES16_EEDaS11_S12_EUlS11_E_NS1_11comp_targetILNS1_3genE4ELNS1_11target_archE910ELNS1_3gpuE8ELNS1_3repE0EEENS1_30default_config_static_selectorELNS0_4arch9wavefront6targetE1EEEvT1_
	.globl	_ZN7rocprim17ROCPRIM_400000_NS6detail17trampoline_kernelINS0_14default_configENS1_25partition_config_selectorILNS1_17partition_subalgoE5ElNS0_10empty_typeEbEEZZNS1_14partition_implILS5_5ELb0ES3_mN6hipcub16HIPCUB_304000_NS21CountingInputIteratorIllEEPS6_NSA_22TransformInputIteratorIb7NonZeroIsEPslEENS0_5tupleIJPlS6_EEENSJ_IJSD_SD_EEES6_SK_JS6_EEE10hipError_tPvRmT3_T4_T5_T6_T7_T9_mT8_P12ihipStream_tbDpT10_ENKUlT_T0_E_clISt17integral_constantIbLb0EES16_EEDaS11_S12_EUlS11_E_NS1_11comp_targetILNS1_3genE4ELNS1_11target_archE910ELNS1_3gpuE8ELNS1_3repE0EEENS1_30default_config_static_selectorELNS0_4arch9wavefront6targetE1EEEvT1_
	.p2align	8
	.type	_ZN7rocprim17ROCPRIM_400000_NS6detail17trampoline_kernelINS0_14default_configENS1_25partition_config_selectorILNS1_17partition_subalgoE5ElNS0_10empty_typeEbEEZZNS1_14partition_implILS5_5ELb0ES3_mN6hipcub16HIPCUB_304000_NS21CountingInputIteratorIllEEPS6_NSA_22TransformInputIteratorIb7NonZeroIsEPslEENS0_5tupleIJPlS6_EEENSJ_IJSD_SD_EEES6_SK_JS6_EEE10hipError_tPvRmT3_T4_T5_T6_T7_T9_mT8_P12ihipStream_tbDpT10_ENKUlT_T0_E_clISt17integral_constantIbLb0EES16_EEDaS11_S12_EUlS11_E_NS1_11comp_targetILNS1_3genE4ELNS1_11target_archE910ELNS1_3gpuE8ELNS1_3repE0EEENS1_30default_config_static_selectorELNS0_4arch9wavefront6targetE1EEEvT1_,@function
_ZN7rocprim17ROCPRIM_400000_NS6detail17trampoline_kernelINS0_14default_configENS1_25partition_config_selectorILNS1_17partition_subalgoE5ElNS0_10empty_typeEbEEZZNS1_14partition_implILS5_5ELb0ES3_mN6hipcub16HIPCUB_304000_NS21CountingInputIteratorIllEEPS6_NSA_22TransformInputIteratorIb7NonZeroIsEPslEENS0_5tupleIJPlS6_EEENSJ_IJSD_SD_EEES6_SK_JS6_EEE10hipError_tPvRmT3_T4_T5_T6_T7_T9_mT8_P12ihipStream_tbDpT10_ENKUlT_T0_E_clISt17integral_constantIbLb0EES16_EEDaS11_S12_EUlS11_E_NS1_11comp_targetILNS1_3genE4ELNS1_11target_archE910ELNS1_3gpuE8ELNS1_3repE0EEENS1_30default_config_static_selectorELNS0_4arch9wavefront6targetE1EEEvT1_: ; @_ZN7rocprim17ROCPRIM_400000_NS6detail17trampoline_kernelINS0_14default_configENS1_25partition_config_selectorILNS1_17partition_subalgoE5ElNS0_10empty_typeEbEEZZNS1_14partition_implILS5_5ELb0ES3_mN6hipcub16HIPCUB_304000_NS21CountingInputIteratorIllEEPS6_NSA_22TransformInputIteratorIb7NonZeroIsEPslEENS0_5tupleIJPlS6_EEENSJ_IJSD_SD_EEES6_SK_JS6_EEE10hipError_tPvRmT3_T4_T5_T6_T7_T9_mT8_P12ihipStream_tbDpT10_ENKUlT_T0_E_clISt17integral_constantIbLb0EES16_EEDaS11_S12_EUlS11_E_NS1_11comp_targetILNS1_3genE4ELNS1_11target_archE910ELNS1_3gpuE8ELNS1_3repE0EEENS1_30default_config_static_selectorELNS0_4arch9wavefront6targetE1EEEvT1_
; %bb.0:
	.section	.rodata,"a",@progbits
	.p2align	6, 0x0
	.amdhsa_kernel _ZN7rocprim17ROCPRIM_400000_NS6detail17trampoline_kernelINS0_14default_configENS1_25partition_config_selectorILNS1_17partition_subalgoE5ElNS0_10empty_typeEbEEZZNS1_14partition_implILS5_5ELb0ES3_mN6hipcub16HIPCUB_304000_NS21CountingInputIteratorIllEEPS6_NSA_22TransformInputIteratorIb7NonZeroIsEPslEENS0_5tupleIJPlS6_EEENSJ_IJSD_SD_EEES6_SK_JS6_EEE10hipError_tPvRmT3_T4_T5_T6_T7_T9_mT8_P12ihipStream_tbDpT10_ENKUlT_T0_E_clISt17integral_constantIbLb0EES16_EEDaS11_S12_EUlS11_E_NS1_11comp_targetILNS1_3genE4ELNS1_11target_archE910ELNS1_3gpuE8ELNS1_3repE0EEENS1_30default_config_static_selectorELNS0_4arch9wavefront6targetE1EEEvT1_
		.amdhsa_group_segment_fixed_size 0
		.amdhsa_private_segment_fixed_size 0
		.amdhsa_kernarg_size 120
		.amdhsa_user_sgpr_count 2
		.amdhsa_user_sgpr_dispatch_ptr 0
		.amdhsa_user_sgpr_queue_ptr 0
		.amdhsa_user_sgpr_kernarg_segment_ptr 1
		.amdhsa_user_sgpr_dispatch_id 0
		.amdhsa_user_sgpr_kernarg_preload_length 0
		.amdhsa_user_sgpr_kernarg_preload_offset 0
		.amdhsa_user_sgpr_private_segment_size 0
		.amdhsa_uses_dynamic_stack 0
		.amdhsa_enable_private_segment 0
		.amdhsa_system_sgpr_workgroup_id_x 1
		.amdhsa_system_sgpr_workgroup_id_y 0
		.amdhsa_system_sgpr_workgroup_id_z 0
		.amdhsa_system_sgpr_workgroup_info 0
		.amdhsa_system_vgpr_workitem_id 0
		.amdhsa_next_free_vgpr 1
		.amdhsa_next_free_sgpr 0
		.amdhsa_accum_offset 4
		.amdhsa_reserve_vcc 0
		.amdhsa_float_round_mode_32 0
		.amdhsa_float_round_mode_16_64 0
		.amdhsa_float_denorm_mode_32 3
		.amdhsa_float_denorm_mode_16_64 3
		.amdhsa_dx10_clamp 1
		.amdhsa_ieee_mode 1
		.amdhsa_fp16_overflow 0
		.amdhsa_tg_split 0
		.amdhsa_exception_fp_ieee_invalid_op 0
		.amdhsa_exception_fp_denorm_src 0
		.amdhsa_exception_fp_ieee_div_zero 0
		.amdhsa_exception_fp_ieee_overflow 0
		.amdhsa_exception_fp_ieee_underflow 0
		.amdhsa_exception_fp_ieee_inexact 0
		.amdhsa_exception_int_div_zero 0
	.end_amdhsa_kernel
	.section	.text._ZN7rocprim17ROCPRIM_400000_NS6detail17trampoline_kernelINS0_14default_configENS1_25partition_config_selectorILNS1_17partition_subalgoE5ElNS0_10empty_typeEbEEZZNS1_14partition_implILS5_5ELb0ES3_mN6hipcub16HIPCUB_304000_NS21CountingInputIteratorIllEEPS6_NSA_22TransformInputIteratorIb7NonZeroIsEPslEENS0_5tupleIJPlS6_EEENSJ_IJSD_SD_EEES6_SK_JS6_EEE10hipError_tPvRmT3_T4_T5_T6_T7_T9_mT8_P12ihipStream_tbDpT10_ENKUlT_T0_E_clISt17integral_constantIbLb0EES16_EEDaS11_S12_EUlS11_E_NS1_11comp_targetILNS1_3genE4ELNS1_11target_archE910ELNS1_3gpuE8ELNS1_3repE0EEENS1_30default_config_static_selectorELNS0_4arch9wavefront6targetE1EEEvT1_,"axG",@progbits,_ZN7rocprim17ROCPRIM_400000_NS6detail17trampoline_kernelINS0_14default_configENS1_25partition_config_selectorILNS1_17partition_subalgoE5ElNS0_10empty_typeEbEEZZNS1_14partition_implILS5_5ELb0ES3_mN6hipcub16HIPCUB_304000_NS21CountingInputIteratorIllEEPS6_NSA_22TransformInputIteratorIb7NonZeroIsEPslEENS0_5tupleIJPlS6_EEENSJ_IJSD_SD_EEES6_SK_JS6_EEE10hipError_tPvRmT3_T4_T5_T6_T7_T9_mT8_P12ihipStream_tbDpT10_ENKUlT_T0_E_clISt17integral_constantIbLb0EES16_EEDaS11_S12_EUlS11_E_NS1_11comp_targetILNS1_3genE4ELNS1_11target_archE910ELNS1_3gpuE8ELNS1_3repE0EEENS1_30default_config_static_selectorELNS0_4arch9wavefront6targetE1EEEvT1_,comdat
.Lfunc_end119:
	.size	_ZN7rocprim17ROCPRIM_400000_NS6detail17trampoline_kernelINS0_14default_configENS1_25partition_config_selectorILNS1_17partition_subalgoE5ElNS0_10empty_typeEbEEZZNS1_14partition_implILS5_5ELb0ES3_mN6hipcub16HIPCUB_304000_NS21CountingInputIteratorIllEEPS6_NSA_22TransformInputIteratorIb7NonZeroIsEPslEENS0_5tupleIJPlS6_EEENSJ_IJSD_SD_EEES6_SK_JS6_EEE10hipError_tPvRmT3_T4_T5_T6_T7_T9_mT8_P12ihipStream_tbDpT10_ENKUlT_T0_E_clISt17integral_constantIbLb0EES16_EEDaS11_S12_EUlS11_E_NS1_11comp_targetILNS1_3genE4ELNS1_11target_archE910ELNS1_3gpuE8ELNS1_3repE0EEENS1_30default_config_static_selectorELNS0_4arch9wavefront6targetE1EEEvT1_, .Lfunc_end119-_ZN7rocprim17ROCPRIM_400000_NS6detail17trampoline_kernelINS0_14default_configENS1_25partition_config_selectorILNS1_17partition_subalgoE5ElNS0_10empty_typeEbEEZZNS1_14partition_implILS5_5ELb0ES3_mN6hipcub16HIPCUB_304000_NS21CountingInputIteratorIllEEPS6_NSA_22TransformInputIteratorIb7NonZeroIsEPslEENS0_5tupleIJPlS6_EEENSJ_IJSD_SD_EEES6_SK_JS6_EEE10hipError_tPvRmT3_T4_T5_T6_T7_T9_mT8_P12ihipStream_tbDpT10_ENKUlT_T0_E_clISt17integral_constantIbLb0EES16_EEDaS11_S12_EUlS11_E_NS1_11comp_targetILNS1_3genE4ELNS1_11target_archE910ELNS1_3gpuE8ELNS1_3repE0EEENS1_30default_config_static_selectorELNS0_4arch9wavefront6targetE1EEEvT1_
                                        ; -- End function
	.set _ZN7rocprim17ROCPRIM_400000_NS6detail17trampoline_kernelINS0_14default_configENS1_25partition_config_selectorILNS1_17partition_subalgoE5ElNS0_10empty_typeEbEEZZNS1_14partition_implILS5_5ELb0ES3_mN6hipcub16HIPCUB_304000_NS21CountingInputIteratorIllEEPS6_NSA_22TransformInputIteratorIb7NonZeroIsEPslEENS0_5tupleIJPlS6_EEENSJ_IJSD_SD_EEES6_SK_JS6_EEE10hipError_tPvRmT3_T4_T5_T6_T7_T9_mT8_P12ihipStream_tbDpT10_ENKUlT_T0_E_clISt17integral_constantIbLb0EES16_EEDaS11_S12_EUlS11_E_NS1_11comp_targetILNS1_3genE4ELNS1_11target_archE910ELNS1_3gpuE8ELNS1_3repE0EEENS1_30default_config_static_selectorELNS0_4arch9wavefront6targetE1EEEvT1_.num_vgpr, 0
	.set _ZN7rocprim17ROCPRIM_400000_NS6detail17trampoline_kernelINS0_14default_configENS1_25partition_config_selectorILNS1_17partition_subalgoE5ElNS0_10empty_typeEbEEZZNS1_14partition_implILS5_5ELb0ES3_mN6hipcub16HIPCUB_304000_NS21CountingInputIteratorIllEEPS6_NSA_22TransformInputIteratorIb7NonZeroIsEPslEENS0_5tupleIJPlS6_EEENSJ_IJSD_SD_EEES6_SK_JS6_EEE10hipError_tPvRmT3_T4_T5_T6_T7_T9_mT8_P12ihipStream_tbDpT10_ENKUlT_T0_E_clISt17integral_constantIbLb0EES16_EEDaS11_S12_EUlS11_E_NS1_11comp_targetILNS1_3genE4ELNS1_11target_archE910ELNS1_3gpuE8ELNS1_3repE0EEENS1_30default_config_static_selectorELNS0_4arch9wavefront6targetE1EEEvT1_.num_agpr, 0
	.set _ZN7rocprim17ROCPRIM_400000_NS6detail17trampoline_kernelINS0_14default_configENS1_25partition_config_selectorILNS1_17partition_subalgoE5ElNS0_10empty_typeEbEEZZNS1_14partition_implILS5_5ELb0ES3_mN6hipcub16HIPCUB_304000_NS21CountingInputIteratorIllEEPS6_NSA_22TransformInputIteratorIb7NonZeroIsEPslEENS0_5tupleIJPlS6_EEENSJ_IJSD_SD_EEES6_SK_JS6_EEE10hipError_tPvRmT3_T4_T5_T6_T7_T9_mT8_P12ihipStream_tbDpT10_ENKUlT_T0_E_clISt17integral_constantIbLb0EES16_EEDaS11_S12_EUlS11_E_NS1_11comp_targetILNS1_3genE4ELNS1_11target_archE910ELNS1_3gpuE8ELNS1_3repE0EEENS1_30default_config_static_selectorELNS0_4arch9wavefront6targetE1EEEvT1_.numbered_sgpr, 0
	.set _ZN7rocprim17ROCPRIM_400000_NS6detail17trampoline_kernelINS0_14default_configENS1_25partition_config_selectorILNS1_17partition_subalgoE5ElNS0_10empty_typeEbEEZZNS1_14partition_implILS5_5ELb0ES3_mN6hipcub16HIPCUB_304000_NS21CountingInputIteratorIllEEPS6_NSA_22TransformInputIteratorIb7NonZeroIsEPslEENS0_5tupleIJPlS6_EEENSJ_IJSD_SD_EEES6_SK_JS6_EEE10hipError_tPvRmT3_T4_T5_T6_T7_T9_mT8_P12ihipStream_tbDpT10_ENKUlT_T0_E_clISt17integral_constantIbLb0EES16_EEDaS11_S12_EUlS11_E_NS1_11comp_targetILNS1_3genE4ELNS1_11target_archE910ELNS1_3gpuE8ELNS1_3repE0EEENS1_30default_config_static_selectorELNS0_4arch9wavefront6targetE1EEEvT1_.num_named_barrier, 0
	.set _ZN7rocprim17ROCPRIM_400000_NS6detail17trampoline_kernelINS0_14default_configENS1_25partition_config_selectorILNS1_17partition_subalgoE5ElNS0_10empty_typeEbEEZZNS1_14partition_implILS5_5ELb0ES3_mN6hipcub16HIPCUB_304000_NS21CountingInputIteratorIllEEPS6_NSA_22TransformInputIteratorIb7NonZeroIsEPslEENS0_5tupleIJPlS6_EEENSJ_IJSD_SD_EEES6_SK_JS6_EEE10hipError_tPvRmT3_T4_T5_T6_T7_T9_mT8_P12ihipStream_tbDpT10_ENKUlT_T0_E_clISt17integral_constantIbLb0EES16_EEDaS11_S12_EUlS11_E_NS1_11comp_targetILNS1_3genE4ELNS1_11target_archE910ELNS1_3gpuE8ELNS1_3repE0EEENS1_30default_config_static_selectorELNS0_4arch9wavefront6targetE1EEEvT1_.private_seg_size, 0
	.set _ZN7rocprim17ROCPRIM_400000_NS6detail17trampoline_kernelINS0_14default_configENS1_25partition_config_selectorILNS1_17partition_subalgoE5ElNS0_10empty_typeEbEEZZNS1_14partition_implILS5_5ELb0ES3_mN6hipcub16HIPCUB_304000_NS21CountingInputIteratorIllEEPS6_NSA_22TransformInputIteratorIb7NonZeroIsEPslEENS0_5tupleIJPlS6_EEENSJ_IJSD_SD_EEES6_SK_JS6_EEE10hipError_tPvRmT3_T4_T5_T6_T7_T9_mT8_P12ihipStream_tbDpT10_ENKUlT_T0_E_clISt17integral_constantIbLb0EES16_EEDaS11_S12_EUlS11_E_NS1_11comp_targetILNS1_3genE4ELNS1_11target_archE910ELNS1_3gpuE8ELNS1_3repE0EEENS1_30default_config_static_selectorELNS0_4arch9wavefront6targetE1EEEvT1_.uses_vcc, 0
	.set _ZN7rocprim17ROCPRIM_400000_NS6detail17trampoline_kernelINS0_14default_configENS1_25partition_config_selectorILNS1_17partition_subalgoE5ElNS0_10empty_typeEbEEZZNS1_14partition_implILS5_5ELb0ES3_mN6hipcub16HIPCUB_304000_NS21CountingInputIteratorIllEEPS6_NSA_22TransformInputIteratorIb7NonZeroIsEPslEENS0_5tupleIJPlS6_EEENSJ_IJSD_SD_EEES6_SK_JS6_EEE10hipError_tPvRmT3_T4_T5_T6_T7_T9_mT8_P12ihipStream_tbDpT10_ENKUlT_T0_E_clISt17integral_constantIbLb0EES16_EEDaS11_S12_EUlS11_E_NS1_11comp_targetILNS1_3genE4ELNS1_11target_archE910ELNS1_3gpuE8ELNS1_3repE0EEENS1_30default_config_static_selectorELNS0_4arch9wavefront6targetE1EEEvT1_.uses_flat_scratch, 0
	.set _ZN7rocprim17ROCPRIM_400000_NS6detail17trampoline_kernelINS0_14default_configENS1_25partition_config_selectorILNS1_17partition_subalgoE5ElNS0_10empty_typeEbEEZZNS1_14partition_implILS5_5ELb0ES3_mN6hipcub16HIPCUB_304000_NS21CountingInputIteratorIllEEPS6_NSA_22TransformInputIteratorIb7NonZeroIsEPslEENS0_5tupleIJPlS6_EEENSJ_IJSD_SD_EEES6_SK_JS6_EEE10hipError_tPvRmT3_T4_T5_T6_T7_T9_mT8_P12ihipStream_tbDpT10_ENKUlT_T0_E_clISt17integral_constantIbLb0EES16_EEDaS11_S12_EUlS11_E_NS1_11comp_targetILNS1_3genE4ELNS1_11target_archE910ELNS1_3gpuE8ELNS1_3repE0EEENS1_30default_config_static_selectorELNS0_4arch9wavefront6targetE1EEEvT1_.has_dyn_sized_stack, 0
	.set _ZN7rocprim17ROCPRIM_400000_NS6detail17trampoline_kernelINS0_14default_configENS1_25partition_config_selectorILNS1_17partition_subalgoE5ElNS0_10empty_typeEbEEZZNS1_14partition_implILS5_5ELb0ES3_mN6hipcub16HIPCUB_304000_NS21CountingInputIteratorIllEEPS6_NSA_22TransformInputIteratorIb7NonZeroIsEPslEENS0_5tupleIJPlS6_EEENSJ_IJSD_SD_EEES6_SK_JS6_EEE10hipError_tPvRmT3_T4_T5_T6_T7_T9_mT8_P12ihipStream_tbDpT10_ENKUlT_T0_E_clISt17integral_constantIbLb0EES16_EEDaS11_S12_EUlS11_E_NS1_11comp_targetILNS1_3genE4ELNS1_11target_archE910ELNS1_3gpuE8ELNS1_3repE0EEENS1_30default_config_static_selectorELNS0_4arch9wavefront6targetE1EEEvT1_.has_recursion, 0
	.set _ZN7rocprim17ROCPRIM_400000_NS6detail17trampoline_kernelINS0_14default_configENS1_25partition_config_selectorILNS1_17partition_subalgoE5ElNS0_10empty_typeEbEEZZNS1_14partition_implILS5_5ELb0ES3_mN6hipcub16HIPCUB_304000_NS21CountingInputIteratorIllEEPS6_NSA_22TransformInputIteratorIb7NonZeroIsEPslEENS0_5tupleIJPlS6_EEENSJ_IJSD_SD_EEES6_SK_JS6_EEE10hipError_tPvRmT3_T4_T5_T6_T7_T9_mT8_P12ihipStream_tbDpT10_ENKUlT_T0_E_clISt17integral_constantIbLb0EES16_EEDaS11_S12_EUlS11_E_NS1_11comp_targetILNS1_3genE4ELNS1_11target_archE910ELNS1_3gpuE8ELNS1_3repE0EEENS1_30default_config_static_selectorELNS0_4arch9wavefront6targetE1EEEvT1_.has_indirect_call, 0
	.section	.AMDGPU.csdata,"",@progbits
; Kernel info:
; codeLenInByte = 0
; TotalNumSgprs: 6
; NumVgprs: 0
; NumAgprs: 0
; TotalNumVgprs: 0
; ScratchSize: 0
; MemoryBound: 0
; FloatMode: 240
; IeeeMode: 1
; LDSByteSize: 0 bytes/workgroup (compile time only)
; SGPRBlocks: 0
; VGPRBlocks: 0
; NumSGPRsForWavesPerEU: 6
; NumVGPRsForWavesPerEU: 1
; AccumOffset: 4
; Occupancy: 8
; WaveLimiterHint : 0
; COMPUTE_PGM_RSRC2:SCRATCH_EN: 0
; COMPUTE_PGM_RSRC2:USER_SGPR: 2
; COMPUTE_PGM_RSRC2:TRAP_HANDLER: 0
; COMPUTE_PGM_RSRC2:TGID_X_EN: 1
; COMPUTE_PGM_RSRC2:TGID_Y_EN: 0
; COMPUTE_PGM_RSRC2:TGID_Z_EN: 0
; COMPUTE_PGM_RSRC2:TIDIG_COMP_CNT: 0
; COMPUTE_PGM_RSRC3_GFX90A:ACCUM_OFFSET: 0
; COMPUTE_PGM_RSRC3_GFX90A:TG_SPLIT: 0
	.section	.text._ZN7rocprim17ROCPRIM_400000_NS6detail17trampoline_kernelINS0_14default_configENS1_25partition_config_selectorILNS1_17partition_subalgoE5ElNS0_10empty_typeEbEEZZNS1_14partition_implILS5_5ELb0ES3_mN6hipcub16HIPCUB_304000_NS21CountingInputIteratorIllEEPS6_NSA_22TransformInputIteratorIb7NonZeroIsEPslEENS0_5tupleIJPlS6_EEENSJ_IJSD_SD_EEES6_SK_JS6_EEE10hipError_tPvRmT3_T4_T5_T6_T7_T9_mT8_P12ihipStream_tbDpT10_ENKUlT_T0_E_clISt17integral_constantIbLb0EES16_EEDaS11_S12_EUlS11_E_NS1_11comp_targetILNS1_3genE3ELNS1_11target_archE908ELNS1_3gpuE7ELNS1_3repE0EEENS1_30default_config_static_selectorELNS0_4arch9wavefront6targetE1EEEvT1_,"axG",@progbits,_ZN7rocprim17ROCPRIM_400000_NS6detail17trampoline_kernelINS0_14default_configENS1_25partition_config_selectorILNS1_17partition_subalgoE5ElNS0_10empty_typeEbEEZZNS1_14partition_implILS5_5ELb0ES3_mN6hipcub16HIPCUB_304000_NS21CountingInputIteratorIllEEPS6_NSA_22TransformInputIteratorIb7NonZeroIsEPslEENS0_5tupleIJPlS6_EEENSJ_IJSD_SD_EEES6_SK_JS6_EEE10hipError_tPvRmT3_T4_T5_T6_T7_T9_mT8_P12ihipStream_tbDpT10_ENKUlT_T0_E_clISt17integral_constantIbLb0EES16_EEDaS11_S12_EUlS11_E_NS1_11comp_targetILNS1_3genE3ELNS1_11target_archE908ELNS1_3gpuE7ELNS1_3repE0EEENS1_30default_config_static_selectorELNS0_4arch9wavefront6targetE1EEEvT1_,comdat
	.protected	_ZN7rocprim17ROCPRIM_400000_NS6detail17trampoline_kernelINS0_14default_configENS1_25partition_config_selectorILNS1_17partition_subalgoE5ElNS0_10empty_typeEbEEZZNS1_14partition_implILS5_5ELb0ES3_mN6hipcub16HIPCUB_304000_NS21CountingInputIteratorIllEEPS6_NSA_22TransformInputIteratorIb7NonZeroIsEPslEENS0_5tupleIJPlS6_EEENSJ_IJSD_SD_EEES6_SK_JS6_EEE10hipError_tPvRmT3_T4_T5_T6_T7_T9_mT8_P12ihipStream_tbDpT10_ENKUlT_T0_E_clISt17integral_constantIbLb0EES16_EEDaS11_S12_EUlS11_E_NS1_11comp_targetILNS1_3genE3ELNS1_11target_archE908ELNS1_3gpuE7ELNS1_3repE0EEENS1_30default_config_static_selectorELNS0_4arch9wavefront6targetE1EEEvT1_ ; -- Begin function _ZN7rocprim17ROCPRIM_400000_NS6detail17trampoline_kernelINS0_14default_configENS1_25partition_config_selectorILNS1_17partition_subalgoE5ElNS0_10empty_typeEbEEZZNS1_14partition_implILS5_5ELb0ES3_mN6hipcub16HIPCUB_304000_NS21CountingInputIteratorIllEEPS6_NSA_22TransformInputIteratorIb7NonZeroIsEPslEENS0_5tupleIJPlS6_EEENSJ_IJSD_SD_EEES6_SK_JS6_EEE10hipError_tPvRmT3_T4_T5_T6_T7_T9_mT8_P12ihipStream_tbDpT10_ENKUlT_T0_E_clISt17integral_constantIbLb0EES16_EEDaS11_S12_EUlS11_E_NS1_11comp_targetILNS1_3genE3ELNS1_11target_archE908ELNS1_3gpuE7ELNS1_3repE0EEENS1_30default_config_static_selectorELNS0_4arch9wavefront6targetE1EEEvT1_
	.globl	_ZN7rocprim17ROCPRIM_400000_NS6detail17trampoline_kernelINS0_14default_configENS1_25partition_config_selectorILNS1_17partition_subalgoE5ElNS0_10empty_typeEbEEZZNS1_14partition_implILS5_5ELb0ES3_mN6hipcub16HIPCUB_304000_NS21CountingInputIteratorIllEEPS6_NSA_22TransformInputIteratorIb7NonZeroIsEPslEENS0_5tupleIJPlS6_EEENSJ_IJSD_SD_EEES6_SK_JS6_EEE10hipError_tPvRmT3_T4_T5_T6_T7_T9_mT8_P12ihipStream_tbDpT10_ENKUlT_T0_E_clISt17integral_constantIbLb0EES16_EEDaS11_S12_EUlS11_E_NS1_11comp_targetILNS1_3genE3ELNS1_11target_archE908ELNS1_3gpuE7ELNS1_3repE0EEENS1_30default_config_static_selectorELNS0_4arch9wavefront6targetE1EEEvT1_
	.p2align	8
	.type	_ZN7rocprim17ROCPRIM_400000_NS6detail17trampoline_kernelINS0_14default_configENS1_25partition_config_selectorILNS1_17partition_subalgoE5ElNS0_10empty_typeEbEEZZNS1_14partition_implILS5_5ELb0ES3_mN6hipcub16HIPCUB_304000_NS21CountingInputIteratorIllEEPS6_NSA_22TransformInputIteratorIb7NonZeroIsEPslEENS0_5tupleIJPlS6_EEENSJ_IJSD_SD_EEES6_SK_JS6_EEE10hipError_tPvRmT3_T4_T5_T6_T7_T9_mT8_P12ihipStream_tbDpT10_ENKUlT_T0_E_clISt17integral_constantIbLb0EES16_EEDaS11_S12_EUlS11_E_NS1_11comp_targetILNS1_3genE3ELNS1_11target_archE908ELNS1_3gpuE7ELNS1_3repE0EEENS1_30default_config_static_selectorELNS0_4arch9wavefront6targetE1EEEvT1_,@function
_ZN7rocprim17ROCPRIM_400000_NS6detail17trampoline_kernelINS0_14default_configENS1_25partition_config_selectorILNS1_17partition_subalgoE5ElNS0_10empty_typeEbEEZZNS1_14partition_implILS5_5ELb0ES3_mN6hipcub16HIPCUB_304000_NS21CountingInputIteratorIllEEPS6_NSA_22TransformInputIteratorIb7NonZeroIsEPslEENS0_5tupleIJPlS6_EEENSJ_IJSD_SD_EEES6_SK_JS6_EEE10hipError_tPvRmT3_T4_T5_T6_T7_T9_mT8_P12ihipStream_tbDpT10_ENKUlT_T0_E_clISt17integral_constantIbLb0EES16_EEDaS11_S12_EUlS11_E_NS1_11comp_targetILNS1_3genE3ELNS1_11target_archE908ELNS1_3gpuE7ELNS1_3repE0EEENS1_30default_config_static_selectorELNS0_4arch9wavefront6targetE1EEEvT1_: ; @_ZN7rocprim17ROCPRIM_400000_NS6detail17trampoline_kernelINS0_14default_configENS1_25partition_config_selectorILNS1_17partition_subalgoE5ElNS0_10empty_typeEbEEZZNS1_14partition_implILS5_5ELb0ES3_mN6hipcub16HIPCUB_304000_NS21CountingInputIteratorIllEEPS6_NSA_22TransformInputIteratorIb7NonZeroIsEPslEENS0_5tupleIJPlS6_EEENSJ_IJSD_SD_EEES6_SK_JS6_EEE10hipError_tPvRmT3_T4_T5_T6_T7_T9_mT8_P12ihipStream_tbDpT10_ENKUlT_T0_E_clISt17integral_constantIbLb0EES16_EEDaS11_S12_EUlS11_E_NS1_11comp_targetILNS1_3genE3ELNS1_11target_archE908ELNS1_3gpuE7ELNS1_3repE0EEENS1_30default_config_static_selectorELNS0_4arch9wavefront6targetE1EEEvT1_
; %bb.0:
	.section	.rodata,"a",@progbits
	.p2align	6, 0x0
	.amdhsa_kernel _ZN7rocprim17ROCPRIM_400000_NS6detail17trampoline_kernelINS0_14default_configENS1_25partition_config_selectorILNS1_17partition_subalgoE5ElNS0_10empty_typeEbEEZZNS1_14partition_implILS5_5ELb0ES3_mN6hipcub16HIPCUB_304000_NS21CountingInputIteratorIllEEPS6_NSA_22TransformInputIteratorIb7NonZeroIsEPslEENS0_5tupleIJPlS6_EEENSJ_IJSD_SD_EEES6_SK_JS6_EEE10hipError_tPvRmT3_T4_T5_T6_T7_T9_mT8_P12ihipStream_tbDpT10_ENKUlT_T0_E_clISt17integral_constantIbLb0EES16_EEDaS11_S12_EUlS11_E_NS1_11comp_targetILNS1_3genE3ELNS1_11target_archE908ELNS1_3gpuE7ELNS1_3repE0EEENS1_30default_config_static_selectorELNS0_4arch9wavefront6targetE1EEEvT1_
		.amdhsa_group_segment_fixed_size 0
		.amdhsa_private_segment_fixed_size 0
		.amdhsa_kernarg_size 120
		.amdhsa_user_sgpr_count 2
		.amdhsa_user_sgpr_dispatch_ptr 0
		.amdhsa_user_sgpr_queue_ptr 0
		.amdhsa_user_sgpr_kernarg_segment_ptr 1
		.amdhsa_user_sgpr_dispatch_id 0
		.amdhsa_user_sgpr_kernarg_preload_length 0
		.amdhsa_user_sgpr_kernarg_preload_offset 0
		.amdhsa_user_sgpr_private_segment_size 0
		.amdhsa_uses_dynamic_stack 0
		.amdhsa_enable_private_segment 0
		.amdhsa_system_sgpr_workgroup_id_x 1
		.amdhsa_system_sgpr_workgroup_id_y 0
		.amdhsa_system_sgpr_workgroup_id_z 0
		.amdhsa_system_sgpr_workgroup_info 0
		.amdhsa_system_vgpr_workitem_id 0
		.amdhsa_next_free_vgpr 1
		.amdhsa_next_free_sgpr 0
		.amdhsa_accum_offset 4
		.amdhsa_reserve_vcc 0
		.amdhsa_float_round_mode_32 0
		.amdhsa_float_round_mode_16_64 0
		.amdhsa_float_denorm_mode_32 3
		.amdhsa_float_denorm_mode_16_64 3
		.amdhsa_dx10_clamp 1
		.amdhsa_ieee_mode 1
		.amdhsa_fp16_overflow 0
		.amdhsa_tg_split 0
		.amdhsa_exception_fp_ieee_invalid_op 0
		.amdhsa_exception_fp_denorm_src 0
		.amdhsa_exception_fp_ieee_div_zero 0
		.amdhsa_exception_fp_ieee_overflow 0
		.amdhsa_exception_fp_ieee_underflow 0
		.amdhsa_exception_fp_ieee_inexact 0
		.amdhsa_exception_int_div_zero 0
	.end_amdhsa_kernel
	.section	.text._ZN7rocprim17ROCPRIM_400000_NS6detail17trampoline_kernelINS0_14default_configENS1_25partition_config_selectorILNS1_17partition_subalgoE5ElNS0_10empty_typeEbEEZZNS1_14partition_implILS5_5ELb0ES3_mN6hipcub16HIPCUB_304000_NS21CountingInputIteratorIllEEPS6_NSA_22TransformInputIteratorIb7NonZeroIsEPslEENS0_5tupleIJPlS6_EEENSJ_IJSD_SD_EEES6_SK_JS6_EEE10hipError_tPvRmT3_T4_T5_T6_T7_T9_mT8_P12ihipStream_tbDpT10_ENKUlT_T0_E_clISt17integral_constantIbLb0EES16_EEDaS11_S12_EUlS11_E_NS1_11comp_targetILNS1_3genE3ELNS1_11target_archE908ELNS1_3gpuE7ELNS1_3repE0EEENS1_30default_config_static_selectorELNS0_4arch9wavefront6targetE1EEEvT1_,"axG",@progbits,_ZN7rocprim17ROCPRIM_400000_NS6detail17trampoline_kernelINS0_14default_configENS1_25partition_config_selectorILNS1_17partition_subalgoE5ElNS0_10empty_typeEbEEZZNS1_14partition_implILS5_5ELb0ES3_mN6hipcub16HIPCUB_304000_NS21CountingInputIteratorIllEEPS6_NSA_22TransformInputIteratorIb7NonZeroIsEPslEENS0_5tupleIJPlS6_EEENSJ_IJSD_SD_EEES6_SK_JS6_EEE10hipError_tPvRmT3_T4_T5_T6_T7_T9_mT8_P12ihipStream_tbDpT10_ENKUlT_T0_E_clISt17integral_constantIbLb0EES16_EEDaS11_S12_EUlS11_E_NS1_11comp_targetILNS1_3genE3ELNS1_11target_archE908ELNS1_3gpuE7ELNS1_3repE0EEENS1_30default_config_static_selectorELNS0_4arch9wavefront6targetE1EEEvT1_,comdat
.Lfunc_end120:
	.size	_ZN7rocprim17ROCPRIM_400000_NS6detail17trampoline_kernelINS0_14default_configENS1_25partition_config_selectorILNS1_17partition_subalgoE5ElNS0_10empty_typeEbEEZZNS1_14partition_implILS5_5ELb0ES3_mN6hipcub16HIPCUB_304000_NS21CountingInputIteratorIllEEPS6_NSA_22TransformInputIteratorIb7NonZeroIsEPslEENS0_5tupleIJPlS6_EEENSJ_IJSD_SD_EEES6_SK_JS6_EEE10hipError_tPvRmT3_T4_T5_T6_T7_T9_mT8_P12ihipStream_tbDpT10_ENKUlT_T0_E_clISt17integral_constantIbLb0EES16_EEDaS11_S12_EUlS11_E_NS1_11comp_targetILNS1_3genE3ELNS1_11target_archE908ELNS1_3gpuE7ELNS1_3repE0EEENS1_30default_config_static_selectorELNS0_4arch9wavefront6targetE1EEEvT1_, .Lfunc_end120-_ZN7rocprim17ROCPRIM_400000_NS6detail17trampoline_kernelINS0_14default_configENS1_25partition_config_selectorILNS1_17partition_subalgoE5ElNS0_10empty_typeEbEEZZNS1_14partition_implILS5_5ELb0ES3_mN6hipcub16HIPCUB_304000_NS21CountingInputIteratorIllEEPS6_NSA_22TransformInputIteratorIb7NonZeroIsEPslEENS0_5tupleIJPlS6_EEENSJ_IJSD_SD_EEES6_SK_JS6_EEE10hipError_tPvRmT3_T4_T5_T6_T7_T9_mT8_P12ihipStream_tbDpT10_ENKUlT_T0_E_clISt17integral_constantIbLb0EES16_EEDaS11_S12_EUlS11_E_NS1_11comp_targetILNS1_3genE3ELNS1_11target_archE908ELNS1_3gpuE7ELNS1_3repE0EEENS1_30default_config_static_selectorELNS0_4arch9wavefront6targetE1EEEvT1_
                                        ; -- End function
	.set _ZN7rocprim17ROCPRIM_400000_NS6detail17trampoline_kernelINS0_14default_configENS1_25partition_config_selectorILNS1_17partition_subalgoE5ElNS0_10empty_typeEbEEZZNS1_14partition_implILS5_5ELb0ES3_mN6hipcub16HIPCUB_304000_NS21CountingInputIteratorIllEEPS6_NSA_22TransformInputIteratorIb7NonZeroIsEPslEENS0_5tupleIJPlS6_EEENSJ_IJSD_SD_EEES6_SK_JS6_EEE10hipError_tPvRmT3_T4_T5_T6_T7_T9_mT8_P12ihipStream_tbDpT10_ENKUlT_T0_E_clISt17integral_constantIbLb0EES16_EEDaS11_S12_EUlS11_E_NS1_11comp_targetILNS1_3genE3ELNS1_11target_archE908ELNS1_3gpuE7ELNS1_3repE0EEENS1_30default_config_static_selectorELNS0_4arch9wavefront6targetE1EEEvT1_.num_vgpr, 0
	.set _ZN7rocprim17ROCPRIM_400000_NS6detail17trampoline_kernelINS0_14default_configENS1_25partition_config_selectorILNS1_17partition_subalgoE5ElNS0_10empty_typeEbEEZZNS1_14partition_implILS5_5ELb0ES3_mN6hipcub16HIPCUB_304000_NS21CountingInputIteratorIllEEPS6_NSA_22TransformInputIteratorIb7NonZeroIsEPslEENS0_5tupleIJPlS6_EEENSJ_IJSD_SD_EEES6_SK_JS6_EEE10hipError_tPvRmT3_T4_T5_T6_T7_T9_mT8_P12ihipStream_tbDpT10_ENKUlT_T0_E_clISt17integral_constantIbLb0EES16_EEDaS11_S12_EUlS11_E_NS1_11comp_targetILNS1_3genE3ELNS1_11target_archE908ELNS1_3gpuE7ELNS1_3repE0EEENS1_30default_config_static_selectorELNS0_4arch9wavefront6targetE1EEEvT1_.num_agpr, 0
	.set _ZN7rocprim17ROCPRIM_400000_NS6detail17trampoline_kernelINS0_14default_configENS1_25partition_config_selectorILNS1_17partition_subalgoE5ElNS0_10empty_typeEbEEZZNS1_14partition_implILS5_5ELb0ES3_mN6hipcub16HIPCUB_304000_NS21CountingInputIteratorIllEEPS6_NSA_22TransformInputIteratorIb7NonZeroIsEPslEENS0_5tupleIJPlS6_EEENSJ_IJSD_SD_EEES6_SK_JS6_EEE10hipError_tPvRmT3_T4_T5_T6_T7_T9_mT8_P12ihipStream_tbDpT10_ENKUlT_T0_E_clISt17integral_constantIbLb0EES16_EEDaS11_S12_EUlS11_E_NS1_11comp_targetILNS1_3genE3ELNS1_11target_archE908ELNS1_3gpuE7ELNS1_3repE0EEENS1_30default_config_static_selectorELNS0_4arch9wavefront6targetE1EEEvT1_.numbered_sgpr, 0
	.set _ZN7rocprim17ROCPRIM_400000_NS6detail17trampoline_kernelINS0_14default_configENS1_25partition_config_selectorILNS1_17partition_subalgoE5ElNS0_10empty_typeEbEEZZNS1_14partition_implILS5_5ELb0ES3_mN6hipcub16HIPCUB_304000_NS21CountingInputIteratorIllEEPS6_NSA_22TransformInputIteratorIb7NonZeroIsEPslEENS0_5tupleIJPlS6_EEENSJ_IJSD_SD_EEES6_SK_JS6_EEE10hipError_tPvRmT3_T4_T5_T6_T7_T9_mT8_P12ihipStream_tbDpT10_ENKUlT_T0_E_clISt17integral_constantIbLb0EES16_EEDaS11_S12_EUlS11_E_NS1_11comp_targetILNS1_3genE3ELNS1_11target_archE908ELNS1_3gpuE7ELNS1_3repE0EEENS1_30default_config_static_selectorELNS0_4arch9wavefront6targetE1EEEvT1_.num_named_barrier, 0
	.set _ZN7rocprim17ROCPRIM_400000_NS6detail17trampoline_kernelINS0_14default_configENS1_25partition_config_selectorILNS1_17partition_subalgoE5ElNS0_10empty_typeEbEEZZNS1_14partition_implILS5_5ELb0ES3_mN6hipcub16HIPCUB_304000_NS21CountingInputIteratorIllEEPS6_NSA_22TransformInputIteratorIb7NonZeroIsEPslEENS0_5tupleIJPlS6_EEENSJ_IJSD_SD_EEES6_SK_JS6_EEE10hipError_tPvRmT3_T4_T5_T6_T7_T9_mT8_P12ihipStream_tbDpT10_ENKUlT_T0_E_clISt17integral_constantIbLb0EES16_EEDaS11_S12_EUlS11_E_NS1_11comp_targetILNS1_3genE3ELNS1_11target_archE908ELNS1_3gpuE7ELNS1_3repE0EEENS1_30default_config_static_selectorELNS0_4arch9wavefront6targetE1EEEvT1_.private_seg_size, 0
	.set _ZN7rocprim17ROCPRIM_400000_NS6detail17trampoline_kernelINS0_14default_configENS1_25partition_config_selectorILNS1_17partition_subalgoE5ElNS0_10empty_typeEbEEZZNS1_14partition_implILS5_5ELb0ES3_mN6hipcub16HIPCUB_304000_NS21CountingInputIteratorIllEEPS6_NSA_22TransformInputIteratorIb7NonZeroIsEPslEENS0_5tupleIJPlS6_EEENSJ_IJSD_SD_EEES6_SK_JS6_EEE10hipError_tPvRmT3_T4_T5_T6_T7_T9_mT8_P12ihipStream_tbDpT10_ENKUlT_T0_E_clISt17integral_constantIbLb0EES16_EEDaS11_S12_EUlS11_E_NS1_11comp_targetILNS1_3genE3ELNS1_11target_archE908ELNS1_3gpuE7ELNS1_3repE0EEENS1_30default_config_static_selectorELNS0_4arch9wavefront6targetE1EEEvT1_.uses_vcc, 0
	.set _ZN7rocprim17ROCPRIM_400000_NS6detail17trampoline_kernelINS0_14default_configENS1_25partition_config_selectorILNS1_17partition_subalgoE5ElNS0_10empty_typeEbEEZZNS1_14partition_implILS5_5ELb0ES3_mN6hipcub16HIPCUB_304000_NS21CountingInputIteratorIllEEPS6_NSA_22TransformInputIteratorIb7NonZeroIsEPslEENS0_5tupleIJPlS6_EEENSJ_IJSD_SD_EEES6_SK_JS6_EEE10hipError_tPvRmT3_T4_T5_T6_T7_T9_mT8_P12ihipStream_tbDpT10_ENKUlT_T0_E_clISt17integral_constantIbLb0EES16_EEDaS11_S12_EUlS11_E_NS1_11comp_targetILNS1_3genE3ELNS1_11target_archE908ELNS1_3gpuE7ELNS1_3repE0EEENS1_30default_config_static_selectorELNS0_4arch9wavefront6targetE1EEEvT1_.uses_flat_scratch, 0
	.set _ZN7rocprim17ROCPRIM_400000_NS6detail17trampoline_kernelINS0_14default_configENS1_25partition_config_selectorILNS1_17partition_subalgoE5ElNS0_10empty_typeEbEEZZNS1_14partition_implILS5_5ELb0ES3_mN6hipcub16HIPCUB_304000_NS21CountingInputIteratorIllEEPS6_NSA_22TransformInputIteratorIb7NonZeroIsEPslEENS0_5tupleIJPlS6_EEENSJ_IJSD_SD_EEES6_SK_JS6_EEE10hipError_tPvRmT3_T4_T5_T6_T7_T9_mT8_P12ihipStream_tbDpT10_ENKUlT_T0_E_clISt17integral_constantIbLb0EES16_EEDaS11_S12_EUlS11_E_NS1_11comp_targetILNS1_3genE3ELNS1_11target_archE908ELNS1_3gpuE7ELNS1_3repE0EEENS1_30default_config_static_selectorELNS0_4arch9wavefront6targetE1EEEvT1_.has_dyn_sized_stack, 0
	.set _ZN7rocprim17ROCPRIM_400000_NS6detail17trampoline_kernelINS0_14default_configENS1_25partition_config_selectorILNS1_17partition_subalgoE5ElNS0_10empty_typeEbEEZZNS1_14partition_implILS5_5ELb0ES3_mN6hipcub16HIPCUB_304000_NS21CountingInputIteratorIllEEPS6_NSA_22TransformInputIteratorIb7NonZeroIsEPslEENS0_5tupleIJPlS6_EEENSJ_IJSD_SD_EEES6_SK_JS6_EEE10hipError_tPvRmT3_T4_T5_T6_T7_T9_mT8_P12ihipStream_tbDpT10_ENKUlT_T0_E_clISt17integral_constantIbLb0EES16_EEDaS11_S12_EUlS11_E_NS1_11comp_targetILNS1_3genE3ELNS1_11target_archE908ELNS1_3gpuE7ELNS1_3repE0EEENS1_30default_config_static_selectorELNS0_4arch9wavefront6targetE1EEEvT1_.has_recursion, 0
	.set _ZN7rocprim17ROCPRIM_400000_NS6detail17trampoline_kernelINS0_14default_configENS1_25partition_config_selectorILNS1_17partition_subalgoE5ElNS0_10empty_typeEbEEZZNS1_14partition_implILS5_5ELb0ES3_mN6hipcub16HIPCUB_304000_NS21CountingInputIteratorIllEEPS6_NSA_22TransformInputIteratorIb7NonZeroIsEPslEENS0_5tupleIJPlS6_EEENSJ_IJSD_SD_EEES6_SK_JS6_EEE10hipError_tPvRmT3_T4_T5_T6_T7_T9_mT8_P12ihipStream_tbDpT10_ENKUlT_T0_E_clISt17integral_constantIbLb0EES16_EEDaS11_S12_EUlS11_E_NS1_11comp_targetILNS1_3genE3ELNS1_11target_archE908ELNS1_3gpuE7ELNS1_3repE0EEENS1_30default_config_static_selectorELNS0_4arch9wavefront6targetE1EEEvT1_.has_indirect_call, 0
	.section	.AMDGPU.csdata,"",@progbits
; Kernel info:
; codeLenInByte = 0
; TotalNumSgprs: 6
; NumVgprs: 0
; NumAgprs: 0
; TotalNumVgprs: 0
; ScratchSize: 0
; MemoryBound: 0
; FloatMode: 240
; IeeeMode: 1
; LDSByteSize: 0 bytes/workgroup (compile time only)
; SGPRBlocks: 0
; VGPRBlocks: 0
; NumSGPRsForWavesPerEU: 6
; NumVGPRsForWavesPerEU: 1
; AccumOffset: 4
; Occupancy: 8
; WaveLimiterHint : 0
; COMPUTE_PGM_RSRC2:SCRATCH_EN: 0
; COMPUTE_PGM_RSRC2:USER_SGPR: 2
; COMPUTE_PGM_RSRC2:TRAP_HANDLER: 0
; COMPUTE_PGM_RSRC2:TGID_X_EN: 1
; COMPUTE_PGM_RSRC2:TGID_Y_EN: 0
; COMPUTE_PGM_RSRC2:TGID_Z_EN: 0
; COMPUTE_PGM_RSRC2:TIDIG_COMP_CNT: 0
; COMPUTE_PGM_RSRC3_GFX90A:ACCUM_OFFSET: 0
; COMPUTE_PGM_RSRC3_GFX90A:TG_SPLIT: 0
	.section	.text._ZN7rocprim17ROCPRIM_400000_NS6detail17trampoline_kernelINS0_14default_configENS1_25partition_config_selectorILNS1_17partition_subalgoE5ElNS0_10empty_typeEbEEZZNS1_14partition_implILS5_5ELb0ES3_mN6hipcub16HIPCUB_304000_NS21CountingInputIteratorIllEEPS6_NSA_22TransformInputIteratorIb7NonZeroIsEPslEENS0_5tupleIJPlS6_EEENSJ_IJSD_SD_EEES6_SK_JS6_EEE10hipError_tPvRmT3_T4_T5_T6_T7_T9_mT8_P12ihipStream_tbDpT10_ENKUlT_T0_E_clISt17integral_constantIbLb0EES16_EEDaS11_S12_EUlS11_E_NS1_11comp_targetILNS1_3genE2ELNS1_11target_archE906ELNS1_3gpuE6ELNS1_3repE0EEENS1_30default_config_static_selectorELNS0_4arch9wavefront6targetE1EEEvT1_,"axG",@progbits,_ZN7rocprim17ROCPRIM_400000_NS6detail17trampoline_kernelINS0_14default_configENS1_25partition_config_selectorILNS1_17partition_subalgoE5ElNS0_10empty_typeEbEEZZNS1_14partition_implILS5_5ELb0ES3_mN6hipcub16HIPCUB_304000_NS21CountingInputIteratorIllEEPS6_NSA_22TransformInputIteratorIb7NonZeroIsEPslEENS0_5tupleIJPlS6_EEENSJ_IJSD_SD_EEES6_SK_JS6_EEE10hipError_tPvRmT3_T4_T5_T6_T7_T9_mT8_P12ihipStream_tbDpT10_ENKUlT_T0_E_clISt17integral_constantIbLb0EES16_EEDaS11_S12_EUlS11_E_NS1_11comp_targetILNS1_3genE2ELNS1_11target_archE906ELNS1_3gpuE6ELNS1_3repE0EEENS1_30default_config_static_selectorELNS0_4arch9wavefront6targetE1EEEvT1_,comdat
	.protected	_ZN7rocprim17ROCPRIM_400000_NS6detail17trampoline_kernelINS0_14default_configENS1_25partition_config_selectorILNS1_17partition_subalgoE5ElNS0_10empty_typeEbEEZZNS1_14partition_implILS5_5ELb0ES3_mN6hipcub16HIPCUB_304000_NS21CountingInputIteratorIllEEPS6_NSA_22TransformInputIteratorIb7NonZeroIsEPslEENS0_5tupleIJPlS6_EEENSJ_IJSD_SD_EEES6_SK_JS6_EEE10hipError_tPvRmT3_T4_T5_T6_T7_T9_mT8_P12ihipStream_tbDpT10_ENKUlT_T0_E_clISt17integral_constantIbLb0EES16_EEDaS11_S12_EUlS11_E_NS1_11comp_targetILNS1_3genE2ELNS1_11target_archE906ELNS1_3gpuE6ELNS1_3repE0EEENS1_30default_config_static_selectorELNS0_4arch9wavefront6targetE1EEEvT1_ ; -- Begin function _ZN7rocprim17ROCPRIM_400000_NS6detail17trampoline_kernelINS0_14default_configENS1_25partition_config_selectorILNS1_17partition_subalgoE5ElNS0_10empty_typeEbEEZZNS1_14partition_implILS5_5ELb0ES3_mN6hipcub16HIPCUB_304000_NS21CountingInputIteratorIllEEPS6_NSA_22TransformInputIteratorIb7NonZeroIsEPslEENS0_5tupleIJPlS6_EEENSJ_IJSD_SD_EEES6_SK_JS6_EEE10hipError_tPvRmT3_T4_T5_T6_T7_T9_mT8_P12ihipStream_tbDpT10_ENKUlT_T0_E_clISt17integral_constantIbLb0EES16_EEDaS11_S12_EUlS11_E_NS1_11comp_targetILNS1_3genE2ELNS1_11target_archE906ELNS1_3gpuE6ELNS1_3repE0EEENS1_30default_config_static_selectorELNS0_4arch9wavefront6targetE1EEEvT1_
	.globl	_ZN7rocprim17ROCPRIM_400000_NS6detail17trampoline_kernelINS0_14default_configENS1_25partition_config_selectorILNS1_17partition_subalgoE5ElNS0_10empty_typeEbEEZZNS1_14partition_implILS5_5ELb0ES3_mN6hipcub16HIPCUB_304000_NS21CountingInputIteratorIllEEPS6_NSA_22TransformInputIteratorIb7NonZeroIsEPslEENS0_5tupleIJPlS6_EEENSJ_IJSD_SD_EEES6_SK_JS6_EEE10hipError_tPvRmT3_T4_T5_T6_T7_T9_mT8_P12ihipStream_tbDpT10_ENKUlT_T0_E_clISt17integral_constantIbLb0EES16_EEDaS11_S12_EUlS11_E_NS1_11comp_targetILNS1_3genE2ELNS1_11target_archE906ELNS1_3gpuE6ELNS1_3repE0EEENS1_30default_config_static_selectorELNS0_4arch9wavefront6targetE1EEEvT1_
	.p2align	8
	.type	_ZN7rocprim17ROCPRIM_400000_NS6detail17trampoline_kernelINS0_14default_configENS1_25partition_config_selectorILNS1_17partition_subalgoE5ElNS0_10empty_typeEbEEZZNS1_14partition_implILS5_5ELb0ES3_mN6hipcub16HIPCUB_304000_NS21CountingInputIteratorIllEEPS6_NSA_22TransformInputIteratorIb7NonZeroIsEPslEENS0_5tupleIJPlS6_EEENSJ_IJSD_SD_EEES6_SK_JS6_EEE10hipError_tPvRmT3_T4_T5_T6_T7_T9_mT8_P12ihipStream_tbDpT10_ENKUlT_T0_E_clISt17integral_constantIbLb0EES16_EEDaS11_S12_EUlS11_E_NS1_11comp_targetILNS1_3genE2ELNS1_11target_archE906ELNS1_3gpuE6ELNS1_3repE0EEENS1_30default_config_static_selectorELNS0_4arch9wavefront6targetE1EEEvT1_,@function
_ZN7rocprim17ROCPRIM_400000_NS6detail17trampoline_kernelINS0_14default_configENS1_25partition_config_selectorILNS1_17partition_subalgoE5ElNS0_10empty_typeEbEEZZNS1_14partition_implILS5_5ELb0ES3_mN6hipcub16HIPCUB_304000_NS21CountingInputIteratorIllEEPS6_NSA_22TransformInputIteratorIb7NonZeroIsEPslEENS0_5tupleIJPlS6_EEENSJ_IJSD_SD_EEES6_SK_JS6_EEE10hipError_tPvRmT3_T4_T5_T6_T7_T9_mT8_P12ihipStream_tbDpT10_ENKUlT_T0_E_clISt17integral_constantIbLb0EES16_EEDaS11_S12_EUlS11_E_NS1_11comp_targetILNS1_3genE2ELNS1_11target_archE906ELNS1_3gpuE6ELNS1_3repE0EEENS1_30default_config_static_selectorELNS0_4arch9wavefront6targetE1EEEvT1_: ; @_ZN7rocprim17ROCPRIM_400000_NS6detail17trampoline_kernelINS0_14default_configENS1_25partition_config_selectorILNS1_17partition_subalgoE5ElNS0_10empty_typeEbEEZZNS1_14partition_implILS5_5ELb0ES3_mN6hipcub16HIPCUB_304000_NS21CountingInputIteratorIllEEPS6_NSA_22TransformInputIteratorIb7NonZeroIsEPslEENS0_5tupleIJPlS6_EEENSJ_IJSD_SD_EEES6_SK_JS6_EEE10hipError_tPvRmT3_T4_T5_T6_T7_T9_mT8_P12ihipStream_tbDpT10_ENKUlT_T0_E_clISt17integral_constantIbLb0EES16_EEDaS11_S12_EUlS11_E_NS1_11comp_targetILNS1_3genE2ELNS1_11target_archE906ELNS1_3gpuE6ELNS1_3repE0EEENS1_30default_config_static_selectorELNS0_4arch9wavefront6targetE1EEEvT1_
; %bb.0:
	.section	.rodata,"a",@progbits
	.p2align	6, 0x0
	.amdhsa_kernel _ZN7rocprim17ROCPRIM_400000_NS6detail17trampoline_kernelINS0_14default_configENS1_25partition_config_selectorILNS1_17partition_subalgoE5ElNS0_10empty_typeEbEEZZNS1_14partition_implILS5_5ELb0ES3_mN6hipcub16HIPCUB_304000_NS21CountingInputIteratorIllEEPS6_NSA_22TransformInputIteratorIb7NonZeroIsEPslEENS0_5tupleIJPlS6_EEENSJ_IJSD_SD_EEES6_SK_JS6_EEE10hipError_tPvRmT3_T4_T5_T6_T7_T9_mT8_P12ihipStream_tbDpT10_ENKUlT_T0_E_clISt17integral_constantIbLb0EES16_EEDaS11_S12_EUlS11_E_NS1_11comp_targetILNS1_3genE2ELNS1_11target_archE906ELNS1_3gpuE6ELNS1_3repE0EEENS1_30default_config_static_selectorELNS0_4arch9wavefront6targetE1EEEvT1_
		.amdhsa_group_segment_fixed_size 0
		.amdhsa_private_segment_fixed_size 0
		.amdhsa_kernarg_size 120
		.amdhsa_user_sgpr_count 2
		.amdhsa_user_sgpr_dispatch_ptr 0
		.amdhsa_user_sgpr_queue_ptr 0
		.amdhsa_user_sgpr_kernarg_segment_ptr 1
		.amdhsa_user_sgpr_dispatch_id 0
		.amdhsa_user_sgpr_kernarg_preload_length 0
		.amdhsa_user_sgpr_kernarg_preload_offset 0
		.amdhsa_user_sgpr_private_segment_size 0
		.amdhsa_uses_dynamic_stack 0
		.amdhsa_enable_private_segment 0
		.amdhsa_system_sgpr_workgroup_id_x 1
		.amdhsa_system_sgpr_workgroup_id_y 0
		.amdhsa_system_sgpr_workgroup_id_z 0
		.amdhsa_system_sgpr_workgroup_info 0
		.amdhsa_system_vgpr_workitem_id 0
		.amdhsa_next_free_vgpr 1
		.amdhsa_next_free_sgpr 0
		.amdhsa_accum_offset 4
		.amdhsa_reserve_vcc 0
		.amdhsa_float_round_mode_32 0
		.amdhsa_float_round_mode_16_64 0
		.amdhsa_float_denorm_mode_32 3
		.amdhsa_float_denorm_mode_16_64 3
		.amdhsa_dx10_clamp 1
		.amdhsa_ieee_mode 1
		.amdhsa_fp16_overflow 0
		.amdhsa_tg_split 0
		.amdhsa_exception_fp_ieee_invalid_op 0
		.amdhsa_exception_fp_denorm_src 0
		.amdhsa_exception_fp_ieee_div_zero 0
		.amdhsa_exception_fp_ieee_overflow 0
		.amdhsa_exception_fp_ieee_underflow 0
		.amdhsa_exception_fp_ieee_inexact 0
		.amdhsa_exception_int_div_zero 0
	.end_amdhsa_kernel
	.section	.text._ZN7rocprim17ROCPRIM_400000_NS6detail17trampoline_kernelINS0_14default_configENS1_25partition_config_selectorILNS1_17partition_subalgoE5ElNS0_10empty_typeEbEEZZNS1_14partition_implILS5_5ELb0ES3_mN6hipcub16HIPCUB_304000_NS21CountingInputIteratorIllEEPS6_NSA_22TransformInputIteratorIb7NonZeroIsEPslEENS0_5tupleIJPlS6_EEENSJ_IJSD_SD_EEES6_SK_JS6_EEE10hipError_tPvRmT3_T4_T5_T6_T7_T9_mT8_P12ihipStream_tbDpT10_ENKUlT_T0_E_clISt17integral_constantIbLb0EES16_EEDaS11_S12_EUlS11_E_NS1_11comp_targetILNS1_3genE2ELNS1_11target_archE906ELNS1_3gpuE6ELNS1_3repE0EEENS1_30default_config_static_selectorELNS0_4arch9wavefront6targetE1EEEvT1_,"axG",@progbits,_ZN7rocprim17ROCPRIM_400000_NS6detail17trampoline_kernelINS0_14default_configENS1_25partition_config_selectorILNS1_17partition_subalgoE5ElNS0_10empty_typeEbEEZZNS1_14partition_implILS5_5ELb0ES3_mN6hipcub16HIPCUB_304000_NS21CountingInputIteratorIllEEPS6_NSA_22TransformInputIteratorIb7NonZeroIsEPslEENS0_5tupleIJPlS6_EEENSJ_IJSD_SD_EEES6_SK_JS6_EEE10hipError_tPvRmT3_T4_T5_T6_T7_T9_mT8_P12ihipStream_tbDpT10_ENKUlT_T0_E_clISt17integral_constantIbLb0EES16_EEDaS11_S12_EUlS11_E_NS1_11comp_targetILNS1_3genE2ELNS1_11target_archE906ELNS1_3gpuE6ELNS1_3repE0EEENS1_30default_config_static_selectorELNS0_4arch9wavefront6targetE1EEEvT1_,comdat
.Lfunc_end121:
	.size	_ZN7rocprim17ROCPRIM_400000_NS6detail17trampoline_kernelINS0_14default_configENS1_25partition_config_selectorILNS1_17partition_subalgoE5ElNS0_10empty_typeEbEEZZNS1_14partition_implILS5_5ELb0ES3_mN6hipcub16HIPCUB_304000_NS21CountingInputIteratorIllEEPS6_NSA_22TransformInputIteratorIb7NonZeroIsEPslEENS0_5tupleIJPlS6_EEENSJ_IJSD_SD_EEES6_SK_JS6_EEE10hipError_tPvRmT3_T4_T5_T6_T7_T9_mT8_P12ihipStream_tbDpT10_ENKUlT_T0_E_clISt17integral_constantIbLb0EES16_EEDaS11_S12_EUlS11_E_NS1_11comp_targetILNS1_3genE2ELNS1_11target_archE906ELNS1_3gpuE6ELNS1_3repE0EEENS1_30default_config_static_selectorELNS0_4arch9wavefront6targetE1EEEvT1_, .Lfunc_end121-_ZN7rocprim17ROCPRIM_400000_NS6detail17trampoline_kernelINS0_14default_configENS1_25partition_config_selectorILNS1_17partition_subalgoE5ElNS0_10empty_typeEbEEZZNS1_14partition_implILS5_5ELb0ES3_mN6hipcub16HIPCUB_304000_NS21CountingInputIteratorIllEEPS6_NSA_22TransformInputIteratorIb7NonZeroIsEPslEENS0_5tupleIJPlS6_EEENSJ_IJSD_SD_EEES6_SK_JS6_EEE10hipError_tPvRmT3_T4_T5_T6_T7_T9_mT8_P12ihipStream_tbDpT10_ENKUlT_T0_E_clISt17integral_constantIbLb0EES16_EEDaS11_S12_EUlS11_E_NS1_11comp_targetILNS1_3genE2ELNS1_11target_archE906ELNS1_3gpuE6ELNS1_3repE0EEENS1_30default_config_static_selectorELNS0_4arch9wavefront6targetE1EEEvT1_
                                        ; -- End function
	.set _ZN7rocprim17ROCPRIM_400000_NS6detail17trampoline_kernelINS0_14default_configENS1_25partition_config_selectorILNS1_17partition_subalgoE5ElNS0_10empty_typeEbEEZZNS1_14partition_implILS5_5ELb0ES3_mN6hipcub16HIPCUB_304000_NS21CountingInputIteratorIllEEPS6_NSA_22TransformInputIteratorIb7NonZeroIsEPslEENS0_5tupleIJPlS6_EEENSJ_IJSD_SD_EEES6_SK_JS6_EEE10hipError_tPvRmT3_T4_T5_T6_T7_T9_mT8_P12ihipStream_tbDpT10_ENKUlT_T0_E_clISt17integral_constantIbLb0EES16_EEDaS11_S12_EUlS11_E_NS1_11comp_targetILNS1_3genE2ELNS1_11target_archE906ELNS1_3gpuE6ELNS1_3repE0EEENS1_30default_config_static_selectorELNS0_4arch9wavefront6targetE1EEEvT1_.num_vgpr, 0
	.set _ZN7rocprim17ROCPRIM_400000_NS6detail17trampoline_kernelINS0_14default_configENS1_25partition_config_selectorILNS1_17partition_subalgoE5ElNS0_10empty_typeEbEEZZNS1_14partition_implILS5_5ELb0ES3_mN6hipcub16HIPCUB_304000_NS21CountingInputIteratorIllEEPS6_NSA_22TransformInputIteratorIb7NonZeroIsEPslEENS0_5tupleIJPlS6_EEENSJ_IJSD_SD_EEES6_SK_JS6_EEE10hipError_tPvRmT3_T4_T5_T6_T7_T9_mT8_P12ihipStream_tbDpT10_ENKUlT_T0_E_clISt17integral_constantIbLb0EES16_EEDaS11_S12_EUlS11_E_NS1_11comp_targetILNS1_3genE2ELNS1_11target_archE906ELNS1_3gpuE6ELNS1_3repE0EEENS1_30default_config_static_selectorELNS0_4arch9wavefront6targetE1EEEvT1_.num_agpr, 0
	.set _ZN7rocprim17ROCPRIM_400000_NS6detail17trampoline_kernelINS0_14default_configENS1_25partition_config_selectorILNS1_17partition_subalgoE5ElNS0_10empty_typeEbEEZZNS1_14partition_implILS5_5ELb0ES3_mN6hipcub16HIPCUB_304000_NS21CountingInputIteratorIllEEPS6_NSA_22TransformInputIteratorIb7NonZeroIsEPslEENS0_5tupleIJPlS6_EEENSJ_IJSD_SD_EEES6_SK_JS6_EEE10hipError_tPvRmT3_T4_T5_T6_T7_T9_mT8_P12ihipStream_tbDpT10_ENKUlT_T0_E_clISt17integral_constantIbLb0EES16_EEDaS11_S12_EUlS11_E_NS1_11comp_targetILNS1_3genE2ELNS1_11target_archE906ELNS1_3gpuE6ELNS1_3repE0EEENS1_30default_config_static_selectorELNS0_4arch9wavefront6targetE1EEEvT1_.numbered_sgpr, 0
	.set _ZN7rocprim17ROCPRIM_400000_NS6detail17trampoline_kernelINS0_14default_configENS1_25partition_config_selectorILNS1_17partition_subalgoE5ElNS0_10empty_typeEbEEZZNS1_14partition_implILS5_5ELb0ES3_mN6hipcub16HIPCUB_304000_NS21CountingInputIteratorIllEEPS6_NSA_22TransformInputIteratorIb7NonZeroIsEPslEENS0_5tupleIJPlS6_EEENSJ_IJSD_SD_EEES6_SK_JS6_EEE10hipError_tPvRmT3_T4_T5_T6_T7_T9_mT8_P12ihipStream_tbDpT10_ENKUlT_T0_E_clISt17integral_constantIbLb0EES16_EEDaS11_S12_EUlS11_E_NS1_11comp_targetILNS1_3genE2ELNS1_11target_archE906ELNS1_3gpuE6ELNS1_3repE0EEENS1_30default_config_static_selectorELNS0_4arch9wavefront6targetE1EEEvT1_.num_named_barrier, 0
	.set _ZN7rocprim17ROCPRIM_400000_NS6detail17trampoline_kernelINS0_14default_configENS1_25partition_config_selectorILNS1_17partition_subalgoE5ElNS0_10empty_typeEbEEZZNS1_14partition_implILS5_5ELb0ES3_mN6hipcub16HIPCUB_304000_NS21CountingInputIteratorIllEEPS6_NSA_22TransformInputIteratorIb7NonZeroIsEPslEENS0_5tupleIJPlS6_EEENSJ_IJSD_SD_EEES6_SK_JS6_EEE10hipError_tPvRmT3_T4_T5_T6_T7_T9_mT8_P12ihipStream_tbDpT10_ENKUlT_T0_E_clISt17integral_constantIbLb0EES16_EEDaS11_S12_EUlS11_E_NS1_11comp_targetILNS1_3genE2ELNS1_11target_archE906ELNS1_3gpuE6ELNS1_3repE0EEENS1_30default_config_static_selectorELNS0_4arch9wavefront6targetE1EEEvT1_.private_seg_size, 0
	.set _ZN7rocprim17ROCPRIM_400000_NS6detail17trampoline_kernelINS0_14default_configENS1_25partition_config_selectorILNS1_17partition_subalgoE5ElNS0_10empty_typeEbEEZZNS1_14partition_implILS5_5ELb0ES3_mN6hipcub16HIPCUB_304000_NS21CountingInputIteratorIllEEPS6_NSA_22TransformInputIteratorIb7NonZeroIsEPslEENS0_5tupleIJPlS6_EEENSJ_IJSD_SD_EEES6_SK_JS6_EEE10hipError_tPvRmT3_T4_T5_T6_T7_T9_mT8_P12ihipStream_tbDpT10_ENKUlT_T0_E_clISt17integral_constantIbLb0EES16_EEDaS11_S12_EUlS11_E_NS1_11comp_targetILNS1_3genE2ELNS1_11target_archE906ELNS1_3gpuE6ELNS1_3repE0EEENS1_30default_config_static_selectorELNS0_4arch9wavefront6targetE1EEEvT1_.uses_vcc, 0
	.set _ZN7rocprim17ROCPRIM_400000_NS6detail17trampoline_kernelINS0_14default_configENS1_25partition_config_selectorILNS1_17partition_subalgoE5ElNS0_10empty_typeEbEEZZNS1_14partition_implILS5_5ELb0ES3_mN6hipcub16HIPCUB_304000_NS21CountingInputIteratorIllEEPS6_NSA_22TransformInputIteratorIb7NonZeroIsEPslEENS0_5tupleIJPlS6_EEENSJ_IJSD_SD_EEES6_SK_JS6_EEE10hipError_tPvRmT3_T4_T5_T6_T7_T9_mT8_P12ihipStream_tbDpT10_ENKUlT_T0_E_clISt17integral_constantIbLb0EES16_EEDaS11_S12_EUlS11_E_NS1_11comp_targetILNS1_3genE2ELNS1_11target_archE906ELNS1_3gpuE6ELNS1_3repE0EEENS1_30default_config_static_selectorELNS0_4arch9wavefront6targetE1EEEvT1_.uses_flat_scratch, 0
	.set _ZN7rocprim17ROCPRIM_400000_NS6detail17trampoline_kernelINS0_14default_configENS1_25partition_config_selectorILNS1_17partition_subalgoE5ElNS0_10empty_typeEbEEZZNS1_14partition_implILS5_5ELb0ES3_mN6hipcub16HIPCUB_304000_NS21CountingInputIteratorIllEEPS6_NSA_22TransformInputIteratorIb7NonZeroIsEPslEENS0_5tupleIJPlS6_EEENSJ_IJSD_SD_EEES6_SK_JS6_EEE10hipError_tPvRmT3_T4_T5_T6_T7_T9_mT8_P12ihipStream_tbDpT10_ENKUlT_T0_E_clISt17integral_constantIbLb0EES16_EEDaS11_S12_EUlS11_E_NS1_11comp_targetILNS1_3genE2ELNS1_11target_archE906ELNS1_3gpuE6ELNS1_3repE0EEENS1_30default_config_static_selectorELNS0_4arch9wavefront6targetE1EEEvT1_.has_dyn_sized_stack, 0
	.set _ZN7rocprim17ROCPRIM_400000_NS6detail17trampoline_kernelINS0_14default_configENS1_25partition_config_selectorILNS1_17partition_subalgoE5ElNS0_10empty_typeEbEEZZNS1_14partition_implILS5_5ELb0ES3_mN6hipcub16HIPCUB_304000_NS21CountingInputIteratorIllEEPS6_NSA_22TransformInputIteratorIb7NonZeroIsEPslEENS0_5tupleIJPlS6_EEENSJ_IJSD_SD_EEES6_SK_JS6_EEE10hipError_tPvRmT3_T4_T5_T6_T7_T9_mT8_P12ihipStream_tbDpT10_ENKUlT_T0_E_clISt17integral_constantIbLb0EES16_EEDaS11_S12_EUlS11_E_NS1_11comp_targetILNS1_3genE2ELNS1_11target_archE906ELNS1_3gpuE6ELNS1_3repE0EEENS1_30default_config_static_selectorELNS0_4arch9wavefront6targetE1EEEvT1_.has_recursion, 0
	.set _ZN7rocprim17ROCPRIM_400000_NS6detail17trampoline_kernelINS0_14default_configENS1_25partition_config_selectorILNS1_17partition_subalgoE5ElNS0_10empty_typeEbEEZZNS1_14partition_implILS5_5ELb0ES3_mN6hipcub16HIPCUB_304000_NS21CountingInputIteratorIllEEPS6_NSA_22TransformInputIteratorIb7NonZeroIsEPslEENS0_5tupleIJPlS6_EEENSJ_IJSD_SD_EEES6_SK_JS6_EEE10hipError_tPvRmT3_T4_T5_T6_T7_T9_mT8_P12ihipStream_tbDpT10_ENKUlT_T0_E_clISt17integral_constantIbLb0EES16_EEDaS11_S12_EUlS11_E_NS1_11comp_targetILNS1_3genE2ELNS1_11target_archE906ELNS1_3gpuE6ELNS1_3repE0EEENS1_30default_config_static_selectorELNS0_4arch9wavefront6targetE1EEEvT1_.has_indirect_call, 0
	.section	.AMDGPU.csdata,"",@progbits
; Kernel info:
; codeLenInByte = 0
; TotalNumSgprs: 6
; NumVgprs: 0
; NumAgprs: 0
; TotalNumVgprs: 0
; ScratchSize: 0
; MemoryBound: 0
; FloatMode: 240
; IeeeMode: 1
; LDSByteSize: 0 bytes/workgroup (compile time only)
; SGPRBlocks: 0
; VGPRBlocks: 0
; NumSGPRsForWavesPerEU: 6
; NumVGPRsForWavesPerEU: 1
; AccumOffset: 4
; Occupancy: 8
; WaveLimiterHint : 0
; COMPUTE_PGM_RSRC2:SCRATCH_EN: 0
; COMPUTE_PGM_RSRC2:USER_SGPR: 2
; COMPUTE_PGM_RSRC2:TRAP_HANDLER: 0
; COMPUTE_PGM_RSRC2:TGID_X_EN: 1
; COMPUTE_PGM_RSRC2:TGID_Y_EN: 0
; COMPUTE_PGM_RSRC2:TGID_Z_EN: 0
; COMPUTE_PGM_RSRC2:TIDIG_COMP_CNT: 0
; COMPUTE_PGM_RSRC3_GFX90A:ACCUM_OFFSET: 0
; COMPUTE_PGM_RSRC3_GFX90A:TG_SPLIT: 0
	.section	.text._ZN7rocprim17ROCPRIM_400000_NS6detail17trampoline_kernelINS0_14default_configENS1_25partition_config_selectorILNS1_17partition_subalgoE5ElNS0_10empty_typeEbEEZZNS1_14partition_implILS5_5ELb0ES3_mN6hipcub16HIPCUB_304000_NS21CountingInputIteratorIllEEPS6_NSA_22TransformInputIteratorIb7NonZeroIsEPslEENS0_5tupleIJPlS6_EEENSJ_IJSD_SD_EEES6_SK_JS6_EEE10hipError_tPvRmT3_T4_T5_T6_T7_T9_mT8_P12ihipStream_tbDpT10_ENKUlT_T0_E_clISt17integral_constantIbLb0EES16_EEDaS11_S12_EUlS11_E_NS1_11comp_targetILNS1_3genE10ELNS1_11target_archE1200ELNS1_3gpuE4ELNS1_3repE0EEENS1_30default_config_static_selectorELNS0_4arch9wavefront6targetE1EEEvT1_,"axG",@progbits,_ZN7rocprim17ROCPRIM_400000_NS6detail17trampoline_kernelINS0_14default_configENS1_25partition_config_selectorILNS1_17partition_subalgoE5ElNS0_10empty_typeEbEEZZNS1_14partition_implILS5_5ELb0ES3_mN6hipcub16HIPCUB_304000_NS21CountingInputIteratorIllEEPS6_NSA_22TransformInputIteratorIb7NonZeroIsEPslEENS0_5tupleIJPlS6_EEENSJ_IJSD_SD_EEES6_SK_JS6_EEE10hipError_tPvRmT3_T4_T5_T6_T7_T9_mT8_P12ihipStream_tbDpT10_ENKUlT_T0_E_clISt17integral_constantIbLb0EES16_EEDaS11_S12_EUlS11_E_NS1_11comp_targetILNS1_3genE10ELNS1_11target_archE1200ELNS1_3gpuE4ELNS1_3repE0EEENS1_30default_config_static_selectorELNS0_4arch9wavefront6targetE1EEEvT1_,comdat
	.protected	_ZN7rocprim17ROCPRIM_400000_NS6detail17trampoline_kernelINS0_14default_configENS1_25partition_config_selectorILNS1_17partition_subalgoE5ElNS0_10empty_typeEbEEZZNS1_14partition_implILS5_5ELb0ES3_mN6hipcub16HIPCUB_304000_NS21CountingInputIteratorIllEEPS6_NSA_22TransformInputIteratorIb7NonZeroIsEPslEENS0_5tupleIJPlS6_EEENSJ_IJSD_SD_EEES6_SK_JS6_EEE10hipError_tPvRmT3_T4_T5_T6_T7_T9_mT8_P12ihipStream_tbDpT10_ENKUlT_T0_E_clISt17integral_constantIbLb0EES16_EEDaS11_S12_EUlS11_E_NS1_11comp_targetILNS1_3genE10ELNS1_11target_archE1200ELNS1_3gpuE4ELNS1_3repE0EEENS1_30default_config_static_selectorELNS0_4arch9wavefront6targetE1EEEvT1_ ; -- Begin function _ZN7rocprim17ROCPRIM_400000_NS6detail17trampoline_kernelINS0_14default_configENS1_25partition_config_selectorILNS1_17partition_subalgoE5ElNS0_10empty_typeEbEEZZNS1_14partition_implILS5_5ELb0ES3_mN6hipcub16HIPCUB_304000_NS21CountingInputIteratorIllEEPS6_NSA_22TransformInputIteratorIb7NonZeroIsEPslEENS0_5tupleIJPlS6_EEENSJ_IJSD_SD_EEES6_SK_JS6_EEE10hipError_tPvRmT3_T4_T5_T6_T7_T9_mT8_P12ihipStream_tbDpT10_ENKUlT_T0_E_clISt17integral_constantIbLb0EES16_EEDaS11_S12_EUlS11_E_NS1_11comp_targetILNS1_3genE10ELNS1_11target_archE1200ELNS1_3gpuE4ELNS1_3repE0EEENS1_30default_config_static_selectorELNS0_4arch9wavefront6targetE1EEEvT1_
	.globl	_ZN7rocprim17ROCPRIM_400000_NS6detail17trampoline_kernelINS0_14default_configENS1_25partition_config_selectorILNS1_17partition_subalgoE5ElNS0_10empty_typeEbEEZZNS1_14partition_implILS5_5ELb0ES3_mN6hipcub16HIPCUB_304000_NS21CountingInputIteratorIllEEPS6_NSA_22TransformInputIteratorIb7NonZeroIsEPslEENS0_5tupleIJPlS6_EEENSJ_IJSD_SD_EEES6_SK_JS6_EEE10hipError_tPvRmT3_T4_T5_T6_T7_T9_mT8_P12ihipStream_tbDpT10_ENKUlT_T0_E_clISt17integral_constantIbLb0EES16_EEDaS11_S12_EUlS11_E_NS1_11comp_targetILNS1_3genE10ELNS1_11target_archE1200ELNS1_3gpuE4ELNS1_3repE0EEENS1_30default_config_static_selectorELNS0_4arch9wavefront6targetE1EEEvT1_
	.p2align	8
	.type	_ZN7rocprim17ROCPRIM_400000_NS6detail17trampoline_kernelINS0_14default_configENS1_25partition_config_selectorILNS1_17partition_subalgoE5ElNS0_10empty_typeEbEEZZNS1_14partition_implILS5_5ELb0ES3_mN6hipcub16HIPCUB_304000_NS21CountingInputIteratorIllEEPS6_NSA_22TransformInputIteratorIb7NonZeroIsEPslEENS0_5tupleIJPlS6_EEENSJ_IJSD_SD_EEES6_SK_JS6_EEE10hipError_tPvRmT3_T4_T5_T6_T7_T9_mT8_P12ihipStream_tbDpT10_ENKUlT_T0_E_clISt17integral_constantIbLb0EES16_EEDaS11_S12_EUlS11_E_NS1_11comp_targetILNS1_3genE10ELNS1_11target_archE1200ELNS1_3gpuE4ELNS1_3repE0EEENS1_30default_config_static_selectorELNS0_4arch9wavefront6targetE1EEEvT1_,@function
_ZN7rocprim17ROCPRIM_400000_NS6detail17trampoline_kernelINS0_14default_configENS1_25partition_config_selectorILNS1_17partition_subalgoE5ElNS0_10empty_typeEbEEZZNS1_14partition_implILS5_5ELb0ES3_mN6hipcub16HIPCUB_304000_NS21CountingInputIteratorIllEEPS6_NSA_22TransformInputIteratorIb7NonZeroIsEPslEENS0_5tupleIJPlS6_EEENSJ_IJSD_SD_EEES6_SK_JS6_EEE10hipError_tPvRmT3_T4_T5_T6_T7_T9_mT8_P12ihipStream_tbDpT10_ENKUlT_T0_E_clISt17integral_constantIbLb0EES16_EEDaS11_S12_EUlS11_E_NS1_11comp_targetILNS1_3genE10ELNS1_11target_archE1200ELNS1_3gpuE4ELNS1_3repE0EEENS1_30default_config_static_selectorELNS0_4arch9wavefront6targetE1EEEvT1_: ; @_ZN7rocprim17ROCPRIM_400000_NS6detail17trampoline_kernelINS0_14default_configENS1_25partition_config_selectorILNS1_17partition_subalgoE5ElNS0_10empty_typeEbEEZZNS1_14partition_implILS5_5ELb0ES3_mN6hipcub16HIPCUB_304000_NS21CountingInputIteratorIllEEPS6_NSA_22TransformInputIteratorIb7NonZeroIsEPslEENS0_5tupleIJPlS6_EEENSJ_IJSD_SD_EEES6_SK_JS6_EEE10hipError_tPvRmT3_T4_T5_T6_T7_T9_mT8_P12ihipStream_tbDpT10_ENKUlT_T0_E_clISt17integral_constantIbLb0EES16_EEDaS11_S12_EUlS11_E_NS1_11comp_targetILNS1_3genE10ELNS1_11target_archE1200ELNS1_3gpuE4ELNS1_3repE0EEENS1_30default_config_static_selectorELNS0_4arch9wavefront6targetE1EEEvT1_
; %bb.0:
	.section	.rodata,"a",@progbits
	.p2align	6, 0x0
	.amdhsa_kernel _ZN7rocprim17ROCPRIM_400000_NS6detail17trampoline_kernelINS0_14default_configENS1_25partition_config_selectorILNS1_17partition_subalgoE5ElNS0_10empty_typeEbEEZZNS1_14partition_implILS5_5ELb0ES3_mN6hipcub16HIPCUB_304000_NS21CountingInputIteratorIllEEPS6_NSA_22TransformInputIteratorIb7NonZeroIsEPslEENS0_5tupleIJPlS6_EEENSJ_IJSD_SD_EEES6_SK_JS6_EEE10hipError_tPvRmT3_T4_T5_T6_T7_T9_mT8_P12ihipStream_tbDpT10_ENKUlT_T0_E_clISt17integral_constantIbLb0EES16_EEDaS11_S12_EUlS11_E_NS1_11comp_targetILNS1_3genE10ELNS1_11target_archE1200ELNS1_3gpuE4ELNS1_3repE0EEENS1_30default_config_static_selectorELNS0_4arch9wavefront6targetE1EEEvT1_
		.amdhsa_group_segment_fixed_size 0
		.amdhsa_private_segment_fixed_size 0
		.amdhsa_kernarg_size 120
		.amdhsa_user_sgpr_count 2
		.amdhsa_user_sgpr_dispatch_ptr 0
		.amdhsa_user_sgpr_queue_ptr 0
		.amdhsa_user_sgpr_kernarg_segment_ptr 1
		.amdhsa_user_sgpr_dispatch_id 0
		.amdhsa_user_sgpr_kernarg_preload_length 0
		.amdhsa_user_sgpr_kernarg_preload_offset 0
		.amdhsa_user_sgpr_private_segment_size 0
		.amdhsa_uses_dynamic_stack 0
		.amdhsa_enable_private_segment 0
		.amdhsa_system_sgpr_workgroup_id_x 1
		.amdhsa_system_sgpr_workgroup_id_y 0
		.amdhsa_system_sgpr_workgroup_id_z 0
		.amdhsa_system_sgpr_workgroup_info 0
		.amdhsa_system_vgpr_workitem_id 0
		.amdhsa_next_free_vgpr 1
		.amdhsa_next_free_sgpr 0
		.amdhsa_accum_offset 4
		.amdhsa_reserve_vcc 0
		.amdhsa_float_round_mode_32 0
		.amdhsa_float_round_mode_16_64 0
		.amdhsa_float_denorm_mode_32 3
		.amdhsa_float_denorm_mode_16_64 3
		.amdhsa_dx10_clamp 1
		.amdhsa_ieee_mode 1
		.amdhsa_fp16_overflow 0
		.amdhsa_tg_split 0
		.amdhsa_exception_fp_ieee_invalid_op 0
		.amdhsa_exception_fp_denorm_src 0
		.amdhsa_exception_fp_ieee_div_zero 0
		.amdhsa_exception_fp_ieee_overflow 0
		.amdhsa_exception_fp_ieee_underflow 0
		.amdhsa_exception_fp_ieee_inexact 0
		.amdhsa_exception_int_div_zero 0
	.end_amdhsa_kernel
	.section	.text._ZN7rocprim17ROCPRIM_400000_NS6detail17trampoline_kernelINS0_14default_configENS1_25partition_config_selectorILNS1_17partition_subalgoE5ElNS0_10empty_typeEbEEZZNS1_14partition_implILS5_5ELb0ES3_mN6hipcub16HIPCUB_304000_NS21CountingInputIteratorIllEEPS6_NSA_22TransformInputIteratorIb7NonZeroIsEPslEENS0_5tupleIJPlS6_EEENSJ_IJSD_SD_EEES6_SK_JS6_EEE10hipError_tPvRmT3_T4_T5_T6_T7_T9_mT8_P12ihipStream_tbDpT10_ENKUlT_T0_E_clISt17integral_constantIbLb0EES16_EEDaS11_S12_EUlS11_E_NS1_11comp_targetILNS1_3genE10ELNS1_11target_archE1200ELNS1_3gpuE4ELNS1_3repE0EEENS1_30default_config_static_selectorELNS0_4arch9wavefront6targetE1EEEvT1_,"axG",@progbits,_ZN7rocprim17ROCPRIM_400000_NS6detail17trampoline_kernelINS0_14default_configENS1_25partition_config_selectorILNS1_17partition_subalgoE5ElNS0_10empty_typeEbEEZZNS1_14partition_implILS5_5ELb0ES3_mN6hipcub16HIPCUB_304000_NS21CountingInputIteratorIllEEPS6_NSA_22TransformInputIteratorIb7NonZeroIsEPslEENS0_5tupleIJPlS6_EEENSJ_IJSD_SD_EEES6_SK_JS6_EEE10hipError_tPvRmT3_T4_T5_T6_T7_T9_mT8_P12ihipStream_tbDpT10_ENKUlT_T0_E_clISt17integral_constantIbLb0EES16_EEDaS11_S12_EUlS11_E_NS1_11comp_targetILNS1_3genE10ELNS1_11target_archE1200ELNS1_3gpuE4ELNS1_3repE0EEENS1_30default_config_static_selectorELNS0_4arch9wavefront6targetE1EEEvT1_,comdat
.Lfunc_end122:
	.size	_ZN7rocprim17ROCPRIM_400000_NS6detail17trampoline_kernelINS0_14default_configENS1_25partition_config_selectorILNS1_17partition_subalgoE5ElNS0_10empty_typeEbEEZZNS1_14partition_implILS5_5ELb0ES3_mN6hipcub16HIPCUB_304000_NS21CountingInputIteratorIllEEPS6_NSA_22TransformInputIteratorIb7NonZeroIsEPslEENS0_5tupleIJPlS6_EEENSJ_IJSD_SD_EEES6_SK_JS6_EEE10hipError_tPvRmT3_T4_T5_T6_T7_T9_mT8_P12ihipStream_tbDpT10_ENKUlT_T0_E_clISt17integral_constantIbLb0EES16_EEDaS11_S12_EUlS11_E_NS1_11comp_targetILNS1_3genE10ELNS1_11target_archE1200ELNS1_3gpuE4ELNS1_3repE0EEENS1_30default_config_static_selectorELNS0_4arch9wavefront6targetE1EEEvT1_, .Lfunc_end122-_ZN7rocprim17ROCPRIM_400000_NS6detail17trampoline_kernelINS0_14default_configENS1_25partition_config_selectorILNS1_17partition_subalgoE5ElNS0_10empty_typeEbEEZZNS1_14partition_implILS5_5ELb0ES3_mN6hipcub16HIPCUB_304000_NS21CountingInputIteratorIllEEPS6_NSA_22TransformInputIteratorIb7NonZeroIsEPslEENS0_5tupleIJPlS6_EEENSJ_IJSD_SD_EEES6_SK_JS6_EEE10hipError_tPvRmT3_T4_T5_T6_T7_T9_mT8_P12ihipStream_tbDpT10_ENKUlT_T0_E_clISt17integral_constantIbLb0EES16_EEDaS11_S12_EUlS11_E_NS1_11comp_targetILNS1_3genE10ELNS1_11target_archE1200ELNS1_3gpuE4ELNS1_3repE0EEENS1_30default_config_static_selectorELNS0_4arch9wavefront6targetE1EEEvT1_
                                        ; -- End function
	.set _ZN7rocprim17ROCPRIM_400000_NS6detail17trampoline_kernelINS0_14default_configENS1_25partition_config_selectorILNS1_17partition_subalgoE5ElNS0_10empty_typeEbEEZZNS1_14partition_implILS5_5ELb0ES3_mN6hipcub16HIPCUB_304000_NS21CountingInputIteratorIllEEPS6_NSA_22TransformInputIteratorIb7NonZeroIsEPslEENS0_5tupleIJPlS6_EEENSJ_IJSD_SD_EEES6_SK_JS6_EEE10hipError_tPvRmT3_T4_T5_T6_T7_T9_mT8_P12ihipStream_tbDpT10_ENKUlT_T0_E_clISt17integral_constantIbLb0EES16_EEDaS11_S12_EUlS11_E_NS1_11comp_targetILNS1_3genE10ELNS1_11target_archE1200ELNS1_3gpuE4ELNS1_3repE0EEENS1_30default_config_static_selectorELNS0_4arch9wavefront6targetE1EEEvT1_.num_vgpr, 0
	.set _ZN7rocprim17ROCPRIM_400000_NS6detail17trampoline_kernelINS0_14default_configENS1_25partition_config_selectorILNS1_17partition_subalgoE5ElNS0_10empty_typeEbEEZZNS1_14partition_implILS5_5ELb0ES3_mN6hipcub16HIPCUB_304000_NS21CountingInputIteratorIllEEPS6_NSA_22TransformInputIteratorIb7NonZeroIsEPslEENS0_5tupleIJPlS6_EEENSJ_IJSD_SD_EEES6_SK_JS6_EEE10hipError_tPvRmT3_T4_T5_T6_T7_T9_mT8_P12ihipStream_tbDpT10_ENKUlT_T0_E_clISt17integral_constantIbLb0EES16_EEDaS11_S12_EUlS11_E_NS1_11comp_targetILNS1_3genE10ELNS1_11target_archE1200ELNS1_3gpuE4ELNS1_3repE0EEENS1_30default_config_static_selectorELNS0_4arch9wavefront6targetE1EEEvT1_.num_agpr, 0
	.set _ZN7rocprim17ROCPRIM_400000_NS6detail17trampoline_kernelINS0_14default_configENS1_25partition_config_selectorILNS1_17partition_subalgoE5ElNS0_10empty_typeEbEEZZNS1_14partition_implILS5_5ELb0ES3_mN6hipcub16HIPCUB_304000_NS21CountingInputIteratorIllEEPS6_NSA_22TransformInputIteratorIb7NonZeroIsEPslEENS0_5tupleIJPlS6_EEENSJ_IJSD_SD_EEES6_SK_JS6_EEE10hipError_tPvRmT3_T4_T5_T6_T7_T9_mT8_P12ihipStream_tbDpT10_ENKUlT_T0_E_clISt17integral_constantIbLb0EES16_EEDaS11_S12_EUlS11_E_NS1_11comp_targetILNS1_3genE10ELNS1_11target_archE1200ELNS1_3gpuE4ELNS1_3repE0EEENS1_30default_config_static_selectorELNS0_4arch9wavefront6targetE1EEEvT1_.numbered_sgpr, 0
	.set _ZN7rocprim17ROCPRIM_400000_NS6detail17trampoline_kernelINS0_14default_configENS1_25partition_config_selectorILNS1_17partition_subalgoE5ElNS0_10empty_typeEbEEZZNS1_14partition_implILS5_5ELb0ES3_mN6hipcub16HIPCUB_304000_NS21CountingInputIteratorIllEEPS6_NSA_22TransformInputIteratorIb7NonZeroIsEPslEENS0_5tupleIJPlS6_EEENSJ_IJSD_SD_EEES6_SK_JS6_EEE10hipError_tPvRmT3_T4_T5_T6_T7_T9_mT8_P12ihipStream_tbDpT10_ENKUlT_T0_E_clISt17integral_constantIbLb0EES16_EEDaS11_S12_EUlS11_E_NS1_11comp_targetILNS1_3genE10ELNS1_11target_archE1200ELNS1_3gpuE4ELNS1_3repE0EEENS1_30default_config_static_selectorELNS0_4arch9wavefront6targetE1EEEvT1_.num_named_barrier, 0
	.set _ZN7rocprim17ROCPRIM_400000_NS6detail17trampoline_kernelINS0_14default_configENS1_25partition_config_selectorILNS1_17partition_subalgoE5ElNS0_10empty_typeEbEEZZNS1_14partition_implILS5_5ELb0ES3_mN6hipcub16HIPCUB_304000_NS21CountingInputIteratorIllEEPS6_NSA_22TransformInputIteratorIb7NonZeroIsEPslEENS0_5tupleIJPlS6_EEENSJ_IJSD_SD_EEES6_SK_JS6_EEE10hipError_tPvRmT3_T4_T5_T6_T7_T9_mT8_P12ihipStream_tbDpT10_ENKUlT_T0_E_clISt17integral_constantIbLb0EES16_EEDaS11_S12_EUlS11_E_NS1_11comp_targetILNS1_3genE10ELNS1_11target_archE1200ELNS1_3gpuE4ELNS1_3repE0EEENS1_30default_config_static_selectorELNS0_4arch9wavefront6targetE1EEEvT1_.private_seg_size, 0
	.set _ZN7rocprim17ROCPRIM_400000_NS6detail17trampoline_kernelINS0_14default_configENS1_25partition_config_selectorILNS1_17partition_subalgoE5ElNS0_10empty_typeEbEEZZNS1_14partition_implILS5_5ELb0ES3_mN6hipcub16HIPCUB_304000_NS21CountingInputIteratorIllEEPS6_NSA_22TransformInputIteratorIb7NonZeroIsEPslEENS0_5tupleIJPlS6_EEENSJ_IJSD_SD_EEES6_SK_JS6_EEE10hipError_tPvRmT3_T4_T5_T6_T7_T9_mT8_P12ihipStream_tbDpT10_ENKUlT_T0_E_clISt17integral_constantIbLb0EES16_EEDaS11_S12_EUlS11_E_NS1_11comp_targetILNS1_3genE10ELNS1_11target_archE1200ELNS1_3gpuE4ELNS1_3repE0EEENS1_30default_config_static_selectorELNS0_4arch9wavefront6targetE1EEEvT1_.uses_vcc, 0
	.set _ZN7rocprim17ROCPRIM_400000_NS6detail17trampoline_kernelINS0_14default_configENS1_25partition_config_selectorILNS1_17partition_subalgoE5ElNS0_10empty_typeEbEEZZNS1_14partition_implILS5_5ELb0ES3_mN6hipcub16HIPCUB_304000_NS21CountingInputIteratorIllEEPS6_NSA_22TransformInputIteratorIb7NonZeroIsEPslEENS0_5tupleIJPlS6_EEENSJ_IJSD_SD_EEES6_SK_JS6_EEE10hipError_tPvRmT3_T4_T5_T6_T7_T9_mT8_P12ihipStream_tbDpT10_ENKUlT_T0_E_clISt17integral_constantIbLb0EES16_EEDaS11_S12_EUlS11_E_NS1_11comp_targetILNS1_3genE10ELNS1_11target_archE1200ELNS1_3gpuE4ELNS1_3repE0EEENS1_30default_config_static_selectorELNS0_4arch9wavefront6targetE1EEEvT1_.uses_flat_scratch, 0
	.set _ZN7rocprim17ROCPRIM_400000_NS6detail17trampoline_kernelINS0_14default_configENS1_25partition_config_selectorILNS1_17partition_subalgoE5ElNS0_10empty_typeEbEEZZNS1_14partition_implILS5_5ELb0ES3_mN6hipcub16HIPCUB_304000_NS21CountingInputIteratorIllEEPS6_NSA_22TransformInputIteratorIb7NonZeroIsEPslEENS0_5tupleIJPlS6_EEENSJ_IJSD_SD_EEES6_SK_JS6_EEE10hipError_tPvRmT3_T4_T5_T6_T7_T9_mT8_P12ihipStream_tbDpT10_ENKUlT_T0_E_clISt17integral_constantIbLb0EES16_EEDaS11_S12_EUlS11_E_NS1_11comp_targetILNS1_3genE10ELNS1_11target_archE1200ELNS1_3gpuE4ELNS1_3repE0EEENS1_30default_config_static_selectorELNS0_4arch9wavefront6targetE1EEEvT1_.has_dyn_sized_stack, 0
	.set _ZN7rocprim17ROCPRIM_400000_NS6detail17trampoline_kernelINS0_14default_configENS1_25partition_config_selectorILNS1_17partition_subalgoE5ElNS0_10empty_typeEbEEZZNS1_14partition_implILS5_5ELb0ES3_mN6hipcub16HIPCUB_304000_NS21CountingInputIteratorIllEEPS6_NSA_22TransformInputIteratorIb7NonZeroIsEPslEENS0_5tupleIJPlS6_EEENSJ_IJSD_SD_EEES6_SK_JS6_EEE10hipError_tPvRmT3_T4_T5_T6_T7_T9_mT8_P12ihipStream_tbDpT10_ENKUlT_T0_E_clISt17integral_constantIbLb0EES16_EEDaS11_S12_EUlS11_E_NS1_11comp_targetILNS1_3genE10ELNS1_11target_archE1200ELNS1_3gpuE4ELNS1_3repE0EEENS1_30default_config_static_selectorELNS0_4arch9wavefront6targetE1EEEvT1_.has_recursion, 0
	.set _ZN7rocprim17ROCPRIM_400000_NS6detail17trampoline_kernelINS0_14default_configENS1_25partition_config_selectorILNS1_17partition_subalgoE5ElNS0_10empty_typeEbEEZZNS1_14partition_implILS5_5ELb0ES3_mN6hipcub16HIPCUB_304000_NS21CountingInputIteratorIllEEPS6_NSA_22TransformInputIteratorIb7NonZeroIsEPslEENS0_5tupleIJPlS6_EEENSJ_IJSD_SD_EEES6_SK_JS6_EEE10hipError_tPvRmT3_T4_T5_T6_T7_T9_mT8_P12ihipStream_tbDpT10_ENKUlT_T0_E_clISt17integral_constantIbLb0EES16_EEDaS11_S12_EUlS11_E_NS1_11comp_targetILNS1_3genE10ELNS1_11target_archE1200ELNS1_3gpuE4ELNS1_3repE0EEENS1_30default_config_static_selectorELNS0_4arch9wavefront6targetE1EEEvT1_.has_indirect_call, 0
	.section	.AMDGPU.csdata,"",@progbits
; Kernel info:
; codeLenInByte = 0
; TotalNumSgprs: 6
; NumVgprs: 0
; NumAgprs: 0
; TotalNumVgprs: 0
; ScratchSize: 0
; MemoryBound: 0
; FloatMode: 240
; IeeeMode: 1
; LDSByteSize: 0 bytes/workgroup (compile time only)
; SGPRBlocks: 0
; VGPRBlocks: 0
; NumSGPRsForWavesPerEU: 6
; NumVGPRsForWavesPerEU: 1
; AccumOffset: 4
; Occupancy: 8
; WaveLimiterHint : 0
; COMPUTE_PGM_RSRC2:SCRATCH_EN: 0
; COMPUTE_PGM_RSRC2:USER_SGPR: 2
; COMPUTE_PGM_RSRC2:TRAP_HANDLER: 0
; COMPUTE_PGM_RSRC2:TGID_X_EN: 1
; COMPUTE_PGM_RSRC2:TGID_Y_EN: 0
; COMPUTE_PGM_RSRC2:TGID_Z_EN: 0
; COMPUTE_PGM_RSRC2:TIDIG_COMP_CNT: 0
; COMPUTE_PGM_RSRC3_GFX90A:ACCUM_OFFSET: 0
; COMPUTE_PGM_RSRC3_GFX90A:TG_SPLIT: 0
	.section	.text._ZN7rocprim17ROCPRIM_400000_NS6detail17trampoline_kernelINS0_14default_configENS1_25partition_config_selectorILNS1_17partition_subalgoE5ElNS0_10empty_typeEbEEZZNS1_14partition_implILS5_5ELb0ES3_mN6hipcub16HIPCUB_304000_NS21CountingInputIteratorIllEEPS6_NSA_22TransformInputIteratorIb7NonZeroIsEPslEENS0_5tupleIJPlS6_EEENSJ_IJSD_SD_EEES6_SK_JS6_EEE10hipError_tPvRmT3_T4_T5_T6_T7_T9_mT8_P12ihipStream_tbDpT10_ENKUlT_T0_E_clISt17integral_constantIbLb0EES16_EEDaS11_S12_EUlS11_E_NS1_11comp_targetILNS1_3genE9ELNS1_11target_archE1100ELNS1_3gpuE3ELNS1_3repE0EEENS1_30default_config_static_selectorELNS0_4arch9wavefront6targetE1EEEvT1_,"axG",@progbits,_ZN7rocprim17ROCPRIM_400000_NS6detail17trampoline_kernelINS0_14default_configENS1_25partition_config_selectorILNS1_17partition_subalgoE5ElNS0_10empty_typeEbEEZZNS1_14partition_implILS5_5ELb0ES3_mN6hipcub16HIPCUB_304000_NS21CountingInputIteratorIllEEPS6_NSA_22TransformInputIteratorIb7NonZeroIsEPslEENS0_5tupleIJPlS6_EEENSJ_IJSD_SD_EEES6_SK_JS6_EEE10hipError_tPvRmT3_T4_T5_T6_T7_T9_mT8_P12ihipStream_tbDpT10_ENKUlT_T0_E_clISt17integral_constantIbLb0EES16_EEDaS11_S12_EUlS11_E_NS1_11comp_targetILNS1_3genE9ELNS1_11target_archE1100ELNS1_3gpuE3ELNS1_3repE0EEENS1_30default_config_static_selectorELNS0_4arch9wavefront6targetE1EEEvT1_,comdat
	.protected	_ZN7rocprim17ROCPRIM_400000_NS6detail17trampoline_kernelINS0_14default_configENS1_25partition_config_selectorILNS1_17partition_subalgoE5ElNS0_10empty_typeEbEEZZNS1_14partition_implILS5_5ELb0ES3_mN6hipcub16HIPCUB_304000_NS21CountingInputIteratorIllEEPS6_NSA_22TransformInputIteratorIb7NonZeroIsEPslEENS0_5tupleIJPlS6_EEENSJ_IJSD_SD_EEES6_SK_JS6_EEE10hipError_tPvRmT3_T4_T5_T6_T7_T9_mT8_P12ihipStream_tbDpT10_ENKUlT_T0_E_clISt17integral_constantIbLb0EES16_EEDaS11_S12_EUlS11_E_NS1_11comp_targetILNS1_3genE9ELNS1_11target_archE1100ELNS1_3gpuE3ELNS1_3repE0EEENS1_30default_config_static_selectorELNS0_4arch9wavefront6targetE1EEEvT1_ ; -- Begin function _ZN7rocprim17ROCPRIM_400000_NS6detail17trampoline_kernelINS0_14default_configENS1_25partition_config_selectorILNS1_17partition_subalgoE5ElNS0_10empty_typeEbEEZZNS1_14partition_implILS5_5ELb0ES3_mN6hipcub16HIPCUB_304000_NS21CountingInputIteratorIllEEPS6_NSA_22TransformInputIteratorIb7NonZeroIsEPslEENS0_5tupleIJPlS6_EEENSJ_IJSD_SD_EEES6_SK_JS6_EEE10hipError_tPvRmT3_T4_T5_T6_T7_T9_mT8_P12ihipStream_tbDpT10_ENKUlT_T0_E_clISt17integral_constantIbLb0EES16_EEDaS11_S12_EUlS11_E_NS1_11comp_targetILNS1_3genE9ELNS1_11target_archE1100ELNS1_3gpuE3ELNS1_3repE0EEENS1_30default_config_static_selectorELNS0_4arch9wavefront6targetE1EEEvT1_
	.globl	_ZN7rocprim17ROCPRIM_400000_NS6detail17trampoline_kernelINS0_14default_configENS1_25partition_config_selectorILNS1_17partition_subalgoE5ElNS0_10empty_typeEbEEZZNS1_14partition_implILS5_5ELb0ES3_mN6hipcub16HIPCUB_304000_NS21CountingInputIteratorIllEEPS6_NSA_22TransformInputIteratorIb7NonZeroIsEPslEENS0_5tupleIJPlS6_EEENSJ_IJSD_SD_EEES6_SK_JS6_EEE10hipError_tPvRmT3_T4_T5_T6_T7_T9_mT8_P12ihipStream_tbDpT10_ENKUlT_T0_E_clISt17integral_constantIbLb0EES16_EEDaS11_S12_EUlS11_E_NS1_11comp_targetILNS1_3genE9ELNS1_11target_archE1100ELNS1_3gpuE3ELNS1_3repE0EEENS1_30default_config_static_selectorELNS0_4arch9wavefront6targetE1EEEvT1_
	.p2align	8
	.type	_ZN7rocprim17ROCPRIM_400000_NS6detail17trampoline_kernelINS0_14default_configENS1_25partition_config_selectorILNS1_17partition_subalgoE5ElNS0_10empty_typeEbEEZZNS1_14partition_implILS5_5ELb0ES3_mN6hipcub16HIPCUB_304000_NS21CountingInputIteratorIllEEPS6_NSA_22TransformInputIteratorIb7NonZeroIsEPslEENS0_5tupleIJPlS6_EEENSJ_IJSD_SD_EEES6_SK_JS6_EEE10hipError_tPvRmT3_T4_T5_T6_T7_T9_mT8_P12ihipStream_tbDpT10_ENKUlT_T0_E_clISt17integral_constantIbLb0EES16_EEDaS11_S12_EUlS11_E_NS1_11comp_targetILNS1_3genE9ELNS1_11target_archE1100ELNS1_3gpuE3ELNS1_3repE0EEENS1_30default_config_static_selectorELNS0_4arch9wavefront6targetE1EEEvT1_,@function
_ZN7rocprim17ROCPRIM_400000_NS6detail17trampoline_kernelINS0_14default_configENS1_25partition_config_selectorILNS1_17partition_subalgoE5ElNS0_10empty_typeEbEEZZNS1_14partition_implILS5_5ELb0ES3_mN6hipcub16HIPCUB_304000_NS21CountingInputIteratorIllEEPS6_NSA_22TransformInputIteratorIb7NonZeroIsEPslEENS0_5tupleIJPlS6_EEENSJ_IJSD_SD_EEES6_SK_JS6_EEE10hipError_tPvRmT3_T4_T5_T6_T7_T9_mT8_P12ihipStream_tbDpT10_ENKUlT_T0_E_clISt17integral_constantIbLb0EES16_EEDaS11_S12_EUlS11_E_NS1_11comp_targetILNS1_3genE9ELNS1_11target_archE1100ELNS1_3gpuE3ELNS1_3repE0EEENS1_30default_config_static_selectorELNS0_4arch9wavefront6targetE1EEEvT1_: ; @_ZN7rocprim17ROCPRIM_400000_NS6detail17trampoline_kernelINS0_14default_configENS1_25partition_config_selectorILNS1_17partition_subalgoE5ElNS0_10empty_typeEbEEZZNS1_14partition_implILS5_5ELb0ES3_mN6hipcub16HIPCUB_304000_NS21CountingInputIteratorIllEEPS6_NSA_22TransformInputIteratorIb7NonZeroIsEPslEENS0_5tupleIJPlS6_EEENSJ_IJSD_SD_EEES6_SK_JS6_EEE10hipError_tPvRmT3_T4_T5_T6_T7_T9_mT8_P12ihipStream_tbDpT10_ENKUlT_T0_E_clISt17integral_constantIbLb0EES16_EEDaS11_S12_EUlS11_E_NS1_11comp_targetILNS1_3genE9ELNS1_11target_archE1100ELNS1_3gpuE3ELNS1_3repE0EEENS1_30default_config_static_selectorELNS0_4arch9wavefront6targetE1EEEvT1_
; %bb.0:
	.section	.rodata,"a",@progbits
	.p2align	6, 0x0
	.amdhsa_kernel _ZN7rocprim17ROCPRIM_400000_NS6detail17trampoline_kernelINS0_14default_configENS1_25partition_config_selectorILNS1_17partition_subalgoE5ElNS0_10empty_typeEbEEZZNS1_14partition_implILS5_5ELb0ES3_mN6hipcub16HIPCUB_304000_NS21CountingInputIteratorIllEEPS6_NSA_22TransformInputIteratorIb7NonZeroIsEPslEENS0_5tupleIJPlS6_EEENSJ_IJSD_SD_EEES6_SK_JS6_EEE10hipError_tPvRmT3_T4_T5_T6_T7_T9_mT8_P12ihipStream_tbDpT10_ENKUlT_T0_E_clISt17integral_constantIbLb0EES16_EEDaS11_S12_EUlS11_E_NS1_11comp_targetILNS1_3genE9ELNS1_11target_archE1100ELNS1_3gpuE3ELNS1_3repE0EEENS1_30default_config_static_selectorELNS0_4arch9wavefront6targetE1EEEvT1_
		.amdhsa_group_segment_fixed_size 0
		.amdhsa_private_segment_fixed_size 0
		.amdhsa_kernarg_size 120
		.amdhsa_user_sgpr_count 2
		.amdhsa_user_sgpr_dispatch_ptr 0
		.amdhsa_user_sgpr_queue_ptr 0
		.amdhsa_user_sgpr_kernarg_segment_ptr 1
		.amdhsa_user_sgpr_dispatch_id 0
		.amdhsa_user_sgpr_kernarg_preload_length 0
		.amdhsa_user_sgpr_kernarg_preload_offset 0
		.amdhsa_user_sgpr_private_segment_size 0
		.amdhsa_uses_dynamic_stack 0
		.amdhsa_enable_private_segment 0
		.amdhsa_system_sgpr_workgroup_id_x 1
		.amdhsa_system_sgpr_workgroup_id_y 0
		.amdhsa_system_sgpr_workgroup_id_z 0
		.amdhsa_system_sgpr_workgroup_info 0
		.amdhsa_system_vgpr_workitem_id 0
		.amdhsa_next_free_vgpr 1
		.amdhsa_next_free_sgpr 0
		.amdhsa_accum_offset 4
		.amdhsa_reserve_vcc 0
		.amdhsa_float_round_mode_32 0
		.amdhsa_float_round_mode_16_64 0
		.amdhsa_float_denorm_mode_32 3
		.amdhsa_float_denorm_mode_16_64 3
		.amdhsa_dx10_clamp 1
		.amdhsa_ieee_mode 1
		.amdhsa_fp16_overflow 0
		.amdhsa_tg_split 0
		.amdhsa_exception_fp_ieee_invalid_op 0
		.amdhsa_exception_fp_denorm_src 0
		.amdhsa_exception_fp_ieee_div_zero 0
		.amdhsa_exception_fp_ieee_overflow 0
		.amdhsa_exception_fp_ieee_underflow 0
		.amdhsa_exception_fp_ieee_inexact 0
		.amdhsa_exception_int_div_zero 0
	.end_amdhsa_kernel
	.section	.text._ZN7rocprim17ROCPRIM_400000_NS6detail17trampoline_kernelINS0_14default_configENS1_25partition_config_selectorILNS1_17partition_subalgoE5ElNS0_10empty_typeEbEEZZNS1_14partition_implILS5_5ELb0ES3_mN6hipcub16HIPCUB_304000_NS21CountingInputIteratorIllEEPS6_NSA_22TransformInputIteratorIb7NonZeroIsEPslEENS0_5tupleIJPlS6_EEENSJ_IJSD_SD_EEES6_SK_JS6_EEE10hipError_tPvRmT3_T4_T5_T6_T7_T9_mT8_P12ihipStream_tbDpT10_ENKUlT_T0_E_clISt17integral_constantIbLb0EES16_EEDaS11_S12_EUlS11_E_NS1_11comp_targetILNS1_3genE9ELNS1_11target_archE1100ELNS1_3gpuE3ELNS1_3repE0EEENS1_30default_config_static_selectorELNS0_4arch9wavefront6targetE1EEEvT1_,"axG",@progbits,_ZN7rocprim17ROCPRIM_400000_NS6detail17trampoline_kernelINS0_14default_configENS1_25partition_config_selectorILNS1_17partition_subalgoE5ElNS0_10empty_typeEbEEZZNS1_14partition_implILS5_5ELb0ES3_mN6hipcub16HIPCUB_304000_NS21CountingInputIteratorIllEEPS6_NSA_22TransformInputIteratorIb7NonZeroIsEPslEENS0_5tupleIJPlS6_EEENSJ_IJSD_SD_EEES6_SK_JS6_EEE10hipError_tPvRmT3_T4_T5_T6_T7_T9_mT8_P12ihipStream_tbDpT10_ENKUlT_T0_E_clISt17integral_constantIbLb0EES16_EEDaS11_S12_EUlS11_E_NS1_11comp_targetILNS1_3genE9ELNS1_11target_archE1100ELNS1_3gpuE3ELNS1_3repE0EEENS1_30default_config_static_selectorELNS0_4arch9wavefront6targetE1EEEvT1_,comdat
.Lfunc_end123:
	.size	_ZN7rocprim17ROCPRIM_400000_NS6detail17trampoline_kernelINS0_14default_configENS1_25partition_config_selectorILNS1_17partition_subalgoE5ElNS0_10empty_typeEbEEZZNS1_14partition_implILS5_5ELb0ES3_mN6hipcub16HIPCUB_304000_NS21CountingInputIteratorIllEEPS6_NSA_22TransformInputIteratorIb7NonZeroIsEPslEENS0_5tupleIJPlS6_EEENSJ_IJSD_SD_EEES6_SK_JS6_EEE10hipError_tPvRmT3_T4_T5_T6_T7_T9_mT8_P12ihipStream_tbDpT10_ENKUlT_T0_E_clISt17integral_constantIbLb0EES16_EEDaS11_S12_EUlS11_E_NS1_11comp_targetILNS1_3genE9ELNS1_11target_archE1100ELNS1_3gpuE3ELNS1_3repE0EEENS1_30default_config_static_selectorELNS0_4arch9wavefront6targetE1EEEvT1_, .Lfunc_end123-_ZN7rocprim17ROCPRIM_400000_NS6detail17trampoline_kernelINS0_14default_configENS1_25partition_config_selectorILNS1_17partition_subalgoE5ElNS0_10empty_typeEbEEZZNS1_14partition_implILS5_5ELb0ES3_mN6hipcub16HIPCUB_304000_NS21CountingInputIteratorIllEEPS6_NSA_22TransformInputIteratorIb7NonZeroIsEPslEENS0_5tupleIJPlS6_EEENSJ_IJSD_SD_EEES6_SK_JS6_EEE10hipError_tPvRmT3_T4_T5_T6_T7_T9_mT8_P12ihipStream_tbDpT10_ENKUlT_T0_E_clISt17integral_constantIbLb0EES16_EEDaS11_S12_EUlS11_E_NS1_11comp_targetILNS1_3genE9ELNS1_11target_archE1100ELNS1_3gpuE3ELNS1_3repE0EEENS1_30default_config_static_selectorELNS0_4arch9wavefront6targetE1EEEvT1_
                                        ; -- End function
	.set _ZN7rocprim17ROCPRIM_400000_NS6detail17trampoline_kernelINS0_14default_configENS1_25partition_config_selectorILNS1_17partition_subalgoE5ElNS0_10empty_typeEbEEZZNS1_14partition_implILS5_5ELb0ES3_mN6hipcub16HIPCUB_304000_NS21CountingInputIteratorIllEEPS6_NSA_22TransformInputIteratorIb7NonZeroIsEPslEENS0_5tupleIJPlS6_EEENSJ_IJSD_SD_EEES6_SK_JS6_EEE10hipError_tPvRmT3_T4_T5_T6_T7_T9_mT8_P12ihipStream_tbDpT10_ENKUlT_T0_E_clISt17integral_constantIbLb0EES16_EEDaS11_S12_EUlS11_E_NS1_11comp_targetILNS1_3genE9ELNS1_11target_archE1100ELNS1_3gpuE3ELNS1_3repE0EEENS1_30default_config_static_selectorELNS0_4arch9wavefront6targetE1EEEvT1_.num_vgpr, 0
	.set _ZN7rocprim17ROCPRIM_400000_NS6detail17trampoline_kernelINS0_14default_configENS1_25partition_config_selectorILNS1_17partition_subalgoE5ElNS0_10empty_typeEbEEZZNS1_14partition_implILS5_5ELb0ES3_mN6hipcub16HIPCUB_304000_NS21CountingInputIteratorIllEEPS6_NSA_22TransformInputIteratorIb7NonZeroIsEPslEENS0_5tupleIJPlS6_EEENSJ_IJSD_SD_EEES6_SK_JS6_EEE10hipError_tPvRmT3_T4_T5_T6_T7_T9_mT8_P12ihipStream_tbDpT10_ENKUlT_T0_E_clISt17integral_constantIbLb0EES16_EEDaS11_S12_EUlS11_E_NS1_11comp_targetILNS1_3genE9ELNS1_11target_archE1100ELNS1_3gpuE3ELNS1_3repE0EEENS1_30default_config_static_selectorELNS0_4arch9wavefront6targetE1EEEvT1_.num_agpr, 0
	.set _ZN7rocprim17ROCPRIM_400000_NS6detail17trampoline_kernelINS0_14default_configENS1_25partition_config_selectorILNS1_17partition_subalgoE5ElNS0_10empty_typeEbEEZZNS1_14partition_implILS5_5ELb0ES3_mN6hipcub16HIPCUB_304000_NS21CountingInputIteratorIllEEPS6_NSA_22TransformInputIteratorIb7NonZeroIsEPslEENS0_5tupleIJPlS6_EEENSJ_IJSD_SD_EEES6_SK_JS6_EEE10hipError_tPvRmT3_T4_T5_T6_T7_T9_mT8_P12ihipStream_tbDpT10_ENKUlT_T0_E_clISt17integral_constantIbLb0EES16_EEDaS11_S12_EUlS11_E_NS1_11comp_targetILNS1_3genE9ELNS1_11target_archE1100ELNS1_3gpuE3ELNS1_3repE0EEENS1_30default_config_static_selectorELNS0_4arch9wavefront6targetE1EEEvT1_.numbered_sgpr, 0
	.set _ZN7rocprim17ROCPRIM_400000_NS6detail17trampoline_kernelINS0_14default_configENS1_25partition_config_selectorILNS1_17partition_subalgoE5ElNS0_10empty_typeEbEEZZNS1_14partition_implILS5_5ELb0ES3_mN6hipcub16HIPCUB_304000_NS21CountingInputIteratorIllEEPS6_NSA_22TransformInputIteratorIb7NonZeroIsEPslEENS0_5tupleIJPlS6_EEENSJ_IJSD_SD_EEES6_SK_JS6_EEE10hipError_tPvRmT3_T4_T5_T6_T7_T9_mT8_P12ihipStream_tbDpT10_ENKUlT_T0_E_clISt17integral_constantIbLb0EES16_EEDaS11_S12_EUlS11_E_NS1_11comp_targetILNS1_3genE9ELNS1_11target_archE1100ELNS1_3gpuE3ELNS1_3repE0EEENS1_30default_config_static_selectorELNS0_4arch9wavefront6targetE1EEEvT1_.num_named_barrier, 0
	.set _ZN7rocprim17ROCPRIM_400000_NS6detail17trampoline_kernelINS0_14default_configENS1_25partition_config_selectorILNS1_17partition_subalgoE5ElNS0_10empty_typeEbEEZZNS1_14partition_implILS5_5ELb0ES3_mN6hipcub16HIPCUB_304000_NS21CountingInputIteratorIllEEPS6_NSA_22TransformInputIteratorIb7NonZeroIsEPslEENS0_5tupleIJPlS6_EEENSJ_IJSD_SD_EEES6_SK_JS6_EEE10hipError_tPvRmT3_T4_T5_T6_T7_T9_mT8_P12ihipStream_tbDpT10_ENKUlT_T0_E_clISt17integral_constantIbLb0EES16_EEDaS11_S12_EUlS11_E_NS1_11comp_targetILNS1_3genE9ELNS1_11target_archE1100ELNS1_3gpuE3ELNS1_3repE0EEENS1_30default_config_static_selectorELNS0_4arch9wavefront6targetE1EEEvT1_.private_seg_size, 0
	.set _ZN7rocprim17ROCPRIM_400000_NS6detail17trampoline_kernelINS0_14default_configENS1_25partition_config_selectorILNS1_17partition_subalgoE5ElNS0_10empty_typeEbEEZZNS1_14partition_implILS5_5ELb0ES3_mN6hipcub16HIPCUB_304000_NS21CountingInputIteratorIllEEPS6_NSA_22TransformInputIteratorIb7NonZeroIsEPslEENS0_5tupleIJPlS6_EEENSJ_IJSD_SD_EEES6_SK_JS6_EEE10hipError_tPvRmT3_T4_T5_T6_T7_T9_mT8_P12ihipStream_tbDpT10_ENKUlT_T0_E_clISt17integral_constantIbLb0EES16_EEDaS11_S12_EUlS11_E_NS1_11comp_targetILNS1_3genE9ELNS1_11target_archE1100ELNS1_3gpuE3ELNS1_3repE0EEENS1_30default_config_static_selectorELNS0_4arch9wavefront6targetE1EEEvT1_.uses_vcc, 0
	.set _ZN7rocprim17ROCPRIM_400000_NS6detail17trampoline_kernelINS0_14default_configENS1_25partition_config_selectorILNS1_17partition_subalgoE5ElNS0_10empty_typeEbEEZZNS1_14partition_implILS5_5ELb0ES3_mN6hipcub16HIPCUB_304000_NS21CountingInputIteratorIllEEPS6_NSA_22TransformInputIteratorIb7NonZeroIsEPslEENS0_5tupleIJPlS6_EEENSJ_IJSD_SD_EEES6_SK_JS6_EEE10hipError_tPvRmT3_T4_T5_T6_T7_T9_mT8_P12ihipStream_tbDpT10_ENKUlT_T0_E_clISt17integral_constantIbLb0EES16_EEDaS11_S12_EUlS11_E_NS1_11comp_targetILNS1_3genE9ELNS1_11target_archE1100ELNS1_3gpuE3ELNS1_3repE0EEENS1_30default_config_static_selectorELNS0_4arch9wavefront6targetE1EEEvT1_.uses_flat_scratch, 0
	.set _ZN7rocprim17ROCPRIM_400000_NS6detail17trampoline_kernelINS0_14default_configENS1_25partition_config_selectorILNS1_17partition_subalgoE5ElNS0_10empty_typeEbEEZZNS1_14partition_implILS5_5ELb0ES3_mN6hipcub16HIPCUB_304000_NS21CountingInputIteratorIllEEPS6_NSA_22TransformInputIteratorIb7NonZeroIsEPslEENS0_5tupleIJPlS6_EEENSJ_IJSD_SD_EEES6_SK_JS6_EEE10hipError_tPvRmT3_T4_T5_T6_T7_T9_mT8_P12ihipStream_tbDpT10_ENKUlT_T0_E_clISt17integral_constantIbLb0EES16_EEDaS11_S12_EUlS11_E_NS1_11comp_targetILNS1_3genE9ELNS1_11target_archE1100ELNS1_3gpuE3ELNS1_3repE0EEENS1_30default_config_static_selectorELNS0_4arch9wavefront6targetE1EEEvT1_.has_dyn_sized_stack, 0
	.set _ZN7rocprim17ROCPRIM_400000_NS6detail17trampoline_kernelINS0_14default_configENS1_25partition_config_selectorILNS1_17partition_subalgoE5ElNS0_10empty_typeEbEEZZNS1_14partition_implILS5_5ELb0ES3_mN6hipcub16HIPCUB_304000_NS21CountingInputIteratorIllEEPS6_NSA_22TransformInputIteratorIb7NonZeroIsEPslEENS0_5tupleIJPlS6_EEENSJ_IJSD_SD_EEES6_SK_JS6_EEE10hipError_tPvRmT3_T4_T5_T6_T7_T9_mT8_P12ihipStream_tbDpT10_ENKUlT_T0_E_clISt17integral_constantIbLb0EES16_EEDaS11_S12_EUlS11_E_NS1_11comp_targetILNS1_3genE9ELNS1_11target_archE1100ELNS1_3gpuE3ELNS1_3repE0EEENS1_30default_config_static_selectorELNS0_4arch9wavefront6targetE1EEEvT1_.has_recursion, 0
	.set _ZN7rocprim17ROCPRIM_400000_NS6detail17trampoline_kernelINS0_14default_configENS1_25partition_config_selectorILNS1_17partition_subalgoE5ElNS0_10empty_typeEbEEZZNS1_14partition_implILS5_5ELb0ES3_mN6hipcub16HIPCUB_304000_NS21CountingInputIteratorIllEEPS6_NSA_22TransformInputIteratorIb7NonZeroIsEPslEENS0_5tupleIJPlS6_EEENSJ_IJSD_SD_EEES6_SK_JS6_EEE10hipError_tPvRmT3_T4_T5_T6_T7_T9_mT8_P12ihipStream_tbDpT10_ENKUlT_T0_E_clISt17integral_constantIbLb0EES16_EEDaS11_S12_EUlS11_E_NS1_11comp_targetILNS1_3genE9ELNS1_11target_archE1100ELNS1_3gpuE3ELNS1_3repE0EEENS1_30default_config_static_selectorELNS0_4arch9wavefront6targetE1EEEvT1_.has_indirect_call, 0
	.section	.AMDGPU.csdata,"",@progbits
; Kernel info:
; codeLenInByte = 0
; TotalNumSgprs: 6
; NumVgprs: 0
; NumAgprs: 0
; TotalNumVgprs: 0
; ScratchSize: 0
; MemoryBound: 0
; FloatMode: 240
; IeeeMode: 1
; LDSByteSize: 0 bytes/workgroup (compile time only)
; SGPRBlocks: 0
; VGPRBlocks: 0
; NumSGPRsForWavesPerEU: 6
; NumVGPRsForWavesPerEU: 1
; AccumOffset: 4
; Occupancy: 8
; WaveLimiterHint : 0
; COMPUTE_PGM_RSRC2:SCRATCH_EN: 0
; COMPUTE_PGM_RSRC2:USER_SGPR: 2
; COMPUTE_PGM_RSRC2:TRAP_HANDLER: 0
; COMPUTE_PGM_RSRC2:TGID_X_EN: 1
; COMPUTE_PGM_RSRC2:TGID_Y_EN: 0
; COMPUTE_PGM_RSRC2:TGID_Z_EN: 0
; COMPUTE_PGM_RSRC2:TIDIG_COMP_CNT: 0
; COMPUTE_PGM_RSRC3_GFX90A:ACCUM_OFFSET: 0
; COMPUTE_PGM_RSRC3_GFX90A:TG_SPLIT: 0
	.section	.text._ZN7rocprim17ROCPRIM_400000_NS6detail17trampoline_kernelINS0_14default_configENS1_25partition_config_selectorILNS1_17partition_subalgoE5ElNS0_10empty_typeEbEEZZNS1_14partition_implILS5_5ELb0ES3_mN6hipcub16HIPCUB_304000_NS21CountingInputIteratorIllEEPS6_NSA_22TransformInputIteratorIb7NonZeroIsEPslEENS0_5tupleIJPlS6_EEENSJ_IJSD_SD_EEES6_SK_JS6_EEE10hipError_tPvRmT3_T4_T5_T6_T7_T9_mT8_P12ihipStream_tbDpT10_ENKUlT_T0_E_clISt17integral_constantIbLb0EES16_EEDaS11_S12_EUlS11_E_NS1_11comp_targetILNS1_3genE8ELNS1_11target_archE1030ELNS1_3gpuE2ELNS1_3repE0EEENS1_30default_config_static_selectorELNS0_4arch9wavefront6targetE1EEEvT1_,"axG",@progbits,_ZN7rocprim17ROCPRIM_400000_NS6detail17trampoline_kernelINS0_14default_configENS1_25partition_config_selectorILNS1_17partition_subalgoE5ElNS0_10empty_typeEbEEZZNS1_14partition_implILS5_5ELb0ES3_mN6hipcub16HIPCUB_304000_NS21CountingInputIteratorIllEEPS6_NSA_22TransformInputIteratorIb7NonZeroIsEPslEENS0_5tupleIJPlS6_EEENSJ_IJSD_SD_EEES6_SK_JS6_EEE10hipError_tPvRmT3_T4_T5_T6_T7_T9_mT8_P12ihipStream_tbDpT10_ENKUlT_T0_E_clISt17integral_constantIbLb0EES16_EEDaS11_S12_EUlS11_E_NS1_11comp_targetILNS1_3genE8ELNS1_11target_archE1030ELNS1_3gpuE2ELNS1_3repE0EEENS1_30default_config_static_selectorELNS0_4arch9wavefront6targetE1EEEvT1_,comdat
	.protected	_ZN7rocprim17ROCPRIM_400000_NS6detail17trampoline_kernelINS0_14default_configENS1_25partition_config_selectorILNS1_17partition_subalgoE5ElNS0_10empty_typeEbEEZZNS1_14partition_implILS5_5ELb0ES3_mN6hipcub16HIPCUB_304000_NS21CountingInputIteratorIllEEPS6_NSA_22TransformInputIteratorIb7NonZeroIsEPslEENS0_5tupleIJPlS6_EEENSJ_IJSD_SD_EEES6_SK_JS6_EEE10hipError_tPvRmT3_T4_T5_T6_T7_T9_mT8_P12ihipStream_tbDpT10_ENKUlT_T0_E_clISt17integral_constantIbLb0EES16_EEDaS11_S12_EUlS11_E_NS1_11comp_targetILNS1_3genE8ELNS1_11target_archE1030ELNS1_3gpuE2ELNS1_3repE0EEENS1_30default_config_static_selectorELNS0_4arch9wavefront6targetE1EEEvT1_ ; -- Begin function _ZN7rocprim17ROCPRIM_400000_NS6detail17trampoline_kernelINS0_14default_configENS1_25partition_config_selectorILNS1_17partition_subalgoE5ElNS0_10empty_typeEbEEZZNS1_14partition_implILS5_5ELb0ES3_mN6hipcub16HIPCUB_304000_NS21CountingInputIteratorIllEEPS6_NSA_22TransformInputIteratorIb7NonZeroIsEPslEENS0_5tupleIJPlS6_EEENSJ_IJSD_SD_EEES6_SK_JS6_EEE10hipError_tPvRmT3_T4_T5_T6_T7_T9_mT8_P12ihipStream_tbDpT10_ENKUlT_T0_E_clISt17integral_constantIbLb0EES16_EEDaS11_S12_EUlS11_E_NS1_11comp_targetILNS1_3genE8ELNS1_11target_archE1030ELNS1_3gpuE2ELNS1_3repE0EEENS1_30default_config_static_selectorELNS0_4arch9wavefront6targetE1EEEvT1_
	.globl	_ZN7rocprim17ROCPRIM_400000_NS6detail17trampoline_kernelINS0_14default_configENS1_25partition_config_selectorILNS1_17partition_subalgoE5ElNS0_10empty_typeEbEEZZNS1_14partition_implILS5_5ELb0ES3_mN6hipcub16HIPCUB_304000_NS21CountingInputIteratorIllEEPS6_NSA_22TransformInputIteratorIb7NonZeroIsEPslEENS0_5tupleIJPlS6_EEENSJ_IJSD_SD_EEES6_SK_JS6_EEE10hipError_tPvRmT3_T4_T5_T6_T7_T9_mT8_P12ihipStream_tbDpT10_ENKUlT_T0_E_clISt17integral_constantIbLb0EES16_EEDaS11_S12_EUlS11_E_NS1_11comp_targetILNS1_3genE8ELNS1_11target_archE1030ELNS1_3gpuE2ELNS1_3repE0EEENS1_30default_config_static_selectorELNS0_4arch9wavefront6targetE1EEEvT1_
	.p2align	8
	.type	_ZN7rocprim17ROCPRIM_400000_NS6detail17trampoline_kernelINS0_14default_configENS1_25partition_config_selectorILNS1_17partition_subalgoE5ElNS0_10empty_typeEbEEZZNS1_14partition_implILS5_5ELb0ES3_mN6hipcub16HIPCUB_304000_NS21CountingInputIteratorIllEEPS6_NSA_22TransformInputIteratorIb7NonZeroIsEPslEENS0_5tupleIJPlS6_EEENSJ_IJSD_SD_EEES6_SK_JS6_EEE10hipError_tPvRmT3_T4_T5_T6_T7_T9_mT8_P12ihipStream_tbDpT10_ENKUlT_T0_E_clISt17integral_constantIbLb0EES16_EEDaS11_S12_EUlS11_E_NS1_11comp_targetILNS1_3genE8ELNS1_11target_archE1030ELNS1_3gpuE2ELNS1_3repE0EEENS1_30default_config_static_selectorELNS0_4arch9wavefront6targetE1EEEvT1_,@function
_ZN7rocprim17ROCPRIM_400000_NS6detail17trampoline_kernelINS0_14default_configENS1_25partition_config_selectorILNS1_17partition_subalgoE5ElNS0_10empty_typeEbEEZZNS1_14partition_implILS5_5ELb0ES3_mN6hipcub16HIPCUB_304000_NS21CountingInputIteratorIllEEPS6_NSA_22TransformInputIteratorIb7NonZeroIsEPslEENS0_5tupleIJPlS6_EEENSJ_IJSD_SD_EEES6_SK_JS6_EEE10hipError_tPvRmT3_T4_T5_T6_T7_T9_mT8_P12ihipStream_tbDpT10_ENKUlT_T0_E_clISt17integral_constantIbLb0EES16_EEDaS11_S12_EUlS11_E_NS1_11comp_targetILNS1_3genE8ELNS1_11target_archE1030ELNS1_3gpuE2ELNS1_3repE0EEENS1_30default_config_static_selectorELNS0_4arch9wavefront6targetE1EEEvT1_: ; @_ZN7rocprim17ROCPRIM_400000_NS6detail17trampoline_kernelINS0_14default_configENS1_25partition_config_selectorILNS1_17partition_subalgoE5ElNS0_10empty_typeEbEEZZNS1_14partition_implILS5_5ELb0ES3_mN6hipcub16HIPCUB_304000_NS21CountingInputIteratorIllEEPS6_NSA_22TransformInputIteratorIb7NonZeroIsEPslEENS0_5tupleIJPlS6_EEENSJ_IJSD_SD_EEES6_SK_JS6_EEE10hipError_tPvRmT3_T4_T5_T6_T7_T9_mT8_P12ihipStream_tbDpT10_ENKUlT_T0_E_clISt17integral_constantIbLb0EES16_EEDaS11_S12_EUlS11_E_NS1_11comp_targetILNS1_3genE8ELNS1_11target_archE1030ELNS1_3gpuE2ELNS1_3repE0EEENS1_30default_config_static_selectorELNS0_4arch9wavefront6targetE1EEEvT1_
; %bb.0:
	.section	.rodata,"a",@progbits
	.p2align	6, 0x0
	.amdhsa_kernel _ZN7rocprim17ROCPRIM_400000_NS6detail17trampoline_kernelINS0_14default_configENS1_25partition_config_selectorILNS1_17partition_subalgoE5ElNS0_10empty_typeEbEEZZNS1_14partition_implILS5_5ELb0ES3_mN6hipcub16HIPCUB_304000_NS21CountingInputIteratorIllEEPS6_NSA_22TransformInputIteratorIb7NonZeroIsEPslEENS0_5tupleIJPlS6_EEENSJ_IJSD_SD_EEES6_SK_JS6_EEE10hipError_tPvRmT3_T4_T5_T6_T7_T9_mT8_P12ihipStream_tbDpT10_ENKUlT_T0_E_clISt17integral_constantIbLb0EES16_EEDaS11_S12_EUlS11_E_NS1_11comp_targetILNS1_3genE8ELNS1_11target_archE1030ELNS1_3gpuE2ELNS1_3repE0EEENS1_30default_config_static_selectorELNS0_4arch9wavefront6targetE1EEEvT1_
		.amdhsa_group_segment_fixed_size 0
		.amdhsa_private_segment_fixed_size 0
		.amdhsa_kernarg_size 120
		.amdhsa_user_sgpr_count 2
		.amdhsa_user_sgpr_dispatch_ptr 0
		.amdhsa_user_sgpr_queue_ptr 0
		.amdhsa_user_sgpr_kernarg_segment_ptr 1
		.amdhsa_user_sgpr_dispatch_id 0
		.amdhsa_user_sgpr_kernarg_preload_length 0
		.amdhsa_user_sgpr_kernarg_preload_offset 0
		.amdhsa_user_sgpr_private_segment_size 0
		.amdhsa_uses_dynamic_stack 0
		.amdhsa_enable_private_segment 0
		.amdhsa_system_sgpr_workgroup_id_x 1
		.amdhsa_system_sgpr_workgroup_id_y 0
		.amdhsa_system_sgpr_workgroup_id_z 0
		.amdhsa_system_sgpr_workgroup_info 0
		.amdhsa_system_vgpr_workitem_id 0
		.amdhsa_next_free_vgpr 1
		.amdhsa_next_free_sgpr 0
		.amdhsa_accum_offset 4
		.amdhsa_reserve_vcc 0
		.amdhsa_float_round_mode_32 0
		.amdhsa_float_round_mode_16_64 0
		.amdhsa_float_denorm_mode_32 3
		.amdhsa_float_denorm_mode_16_64 3
		.amdhsa_dx10_clamp 1
		.amdhsa_ieee_mode 1
		.amdhsa_fp16_overflow 0
		.amdhsa_tg_split 0
		.amdhsa_exception_fp_ieee_invalid_op 0
		.amdhsa_exception_fp_denorm_src 0
		.amdhsa_exception_fp_ieee_div_zero 0
		.amdhsa_exception_fp_ieee_overflow 0
		.amdhsa_exception_fp_ieee_underflow 0
		.amdhsa_exception_fp_ieee_inexact 0
		.amdhsa_exception_int_div_zero 0
	.end_amdhsa_kernel
	.section	.text._ZN7rocprim17ROCPRIM_400000_NS6detail17trampoline_kernelINS0_14default_configENS1_25partition_config_selectorILNS1_17partition_subalgoE5ElNS0_10empty_typeEbEEZZNS1_14partition_implILS5_5ELb0ES3_mN6hipcub16HIPCUB_304000_NS21CountingInputIteratorIllEEPS6_NSA_22TransformInputIteratorIb7NonZeroIsEPslEENS0_5tupleIJPlS6_EEENSJ_IJSD_SD_EEES6_SK_JS6_EEE10hipError_tPvRmT3_T4_T5_T6_T7_T9_mT8_P12ihipStream_tbDpT10_ENKUlT_T0_E_clISt17integral_constantIbLb0EES16_EEDaS11_S12_EUlS11_E_NS1_11comp_targetILNS1_3genE8ELNS1_11target_archE1030ELNS1_3gpuE2ELNS1_3repE0EEENS1_30default_config_static_selectorELNS0_4arch9wavefront6targetE1EEEvT1_,"axG",@progbits,_ZN7rocprim17ROCPRIM_400000_NS6detail17trampoline_kernelINS0_14default_configENS1_25partition_config_selectorILNS1_17partition_subalgoE5ElNS0_10empty_typeEbEEZZNS1_14partition_implILS5_5ELb0ES3_mN6hipcub16HIPCUB_304000_NS21CountingInputIteratorIllEEPS6_NSA_22TransformInputIteratorIb7NonZeroIsEPslEENS0_5tupleIJPlS6_EEENSJ_IJSD_SD_EEES6_SK_JS6_EEE10hipError_tPvRmT3_T4_T5_T6_T7_T9_mT8_P12ihipStream_tbDpT10_ENKUlT_T0_E_clISt17integral_constantIbLb0EES16_EEDaS11_S12_EUlS11_E_NS1_11comp_targetILNS1_3genE8ELNS1_11target_archE1030ELNS1_3gpuE2ELNS1_3repE0EEENS1_30default_config_static_selectorELNS0_4arch9wavefront6targetE1EEEvT1_,comdat
.Lfunc_end124:
	.size	_ZN7rocprim17ROCPRIM_400000_NS6detail17trampoline_kernelINS0_14default_configENS1_25partition_config_selectorILNS1_17partition_subalgoE5ElNS0_10empty_typeEbEEZZNS1_14partition_implILS5_5ELb0ES3_mN6hipcub16HIPCUB_304000_NS21CountingInputIteratorIllEEPS6_NSA_22TransformInputIteratorIb7NonZeroIsEPslEENS0_5tupleIJPlS6_EEENSJ_IJSD_SD_EEES6_SK_JS6_EEE10hipError_tPvRmT3_T4_T5_T6_T7_T9_mT8_P12ihipStream_tbDpT10_ENKUlT_T0_E_clISt17integral_constantIbLb0EES16_EEDaS11_S12_EUlS11_E_NS1_11comp_targetILNS1_3genE8ELNS1_11target_archE1030ELNS1_3gpuE2ELNS1_3repE0EEENS1_30default_config_static_selectorELNS0_4arch9wavefront6targetE1EEEvT1_, .Lfunc_end124-_ZN7rocprim17ROCPRIM_400000_NS6detail17trampoline_kernelINS0_14default_configENS1_25partition_config_selectorILNS1_17partition_subalgoE5ElNS0_10empty_typeEbEEZZNS1_14partition_implILS5_5ELb0ES3_mN6hipcub16HIPCUB_304000_NS21CountingInputIteratorIllEEPS6_NSA_22TransformInputIteratorIb7NonZeroIsEPslEENS0_5tupleIJPlS6_EEENSJ_IJSD_SD_EEES6_SK_JS6_EEE10hipError_tPvRmT3_T4_T5_T6_T7_T9_mT8_P12ihipStream_tbDpT10_ENKUlT_T0_E_clISt17integral_constantIbLb0EES16_EEDaS11_S12_EUlS11_E_NS1_11comp_targetILNS1_3genE8ELNS1_11target_archE1030ELNS1_3gpuE2ELNS1_3repE0EEENS1_30default_config_static_selectorELNS0_4arch9wavefront6targetE1EEEvT1_
                                        ; -- End function
	.set _ZN7rocprim17ROCPRIM_400000_NS6detail17trampoline_kernelINS0_14default_configENS1_25partition_config_selectorILNS1_17partition_subalgoE5ElNS0_10empty_typeEbEEZZNS1_14partition_implILS5_5ELb0ES3_mN6hipcub16HIPCUB_304000_NS21CountingInputIteratorIllEEPS6_NSA_22TransformInputIteratorIb7NonZeroIsEPslEENS0_5tupleIJPlS6_EEENSJ_IJSD_SD_EEES6_SK_JS6_EEE10hipError_tPvRmT3_T4_T5_T6_T7_T9_mT8_P12ihipStream_tbDpT10_ENKUlT_T0_E_clISt17integral_constantIbLb0EES16_EEDaS11_S12_EUlS11_E_NS1_11comp_targetILNS1_3genE8ELNS1_11target_archE1030ELNS1_3gpuE2ELNS1_3repE0EEENS1_30default_config_static_selectorELNS0_4arch9wavefront6targetE1EEEvT1_.num_vgpr, 0
	.set _ZN7rocprim17ROCPRIM_400000_NS6detail17trampoline_kernelINS0_14default_configENS1_25partition_config_selectorILNS1_17partition_subalgoE5ElNS0_10empty_typeEbEEZZNS1_14partition_implILS5_5ELb0ES3_mN6hipcub16HIPCUB_304000_NS21CountingInputIteratorIllEEPS6_NSA_22TransformInputIteratorIb7NonZeroIsEPslEENS0_5tupleIJPlS6_EEENSJ_IJSD_SD_EEES6_SK_JS6_EEE10hipError_tPvRmT3_T4_T5_T6_T7_T9_mT8_P12ihipStream_tbDpT10_ENKUlT_T0_E_clISt17integral_constantIbLb0EES16_EEDaS11_S12_EUlS11_E_NS1_11comp_targetILNS1_3genE8ELNS1_11target_archE1030ELNS1_3gpuE2ELNS1_3repE0EEENS1_30default_config_static_selectorELNS0_4arch9wavefront6targetE1EEEvT1_.num_agpr, 0
	.set _ZN7rocprim17ROCPRIM_400000_NS6detail17trampoline_kernelINS0_14default_configENS1_25partition_config_selectorILNS1_17partition_subalgoE5ElNS0_10empty_typeEbEEZZNS1_14partition_implILS5_5ELb0ES3_mN6hipcub16HIPCUB_304000_NS21CountingInputIteratorIllEEPS6_NSA_22TransformInputIteratorIb7NonZeroIsEPslEENS0_5tupleIJPlS6_EEENSJ_IJSD_SD_EEES6_SK_JS6_EEE10hipError_tPvRmT3_T4_T5_T6_T7_T9_mT8_P12ihipStream_tbDpT10_ENKUlT_T0_E_clISt17integral_constantIbLb0EES16_EEDaS11_S12_EUlS11_E_NS1_11comp_targetILNS1_3genE8ELNS1_11target_archE1030ELNS1_3gpuE2ELNS1_3repE0EEENS1_30default_config_static_selectorELNS0_4arch9wavefront6targetE1EEEvT1_.numbered_sgpr, 0
	.set _ZN7rocprim17ROCPRIM_400000_NS6detail17trampoline_kernelINS0_14default_configENS1_25partition_config_selectorILNS1_17partition_subalgoE5ElNS0_10empty_typeEbEEZZNS1_14partition_implILS5_5ELb0ES3_mN6hipcub16HIPCUB_304000_NS21CountingInputIteratorIllEEPS6_NSA_22TransformInputIteratorIb7NonZeroIsEPslEENS0_5tupleIJPlS6_EEENSJ_IJSD_SD_EEES6_SK_JS6_EEE10hipError_tPvRmT3_T4_T5_T6_T7_T9_mT8_P12ihipStream_tbDpT10_ENKUlT_T0_E_clISt17integral_constantIbLb0EES16_EEDaS11_S12_EUlS11_E_NS1_11comp_targetILNS1_3genE8ELNS1_11target_archE1030ELNS1_3gpuE2ELNS1_3repE0EEENS1_30default_config_static_selectorELNS0_4arch9wavefront6targetE1EEEvT1_.num_named_barrier, 0
	.set _ZN7rocprim17ROCPRIM_400000_NS6detail17trampoline_kernelINS0_14default_configENS1_25partition_config_selectorILNS1_17partition_subalgoE5ElNS0_10empty_typeEbEEZZNS1_14partition_implILS5_5ELb0ES3_mN6hipcub16HIPCUB_304000_NS21CountingInputIteratorIllEEPS6_NSA_22TransformInputIteratorIb7NonZeroIsEPslEENS0_5tupleIJPlS6_EEENSJ_IJSD_SD_EEES6_SK_JS6_EEE10hipError_tPvRmT3_T4_T5_T6_T7_T9_mT8_P12ihipStream_tbDpT10_ENKUlT_T0_E_clISt17integral_constantIbLb0EES16_EEDaS11_S12_EUlS11_E_NS1_11comp_targetILNS1_3genE8ELNS1_11target_archE1030ELNS1_3gpuE2ELNS1_3repE0EEENS1_30default_config_static_selectorELNS0_4arch9wavefront6targetE1EEEvT1_.private_seg_size, 0
	.set _ZN7rocprim17ROCPRIM_400000_NS6detail17trampoline_kernelINS0_14default_configENS1_25partition_config_selectorILNS1_17partition_subalgoE5ElNS0_10empty_typeEbEEZZNS1_14partition_implILS5_5ELb0ES3_mN6hipcub16HIPCUB_304000_NS21CountingInputIteratorIllEEPS6_NSA_22TransformInputIteratorIb7NonZeroIsEPslEENS0_5tupleIJPlS6_EEENSJ_IJSD_SD_EEES6_SK_JS6_EEE10hipError_tPvRmT3_T4_T5_T6_T7_T9_mT8_P12ihipStream_tbDpT10_ENKUlT_T0_E_clISt17integral_constantIbLb0EES16_EEDaS11_S12_EUlS11_E_NS1_11comp_targetILNS1_3genE8ELNS1_11target_archE1030ELNS1_3gpuE2ELNS1_3repE0EEENS1_30default_config_static_selectorELNS0_4arch9wavefront6targetE1EEEvT1_.uses_vcc, 0
	.set _ZN7rocprim17ROCPRIM_400000_NS6detail17trampoline_kernelINS0_14default_configENS1_25partition_config_selectorILNS1_17partition_subalgoE5ElNS0_10empty_typeEbEEZZNS1_14partition_implILS5_5ELb0ES3_mN6hipcub16HIPCUB_304000_NS21CountingInputIteratorIllEEPS6_NSA_22TransformInputIteratorIb7NonZeroIsEPslEENS0_5tupleIJPlS6_EEENSJ_IJSD_SD_EEES6_SK_JS6_EEE10hipError_tPvRmT3_T4_T5_T6_T7_T9_mT8_P12ihipStream_tbDpT10_ENKUlT_T0_E_clISt17integral_constantIbLb0EES16_EEDaS11_S12_EUlS11_E_NS1_11comp_targetILNS1_3genE8ELNS1_11target_archE1030ELNS1_3gpuE2ELNS1_3repE0EEENS1_30default_config_static_selectorELNS0_4arch9wavefront6targetE1EEEvT1_.uses_flat_scratch, 0
	.set _ZN7rocprim17ROCPRIM_400000_NS6detail17trampoline_kernelINS0_14default_configENS1_25partition_config_selectorILNS1_17partition_subalgoE5ElNS0_10empty_typeEbEEZZNS1_14partition_implILS5_5ELb0ES3_mN6hipcub16HIPCUB_304000_NS21CountingInputIteratorIllEEPS6_NSA_22TransformInputIteratorIb7NonZeroIsEPslEENS0_5tupleIJPlS6_EEENSJ_IJSD_SD_EEES6_SK_JS6_EEE10hipError_tPvRmT3_T4_T5_T6_T7_T9_mT8_P12ihipStream_tbDpT10_ENKUlT_T0_E_clISt17integral_constantIbLb0EES16_EEDaS11_S12_EUlS11_E_NS1_11comp_targetILNS1_3genE8ELNS1_11target_archE1030ELNS1_3gpuE2ELNS1_3repE0EEENS1_30default_config_static_selectorELNS0_4arch9wavefront6targetE1EEEvT1_.has_dyn_sized_stack, 0
	.set _ZN7rocprim17ROCPRIM_400000_NS6detail17trampoline_kernelINS0_14default_configENS1_25partition_config_selectorILNS1_17partition_subalgoE5ElNS0_10empty_typeEbEEZZNS1_14partition_implILS5_5ELb0ES3_mN6hipcub16HIPCUB_304000_NS21CountingInputIteratorIllEEPS6_NSA_22TransformInputIteratorIb7NonZeroIsEPslEENS0_5tupleIJPlS6_EEENSJ_IJSD_SD_EEES6_SK_JS6_EEE10hipError_tPvRmT3_T4_T5_T6_T7_T9_mT8_P12ihipStream_tbDpT10_ENKUlT_T0_E_clISt17integral_constantIbLb0EES16_EEDaS11_S12_EUlS11_E_NS1_11comp_targetILNS1_3genE8ELNS1_11target_archE1030ELNS1_3gpuE2ELNS1_3repE0EEENS1_30default_config_static_selectorELNS0_4arch9wavefront6targetE1EEEvT1_.has_recursion, 0
	.set _ZN7rocprim17ROCPRIM_400000_NS6detail17trampoline_kernelINS0_14default_configENS1_25partition_config_selectorILNS1_17partition_subalgoE5ElNS0_10empty_typeEbEEZZNS1_14partition_implILS5_5ELb0ES3_mN6hipcub16HIPCUB_304000_NS21CountingInputIteratorIllEEPS6_NSA_22TransformInputIteratorIb7NonZeroIsEPslEENS0_5tupleIJPlS6_EEENSJ_IJSD_SD_EEES6_SK_JS6_EEE10hipError_tPvRmT3_T4_T5_T6_T7_T9_mT8_P12ihipStream_tbDpT10_ENKUlT_T0_E_clISt17integral_constantIbLb0EES16_EEDaS11_S12_EUlS11_E_NS1_11comp_targetILNS1_3genE8ELNS1_11target_archE1030ELNS1_3gpuE2ELNS1_3repE0EEENS1_30default_config_static_selectorELNS0_4arch9wavefront6targetE1EEEvT1_.has_indirect_call, 0
	.section	.AMDGPU.csdata,"",@progbits
; Kernel info:
; codeLenInByte = 0
; TotalNumSgprs: 6
; NumVgprs: 0
; NumAgprs: 0
; TotalNumVgprs: 0
; ScratchSize: 0
; MemoryBound: 0
; FloatMode: 240
; IeeeMode: 1
; LDSByteSize: 0 bytes/workgroup (compile time only)
; SGPRBlocks: 0
; VGPRBlocks: 0
; NumSGPRsForWavesPerEU: 6
; NumVGPRsForWavesPerEU: 1
; AccumOffset: 4
; Occupancy: 8
; WaveLimiterHint : 0
; COMPUTE_PGM_RSRC2:SCRATCH_EN: 0
; COMPUTE_PGM_RSRC2:USER_SGPR: 2
; COMPUTE_PGM_RSRC2:TRAP_HANDLER: 0
; COMPUTE_PGM_RSRC2:TGID_X_EN: 1
; COMPUTE_PGM_RSRC2:TGID_Y_EN: 0
; COMPUTE_PGM_RSRC2:TGID_Z_EN: 0
; COMPUTE_PGM_RSRC2:TIDIG_COMP_CNT: 0
; COMPUTE_PGM_RSRC3_GFX90A:ACCUM_OFFSET: 0
; COMPUTE_PGM_RSRC3_GFX90A:TG_SPLIT: 0
	.section	.text._ZN7rocprim17ROCPRIM_400000_NS6detail17trampoline_kernelINS0_14default_configENS1_25partition_config_selectorILNS1_17partition_subalgoE5ElNS0_10empty_typeEbEEZZNS1_14partition_implILS5_5ELb0ES3_mN6hipcub16HIPCUB_304000_NS21CountingInputIteratorIllEEPS6_NSA_22TransformInputIteratorIb7NonZeroIsEPslEENS0_5tupleIJPlS6_EEENSJ_IJSD_SD_EEES6_SK_JS6_EEE10hipError_tPvRmT3_T4_T5_T6_T7_T9_mT8_P12ihipStream_tbDpT10_ENKUlT_T0_E_clISt17integral_constantIbLb1EES16_EEDaS11_S12_EUlS11_E_NS1_11comp_targetILNS1_3genE0ELNS1_11target_archE4294967295ELNS1_3gpuE0ELNS1_3repE0EEENS1_30default_config_static_selectorELNS0_4arch9wavefront6targetE1EEEvT1_,"axG",@progbits,_ZN7rocprim17ROCPRIM_400000_NS6detail17trampoline_kernelINS0_14default_configENS1_25partition_config_selectorILNS1_17partition_subalgoE5ElNS0_10empty_typeEbEEZZNS1_14partition_implILS5_5ELb0ES3_mN6hipcub16HIPCUB_304000_NS21CountingInputIteratorIllEEPS6_NSA_22TransformInputIteratorIb7NonZeroIsEPslEENS0_5tupleIJPlS6_EEENSJ_IJSD_SD_EEES6_SK_JS6_EEE10hipError_tPvRmT3_T4_T5_T6_T7_T9_mT8_P12ihipStream_tbDpT10_ENKUlT_T0_E_clISt17integral_constantIbLb1EES16_EEDaS11_S12_EUlS11_E_NS1_11comp_targetILNS1_3genE0ELNS1_11target_archE4294967295ELNS1_3gpuE0ELNS1_3repE0EEENS1_30default_config_static_selectorELNS0_4arch9wavefront6targetE1EEEvT1_,comdat
	.protected	_ZN7rocprim17ROCPRIM_400000_NS6detail17trampoline_kernelINS0_14default_configENS1_25partition_config_selectorILNS1_17partition_subalgoE5ElNS0_10empty_typeEbEEZZNS1_14partition_implILS5_5ELb0ES3_mN6hipcub16HIPCUB_304000_NS21CountingInputIteratorIllEEPS6_NSA_22TransformInputIteratorIb7NonZeroIsEPslEENS0_5tupleIJPlS6_EEENSJ_IJSD_SD_EEES6_SK_JS6_EEE10hipError_tPvRmT3_T4_T5_T6_T7_T9_mT8_P12ihipStream_tbDpT10_ENKUlT_T0_E_clISt17integral_constantIbLb1EES16_EEDaS11_S12_EUlS11_E_NS1_11comp_targetILNS1_3genE0ELNS1_11target_archE4294967295ELNS1_3gpuE0ELNS1_3repE0EEENS1_30default_config_static_selectorELNS0_4arch9wavefront6targetE1EEEvT1_ ; -- Begin function _ZN7rocprim17ROCPRIM_400000_NS6detail17trampoline_kernelINS0_14default_configENS1_25partition_config_selectorILNS1_17partition_subalgoE5ElNS0_10empty_typeEbEEZZNS1_14partition_implILS5_5ELb0ES3_mN6hipcub16HIPCUB_304000_NS21CountingInputIteratorIllEEPS6_NSA_22TransformInputIteratorIb7NonZeroIsEPslEENS0_5tupleIJPlS6_EEENSJ_IJSD_SD_EEES6_SK_JS6_EEE10hipError_tPvRmT3_T4_T5_T6_T7_T9_mT8_P12ihipStream_tbDpT10_ENKUlT_T0_E_clISt17integral_constantIbLb1EES16_EEDaS11_S12_EUlS11_E_NS1_11comp_targetILNS1_3genE0ELNS1_11target_archE4294967295ELNS1_3gpuE0ELNS1_3repE0EEENS1_30default_config_static_selectorELNS0_4arch9wavefront6targetE1EEEvT1_
	.globl	_ZN7rocprim17ROCPRIM_400000_NS6detail17trampoline_kernelINS0_14default_configENS1_25partition_config_selectorILNS1_17partition_subalgoE5ElNS0_10empty_typeEbEEZZNS1_14partition_implILS5_5ELb0ES3_mN6hipcub16HIPCUB_304000_NS21CountingInputIteratorIllEEPS6_NSA_22TransformInputIteratorIb7NonZeroIsEPslEENS0_5tupleIJPlS6_EEENSJ_IJSD_SD_EEES6_SK_JS6_EEE10hipError_tPvRmT3_T4_T5_T6_T7_T9_mT8_P12ihipStream_tbDpT10_ENKUlT_T0_E_clISt17integral_constantIbLb1EES16_EEDaS11_S12_EUlS11_E_NS1_11comp_targetILNS1_3genE0ELNS1_11target_archE4294967295ELNS1_3gpuE0ELNS1_3repE0EEENS1_30default_config_static_selectorELNS0_4arch9wavefront6targetE1EEEvT1_
	.p2align	8
	.type	_ZN7rocprim17ROCPRIM_400000_NS6detail17trampoline_kernelINS0_14default_configENS1_25partition_config_selectorILNS1_17partition_subalgoE5ElNS0_10empty_typeEbEEZZNS1_14partition_implILS5_5ELb0ES3_mN6hipcub16HIPCUB_304000_NS21CountingInputIteratorIllEEPS6_NSA_22TransformInputIteratorIb7NonZeroIsEPslEENS0_5tupleIJPlS6_EEENSJ_IJSD_SD_EEES6_SK_JS6_EEE10hipError_tPvRmT3_T4_T5_T6_T7_T9_mT8_P12ihipStream_tbDpT10_ENKUlT_T0_E_clISt17integral_constantIbLb1EES16_EEDaS11_S12_EUlS11_E_NS1_11comp_targetILNS1_3genE0ELNS1_11target_archE4294967295ELNS1_3gpuE0ELNS1_3repE0EEENS1_30default_config_static_selectorELNS0_4arch9wavefront6targetE1EEEvT1_,@function
_ZN7rocprim17ROCPRIM_400000_NS6detail17trampoline_kernelINS0_14default_configENS1_25partition_config_selectorILNS1_17partition_subalgoE5ElNS0_10empty_typeEbEEZZNS1_14partition_implILS5_5ELb0ES3_mN6hipcub16HIPCUB_304000_NS21CountingInputIteratorIllEEPS6_NSA_22TransformInputIteratorIb7NonZeroIsEPslEENS0_5tupleIJPlS6_EEENSJ_IJSD_SD_EEES6_SK_JS6_EEE10hipError_tPvRmT3_T4_T5_T6_T7_T9_mT8_P12ihipStream_tbDpT10_ENKUlT_T0_E_clISt17integral_constantIbLb1EES16_EEDaS11_S12_EUlS11_E_NS1_11comp_targetILNS1_3genE0ELNS1_11target_archE4294967295ELNS1_3gpuE0ELNS1_3repE0EEENS1_30default_config_static_selectorELNS0_4arch9wavefront6targetE1EEEvT1_: ; @_ZN7rocprim17ROCPRIM_400000_NS6detail17trampoline_kernelINS0_14default_configENS1_25partition_config_selectorILNS1_17partition_subalgoE5ElNS0_10empty_typeEbEEZZNS1_14partition_implILS5_5ELb0ES3_mN6hipcub16HIPCUB_304000_NS21CountingInputIteratorIllEEPS6_NSA_22TransformInputIteratorIb7NonZeroIsEPslEENS0_5tupleIJPlS6_EEENSJ_IJSD_SD_EEES6_SK_JS6_EEE10hipError_tPvRmT3_T4_T5_T6_T7_T9_mT8_P12ihipStream_tbDpT10_ENKUlT_T0_E_clISt17integral_constantIbLb1EES16_EEDaS11_S12_EUlS11_E_NS1_11comp_targetILNS1_3genE0ELNS1_11target_archE4294967295ELNS1_3gpuE0ELNS1_3repE0EEENS1_30default_config_static_selectorELNS0_4arch9wavefront6targetE1EEEvT1_
; %bb.0:
	s_endpgm
	.section	.rodata,"a",@progbits
	.p2align	6, 0x0
	.amdhsa_kernel _ZN7rocprim17ROCPRIM_400000_NS6detail17trampoline_kernelINS0_14default_configENS1_25partition_config_selectorILNS1_17partition_subalgoE5ElNS0_10empty_typeEbEEZZNS1_14partition_implILS5_5ELb0ES3_mN6hipcub16HIPCUB_304000_NS21CountingInputIteratorIllEEPS6_NSA_22TransformInputIteratorIb7NonZeroIsEPslEENS0_5tupleIJPlS6_EEENSJ_IJSD_SD_EEES6_SK_JS6_EEE10hipError_tPvRmT3_T4_T5_T6_T7_T9_mT8_P12ihipStream_tbDpT10_ENKUlT_T0_E_clISt17integral_constantIbLb1EES16_EEDaS11_S12_EUlS11_E_NS1_11comp_targetILNS1_3genE0ELNS1_11target_archE4294967295ELNS1_3gpuE0ELNS1_3repE0EEENS1_30default_config_static_selectorELNS0_4arch9wavefront6targetE1EEEvT1_
		.amdhsa_group_segment_fixed_size 0
		.amdhsa_private_segment_fixed_size 0
		.amdhsa_kernarg_size 136
		.amdhsa_user_sgpr_count 2
		.amdhsa_user_sgpr_dispatch_ptr 0
		.amdhsa_user_sgpr_queue_ptr 0
		.amdhsa_user_sgpr_kernarg_segment_ptr 1
		.amdhsa_user_sgpr_dispatch_id 0
		.amdhsa_user_sgpr_kernarg_preload_length 0
		.amdhsa_user_sgpr_kernarg_preload_offset 0
		.amdhsa_user_sgpr_private_segment_size 0
		.amdhsa_uses_dynamic_stack 0
		.amdhsa_enable_private_segment 0
		.amdhsa_system_sgpr_workgroup_id_x 1
		.amdhsa_system_sgpr_workgroup_id_y 0
		.amdhsa_system_sgpr_workgroup_id_z 0
		.amdhsa_system_sgpr_workgroup_info 0
		.amdhsa_system_vgpr_workitem_id 0
		.amdhsa_next_free_vgpr 1
		.amdhsa_next_free_sgpr 0
		.amdhsa_accum_offset 4
		.amdhsa_reserve_vcc 0
		.amdhsa_float_round_mode_32 0
		.amdhsa_float_round_mode_16_64 0
		.amdhsa_float_denorm_mode_32 3
		.amdhsa_float_denorm_mode_16_64 3
		.amdhsa_dx10_clamp 1
		.amdhsa_ieee_mode 1
		.amdhsa_fp16_overflow 0
		.amdhsa_tg_split 0
		.amdhsa_exception_fp_ieee_invalid_op 0
		.amdhsa_exception_fp_denorm_src 0
		.amdhsa_exception_fp_ieee_div_zero 0
		.amdhsa_exception_fp_ieee_overflow 0
		.amdhsa_exception_fp_ieee_underflow 0
		.amdhsa_exception_fp_ieee_inexact 0
		.amdhsa_exception_int_div_zero 0
	.end_amdhsa_kernel
	.section	.text._ZN7rocprim17ROCPRIM_400000_NS6detail17trampoline_kernelINS0_14default_configENS1_25partition_config_selectorILNS1_17partition_subalgoE5ElNS0_10empty_typeEbEEZZNS1_14partition_implILS5_5ELb0ES3_mN6hipcub16HIPCUB_304000_NS21CountingInputIteratorIllEEPS6_NSA_22TransformInputIteratorIb7NonZeroIsEPslEENS0_5tupleIJPlS6_EEENSJ_IJSD_SD_EEES6_SK_JS6_EEE10hipError_tPvRmT3_T4_T5_T6_T7_T9_mT8_P12ihipStream_tbDpT10_ENKUlT_T0_E_clISt17integral_constantIbLb1EES16_EEDaS11_S12_EUlS11_E_NS1_11comp_targetILNS1_3genE0ELNS1_11target_archE4294967295ELNS1_3gpuE0ELNS1_3repE0EEENS1_30default_config_static_selectorELNS0_4arch9wavefront6targetE1EEEvT1_,"axG",@progbits,_ZN7rocprim17ROCPRIM_400000_NS6detail17trampoline_kernelINS0_14default_configENS1_25partition_config_selectorILNS1_17partition_subalgoE5ElNS0_10empty_typeEbEEZZNS1_14partition_implILS5_5ELb0ES3_mN6hipcub16HIPCUB_304000_NS21CountingInputIteratorIllEEPS6_NSA_22TransformInputIteratorIb7NonZeroIsEPslEENS0_5tupleIJPlS6_EEENSJ_IJSD_SD_EEES6_SK_JS6_EEE10hipError_tPvRmT3_T4_T5_T6_T7_T9_mT8_P12ihipStream_tbDpT10_ENKUlT_T0_E_clISt17integral_constantIbLb1EES16_EEDaS11_S12_EUlS11_E_NS1_11comp_targetILNS1_3genE0ELNS1_11target_archE4294967295ELNS1_3gpuE0ELNS1_3repE0EEENS1_30default_config_static_selectorELNS0_4arch9wavefront6targetE1EEEvT1_,comdat
.Lfunc_end125:
	.size	_ZN7rocprim17ROCPRIM_400000_NS6detail17trampoline_kernelINS0_14default_configENS1_25partition_config_selectorILNS1_17partition_subalgoE5ElNS0_10empty_typeEbEEZZNS1_14partition_implILS5_5ELb0ES3_mN6hipcub16HIPCUB_304000_NS21CountingInputIteratorIllEEPS6_NSA_22TransformInputIteratorIb7NonZeroIsEPslEENS0_5tupleIJPlS6_EEENSJ_IJSD_SD_EEES6_SK_JS6_EEE10hipError_tPvRmT3_T4_T5_T6_T7_T9_mT8_P12ihipStream_tbDpT10_ENKUlT_T0_E_clISt17integral_constantIbLb1EES16_EEDaS11_S12_EUlS11_E_NS1_11comp_targetILNS1_3genE0ELNS1_11target_archE4294967295ELNS1_3gpuE0ELNS1_3repE0EEENS1_30default_config_static_selectorELNS0_4arch9wavefront6targetE1EEEvT1_, .Lfunc_end125-_ZN7rocprim17ROCPRIM_400000_NS6detail17trampoline_kernelINS0_14default_configENS1_25partition_config_selectorILNS1_17partition_subalgoE5ElNS0_10empty_typeEbEEZZNS1_14partition_implILS5_5ELb0ES3_mN6hipcub16HIPCUB_304000_NS21CountingInputIteratorIllEEPS6_NSA_22TransformInputIteratorIb7NonZeroIsEPslEENS0_5tupleIJPlS6_EEENSJ_IJSD_SD_EEES6_SK_JS6_EEE10hipError_tPvRmT3_T4_T5_T6_T7_T9_mT8_P12ihipStream_tbDpT10_ENKUlT_T0_E_clISt17integral_constantIbLb1EES16_EEDaS11_S12_EUlS11_E_NS1_11comp_targetILNS1_3genE0ELNS1_11target_archE4294967295ELNS1_3gpuE0ELNS1_3repE0EEENS1_30default_config_static_selectorELNS0_4arch9wavefront6targetE1EEEvT1_
                                        ; -- End function
	.set _ZN7rocprim17ROCPRIM_400000_NS6detail17trampoline_kernelINS0_14default_configENS1_25partition_config_selectorILNS1_17partition_subalgoE5ElNS0_10empty_typeEbEEZZNS1_14partition_implILS5_5ELb0ES3_mN6hipcub16HIPCUB_304000_NS21CountingInputIteratorIllEEPS6_NSA_22TransformInputIteratorIb7NonZeroIsEPslEENS0_5tupleIJPlS6_EEENSJ_IJSD_SD_EEES6_SK_JS6_EEE10hipError_tPvRmT3_T4_T5_T6_T7_T9_mT8_P12ihipStream_tbDpT10_ENKUlT_T0_E_clISt17integral_constantIbLb1EES16_EEDaS11_S12_EUlS11_E_NS1_11comp_targetILNS1_3genE0ELNS1_11target_archE4294967295ELNS1_3gpuE0ELNS1_3repE0EEENS1_30default_config_static_selectorELNS0_4arch9wavefront6targetE1EEEvT1_.num_vgpr, 0
	.set _ZN7rocprim17ROCPRIM_400000_NS6detail17trampoline_kernelINS0_14default_configENS1_25partition_config_selectorILNS1_17partition_subalgoE5ElNS0_10empty_typeEbEEZZNS1_14partition_implILS5_5ELb0ES3_mN6hipcub16HIPCUB_304000_NS21CountingInputIteratorIllEEPS6_NSA_22TransformInputIteratorIb7NonZeroIsEPslEENS0_5tupleIJPlS6_EEENSJ_IJSD_SD_EEES6_SK_JS6_EEE10hipError_tPvRmT3_T4_T5_T6_T7_T9_mT8_P12ihipStream_tbDpT10_ENKUlT_T0_E_clISt17integral_constantIbLb1EES16_EEDaS11_S12_EUlS11_E_NS1_11comp_targetILNS1_3genE0ELNS1_11target_archE4294967295ELNS1_3gpuE0ELNS1_3repE0EEENS1_30default_config_static_selectorELNS0_4arch9wavefront6targetE1EEEvT1_.num_agpr, 0
	.set _ZN7rocprim17ROCPRIM_400000_NS6detail17trampoline_kernelINS0_14default_configENS1_25partition_config_selectorILNS1_17partition_subalgoE5ElNS0_10empty_typeEbEEZZNS1_14partition_implILS5_5ELb0ES3_mN6hipcub16HIPCUB_304000_NS21CountingInputIteratorIllEEPS6_NSA_22TransformInputIteratorIb7NonZeroIsEPslEENS0_5tupleIJPlS6_EEENSJ_IJSD_SD_EEES6_SK_JS6_EEE10hipError_tPvRmT3_T4_T5_T6_T7_T9_mT8_P12ihipStream_tbDpT10_ENKUlT_T0_E_clISt17integral_constantIbLb1EES16_EEDaS11_S12_EUlS11_E_NS1_11comp_targetILNS1_3genE0ELNS1_11target_archE4294967295ELNS1_3gpuE0ELNS1_3repE0EEENS1_30default_config_static_selectorELNS0_4arch9wavefront6targetE1EEEvT1_.numbered_sgpr, 0
	.set _ZN7rocprim17ROCPRIM_400000_NS6detail17trampoline_kernelINS0_14default_configENS1_25partition_config_selectorILNS1_17partition_subalgoE5ElNS0_10empty_typeEbEEZZNS1_14partition_implILS5_5ELb0ES3_mN6hipcub16HIPCUB_304000_NS21CountingInputIteratorIllEEPS6_NSA_22TransformInputIteratorIb7NonZeroIsEPslEENS0_5tupleIJPlS6_EEENSJ_IJSD_SD_EEES6_SK_JS6_EEE10hipError_tPvRmT3_T4_T5_T6_T7_T9_mT8_P12ihipStream_tbDpT10_ENKUlT_T0_E_clISt17integral_constantIbLb1EES16_EEDaS11_S12_EUlS11_E_NS1_11comp_targetILNS1_3genE0ELNS1_11target_archE4294967295ELNS1_3gpuE0ELNS1_3repE0EEENS1_30default_config_static_selectorELNS0_4arch9wavefront6targetE1EEEvT1_.num_named_barrier, 0
	.set _ZN7rocprim17ROCPRIM_400000_NS6detail17trampoline_kernelINS0_14default_configENS1_25partition_config_selectorILNS1_17partition_subalgoE5ElNS0_10empty_typeEbEEZZNS1_14partition_implILS5_5ELb0ES3_mN6hipcub16HIPCUB_304000_NS21CountingInputIteratorIllEEPS6_NSA_22TransformInputIteratorIb7NonZeroIsEPslEENS0_5tupleIJPlS6_EEENSJ_IJSD_SD_EEES6_SK_JS6_EEE10hipError_tPvRmT3_T4_T5_T6_T7_T9_mT8_P12ihipStream_tbDpT10_ENKUlT_T0_E_clISt17integral_constantIbLb1EES16_EEDaS11_S12_EUlS11_E_NS1_11comp_targetILNS1_3genE0ELNS1_11target_archE4294967295ELNS1_3gpuE0ELNS1_3repE0EEENS1_30default_config_static_selectorELNS0_4arch9wavefront6targetE1EEEvT1_.private_seg_size, 0
	.set _ZN7rocprim17ROCPRIM_400000_NS6detail17trampoline_kernelINS0_14default_configENS1_25partition_config_selectorILNS1_17partition_subalgoE5ElNS0_10empty_typeEbEEZZNS1_14partition_implILS5_5ELb0ES3_mN6hipcub16HIPCUB_304000_NS21CountingInputIteratorIllEEPS6_NSA_22TransformInputIteratorIb7NonZeroIsEPslEENS0_5tupleIJPlS6_EEENSJ_IJSD_SD_EEES6_SK_JS6_EEE10hipError_tPvRmT3_T4_T5_T6_T7_T9_mT8_P12ihipStream_tbDpT10_ENKUlT_T0_E_clISt17integral_constantIbLb1EES16_EEDaS11_S12_EUlS11_E_NS1_11comp_targetILNS1_3genE0ELNS1_11target_archE4294967295ELNS1_3gpuE0ELNS1_3repE0EEENS1_30default_config_static_selectorELNS0_4arch9wavefront6targetE1EEEvT1_.uses_vcc, 0
	.set _ZN7rocprim17ROCPRIM_400000_NS6detail17trampoline_kernelINS0_14default_configENS1_25partition_config_selectorILNS1_17partition_subalgoE5ElNS0_10empty_typeEbEEZZNS1_14partition_implILS5_5ELb0ES3_mN6hipcub16HIPCUB_304000_NS21CountingInputIteratorIllEEPS6_NSA_22TransformInputIteratorIb7NonZeroIsEPslEENS0_5tupleIJPlS6_EEENSJ_IJSD_SD_EEES6_SK_JS6_EEE10hipError_tPvRmT3_T4_T5_T6_T7_T9_mT8_P12ihipStream_tbDpT10_ENKUlT_T0_E_clISt17integral_constantIbLb1EES16_EEDaS11_S12_EUlS11_E_NS1_11comp_targetILNS1_3genE0ELNS1_11target_archE4294967295ELNS1_3gpuE0ELNS1_3repE0EEENS1_30default_config_static_selectorELNS0_4arch9wavefront6targetE1EEEvT1_.uses_flat_scratch, 0
	.set _ZN7rocprim17ROCPRIM_400000_NS6detail17trampoline_kernelINS0_14default_configENS1_25partition_config_selectorILNS1_17partition_subalgoE5ElNS0_10empty_typeEbEEZZNS1_14partition_implILS5_5ELb0ES3_mN6hipcub16HIPCUB_304000_NS21CountingInputIteratorIllEEPS6_NSA_22TransformInputIteratorIb7NonZeroIsEPslEENS0_5tupleIJPlS6_EEENSJ_IJSD_SD_EEES6_SK_JS6_EEE10hipError_tPvRmT3_T4_T5_T6_T7_T9_mT8_P12ihipStream_tbDpT10_ENKUlT_T0_E_clISt17integral_constantIbLb1EES16_EEDaS11_S12_EUlS11_E_NS1_11comp_targetILNS1_3genE0ELNS1_11target_archE4294967295ELNS1_3gpuE0ELNS1_3repE0EEENS1_30default_config_static_selectorELNS0_4arch9wavefront6targetE1EEEvT1_.has_dyn_sized_stack, 0
	.set _ZN7rocprim17ROCPRIM_400000_NS6detail17trampoline_kernelINS0_14default_configENS1_25partition_config_selectorILNS1_17partition_subalgoE5ElNS0_10empty_typeEbEEZZNS1_14partition_implILS5_5ELb0ES3_mN6hipcub16HIPCUB_304000_NS21CountingInputIteratorIllEEPS6_NSA_22TransformInputIteratorIb7NonZeroIsEPslEENS0_5tupleIJPlS6_EEENSJ_IJSD_SD_EEES6_SK_JS6_EEE10hipError_tPvRmT3_T4_T5_T6_T7_T9_mT8_P12ihipStream_tbDpT10_ENKUlT_T0_E_clISt17integral_constantIbLb1EES16_EEDaS11_S12_EUlS11_E_NS1_11comp_targetILNS1_3genE0ELNS1_11target_archE4294967295ELNS1_3gpuE0ELNS1_3repE0EEENS1_30default_config_static_selectorELNS0_4arch9wavefront6targetE1EEEvT1_.has_recursion, 0
	.set _ZN7rocprim17ROCPRIM_400000_NS6detail17trampoline_kernelINS0_14default_configENS1_25partition_config_selectorILNS1_17partition_subalgoE5ElNS0_10empty_typeEbEEZZNS1_14partition_implILS5_5ELb0ES3_mN6hipcub16HIPCUB_304000_NS21CountingInputIteratorIllEEPS6_NSA_22TransformInputIteratorIb7NonZeroIsEPslEENS0_5tupleIJPlS6_EEENSJ_IJSD_SD_EEES6_SK_JS6_EEE10hipError_tPvRmT3_T4_T5_T6_T7_T9_mT8_P12ihipStream_tbDpT10_ENKUlT_T0_E_clISt17integral_constantIbLb1EES16_EEDaS11_S12_EUlS11_E_NS1_11comp_targetILNS1_3genE0ELNS1_11target_archE4294967295ELNS1_3gpuE0ELNS1_3repE0EEENS1_30default_config_static_selectorELNS0_4arch9wavefront6targetE1EEEvT1_.has_indirect_call, 0
	.section	.AMDGPU.csdata,"",@progbits
; Kernel info:
; codeLenInByte = 4
; TotalNumSgprs: 6
; NumVgprs: 0
; NumAgprs: 0
; TotalNumVgprs: 0
; ScratchSize: 0
; MemoryBound: 0
; FloatMode: 240
; IeeeMode: 1
; LDSByteSize: 0 bytes/workgroup (compile time only)
; SGPRBlocks: 0
; VGPRBlocks: 0
; NumSGPRsForWavesPerEU: 6
; NumVGPRsForWavesPerEU: 1
; AccumOffset: 4
; Occupancy: 8
; WaveLimiterHint : 0
; COMPUTE_PGM_RSRC2:SCRATCH_EN: 0
; COMPUTE_PGM_RSRC2:USER_SGPR: 2
; COMPUTE_PGM_RSRC2:TRAP_HANDLER: 0
; COMPUTE_PGM_RSRC2:TGID_X_EN: 1
; COMPUTE_PGM_RSRC2:TGID_Y_EN: 0
; COMPUTE_PGM_RSRC2:TGID_Z_EN: 0
; COMPUTE_PGM_RSRC2:TIDIG_COMP_CNT: 0
; COMPUTE_PGM_RSRC3_GFX90A:ACCUM_OFFSET: 0
; COMPUTE_PGM_RSRC3_GFX90A:TG_SPLIT: 0
	.section	.text._ZN7rocprim17ROCPRIM_400000_NS6detail17trampoline_kernelINS0_14default_configENS1_25partition_config_selectorILNS1_17partition_subalgoE5ElNS0_10empty_typeEbEEZZNS1_14partition_implILS5_5ELb0ES3_mN6hipcub16HIPCUB_304000_NS21CountingInputIteratorIllEEPS6_NSA_22TransformInputIteratorIb7NonZeroIsEPslEENS0_5tupleIJPlS6_EEENSJ_IJSD_SD_EEES6_SK_JS6_EEE10hipError_tPvRmT3_T4_T5_T6_T7_T9_mT8_P12ihipStream_tbDpT10_ENKUlT_T0_E_clISt17integral_constantIbLb1EES16_EEDaS11_S12_EUlS11_E_NS1_11comp_targetILNS1_3genE5ELNS1_11target_archE942ELNS1_3gpuE9ELNS1_3repE0EEENS1_30default_config_static_selectorELNS0_4arch9wavefront6targetE1EEEvT1_,"axG",@progbits,_ZN7rocprim17ROCPRIM_400000_NS6detail17trampoline_kernelINS0_14default_configENS1_25partition_config_selectorILNS1_17partition_subalgoE5ElNS0_10empty_typeEbEEZZNS1_14partition_implILS5_5ELb0ES3_mN6hipcub16HIPCUB_304000_NS21CountingInputIteratorIllEEPS6_NSA_22TransformInputIteratorIb7NonZeroIsEPslEENS0_5tupleIJPlS6_EEENSJ_IJSD_SD_EEES6_SK_JS6_EEE10hipError_tPvRmT3_T4_T5_T6_T7_T9_mT8_P12ihipStream_tbDpT10_ENKUlT_T0_E_clISt17integral_constantIbLb1EES16_EEDaS11_S12_EUlS11_E_NS1_11comp_targetILNS1_3genE5ELNS1_11target_archE942ELNS1_3gpuE9ELNS1_3repE0EEENS1_30default_config_static_selectorELNS0_4arch9wavefront6targetE1EEEvT1_,comdat
	.protected	_ZN7rocprim17ROCPRIM_400000_NS6detail17trampoline_kernelINS0_14default_configENS1_25partition_config_selectorILNS1_17partition_subalgoE5ElNS0_10empty_typeEbEEZZNS1_14partition_implILS5_5ELb0ES3_mN6hipcub16HIPCUB_304000_NS21CountingInputIteratorIllEEPS6_NSA_22TransformInputIteratorIb7NonZeroIsEPslEENS0_5tupleIJPlS6_EEENSJ_IJSD_SD_EEES6_SK_JS6_EEE10hipError_tPvRmT3_T4_T5_T6_T7_T9_mT8_P12ihipStream_tbDpT10_ENKUlT_T0_E_clISt17integral_constantIbLb1EES16_EEDaS11_S12_EUlS11_E_NS1_11comp_targetILNS1_3genE5ELNS1_11target_archE942ELNS1_3gpuE9ELNS1_3repE0EEENS1_30default_config_static_selectorELNS0_4arch9wavefront6targetE1EEEvT1_ ; -- Begin function _ZN7rocprim17ROCPRIM_400000_NS6detail17trampoline_kernelINS0_14default_configENS1_25partition_config_selectorILNS1_17partition_subalgoE5ElNS0_10empty_typeEbEEZZNS1_14partition_implILS5_5ELb0ES3_mN6hipcub16HIPCUB_304000_NS21CountingInputIteratorIllEEPS6_NSA_22TransformInputIteratorIb7NonZeroIsEPslEENS0_5tupleIJPlS6_EEENSJ_IJSD_SD_EEES6_SK_JS6_EEE10hipError_tPvRmT3_T4_T5_T6_T7_T9_mT8_P12ihipStream_tbDpT10_ENKUlT_T0_E_clISt17integral_constantIbLb1EES16_EEDaS11_S12_EUlS11_E_NS1_11comp_targetILNS1_3genE5ELNS1_11target_archE942ELNS1_3gpuE9ELNS1_3repE0EEENS1_30default_config_static_selectorELNS0_4arch9wavefront6targetE1EEEvT1_
	.globl	_ZN7rocprim17ROCPRIM_400000_NS6detail17trampoline_kernelINS0_14default_configENS1_25partition_config_selectorILNS1_17partition_subalgoE5ElNS0_10empty_typeEbEEZZNS1_14partition_implILS5_5ELb0ES3_mN6hipcub16HIPCUB_304000_NS21CountingInputIteratorIllEEPS6_NSA_22TransformInputIteratorIb7NonZeroIsEPslEENS0_5tupleIJPlS6_EEENSJ_IJSD_SD_EEES6_SK_JS6_EEE10hipError_tPvRmT3_T4_T5_T6_T7_T9_mT8_P12ihipStream_tbDpT10_ENKUlT_T0_E_clISt17integral_constantIbLb1EES16_EEDaS11_S12_EUlS11_E_NS1_11comp_targetILNS1_3genE5ELNS1_11target_archE942ELNS1_3gpuE9ELNS1_3repE0EEENS1_30default_config_static_selectorELNS0_4arch9wavefront6targetE1EEEvT1_
	.p2align	8
	.type	_ZN7rocprim17ROCPRIM_400000_NS6detail17trampoline_kernelINS0_14default_configENS1_25partition_config_selectorILNS1_17partition_subalgoE5ElNS0_10empty_typeEbEEZZNS1_14partition_implILS5_5ELb0ES3_mN6hipcub16HIPCUB_304000_NS21CountingInputIteratorIllEEPS6_NSA_22TransformInputIteratorIb7NonZeroIsEPslEENS0_5tupleIJPlS6_EEENSJ_IJSD_SD_EEES6_SK_JS6_EEE10hipError_tPvRmT3_T4_T5_T6_T7_T9_mT8_P12ihipStream_tbDpT10_ENKUlT_T0_E_clISt17integral_constantIbLb1EES16_EEDaS11_S12_EUlS11_E_NS1_11comp_targetILNS1_3genE5ELNS1_11target_archE942ELNS1_3gpuE9ELNS1_3repE0EEENS1_30default_config_static_selectorELNS0_4arch9wavefront6targetE1EEEvT1_,@function
_ZN7rocprim17ROCPRIM_400000_NS6detail17trampoline_kernelINS0_14default_configENS1_25partition_config_selectorILNS1_17partition_subalgoE5ElNS0_10empty_typeEbEEZZNS1_14partition_implILS5_5ELb0ES3_mN6hipcub16HIPCUB_304000_NS21CountingInputIteratorIllEEPS6_NSA_22TransformInputIteratorIb7NonZeroIsEPslEENS0_5tupleIJPlS6_EEENSJ_IJSD_SD_EEES6_SK_JS6_EEE10hipError_tPvRmT3_T4_T5_T6_T7_T9_mT8_P12ihipStream_tbDpT10_ENKUlT_T0_E_clISt17integral_constantIbLb1EES16_EEDaS11_S12_EUlS11_E_NS1_11comp_targetILNS1_3genE5ELNS1_11target_archE942ELNS1_3gpuE9ELNS1_3repE0EEENS1_30default_config_static_selectorELNS0_4arch9wavefront6targetE1EEEvT1_: ; @_ZN7rocprim17ROCPRIM_400000_NS6detail17trampoline_kernelINS0_14default_configENS1_25partition_config_selectorILNS1_17partition_subalgoE5ElNS0_10empty_typeEbEEZZNS1_14partition_implILS5_5ELb0ES3_mN6hipcub16HIPCUB_304000_NS21CountingInputIteratorIllEEPS6_NSA_22TransformInputIteratorIb7NonZeroIsEPslEENS0_5tupleIJPlS6_EEENSJ_IJSD_SD_EEES6_SK_JS6_EEE10hipError_tPvRmT3_T4_T5_T6_T7_T9_mT8_P12ihipStream_tbDpT10_ENKUlT_T0_E_clISt17integral_constantIbLb1EES16_EEDaS11_S12_EUlS11_E_NS1_11comp_targetILNS1_3genE5ELNS1_11target_archE942ELNS1_3gpuE9ELNS1_3repE0EEENS1_30default_config_static_selectorELNS0_4arch9wavefront6targetE1EEEvT1_
; %bb.0:
	.section	.rodata,"a",@progbits
	.p2align	6, 0x0
	.amdhsa_kernel _ZN7rocprim17ROCPRIM_400000_NS6detail17trampoline_kernelINS0_14default_configENS1_25partition_config_selectorILNS1_17partition_subalgoE5ElNS0_10empty_typeEbEEZZNS1_14partition_implILS5_5ELb0ES3_mN6hipcub16HIPCUB_304000_NS21CountingInputIteratorIllEEPS6_NSA_22TransformInputIteratorIb7NonZeroIsEPslEENS0_5tupleIJPlS6_EEENSJ_IJSD_SD_EEES6_SK_JS6_EEE10hipError_tPvRmT3_T4_T5_T6_T7_T9_mT8_P12ihipStream_tbDpT10_ENKUlT_T0_E_clISt17integral_constantIbLb1EES16_EEDaS11_S12_EUlS11_E_NS1_11comp_targetILNS1_3genE5ELNS1_11target_archE942ELNS1_3gpuE9ELNS1_3repE0EEENS1_30default_config_static_selectorELNS0_4arch9wavefront6targetE1EEEvT1_
		.amdhsa_group_segment_fixed_size 0
		.amdhsa_private_segment_fixed_size 0
		.amdhsa_kernarg_size 136
		.amdhsa_user_sgpr_count 2
		.amdhsa_user_sgpr_dispatch_ptr 0
		.amdhsa_user_sgpr_queue_ptr 0
		.amdhsa_user_sgpr_kernarg_segment_ptr 1
		.amdhsa_user_sgpr_dispatch_id 0
		.amdhsa_user_sgpr_kernarg_preload_length 0
		.amdhsa_user_sgpr_kernarg_preload_offset 0
		.amdhsa_user_sgpr_private_segment_size 0
		.amdhsa_uses_dynamic_stack 0
		.amdhsa_enable_private_segment 0
		.amdhsa_system_sgpr_workgroup_id_x 1
		.amdhsa_system_sgpr_workgroup_id_y 0
		.amdhsa_system_sgpr_workgroup_id_z 0
		.amdhsa_system_sgpr_workgroup_info 0
		.amdhsa_system_vgpr_workitem_id 0
		.amdhsa_next_free_vgpr 1
		.amdhsa_next_free_sgpr 0
		.amdhsa_accum_offset 4
		.amdhsa_reserve_vcc 0
		.amdhsa_float_round_mode_32 0
		.amdhsa_float_round_mode_16_64 0
		.amdhsa_float_denorm_mode_32 3
		.amdhsa_float_denorm_mode_16_64 3
		.amdhsa_dx10_clamp 1
		.amdhsa_ieee_mode 1
		.amdhsa_fp16_overflow 0
		.amdhsa_tg_split 0
		.amdhsa_exception_fp_ieee_invalid_op 0
		.amdhsa_exception_fp_denorm_src 0
		.amdhsa_exception_fp_ieee_div_zero 0
		.amdhsa_exception_fp_ieee_overflow 0
		.amdhsa_exception_fp_ieee_underflow 0
		.amdhsa_exception_fp_ieee_inexact 0
		.amdhsa_exception_int_div_zero 0
	.end_amdhsa_kernel
	.section	.text._ZN7rocprim17ROCPRIM_400000_NS6detail17trampoline_kernelINS0_14default_configENS1_25partition_config_selectorILNS1_17partition_subalgoE5ElNS0_10empty_typeEbEEZZNS1_14partition_implILS5_5ELb0ES3_mN6hipcub16HIPCUB_304000_NS21CountingInputIteratorIllEEPS6_NSA_22TransformInputIteratorIb7NonZeroIsEPslEENS0_5tupleIJPlS6_EEENSJ_IJSD_SD_EEES6_SK_JS6_EEE10hipError_tPvRmT3_T4_T5_T6_T7_T9_mT8_P12ihipStream_tbDpT10_ENKUlT_T0_E_clISt17integral_constantIbLb1EES16_EEDaS11_S12_EUlS11_E_NS1_11comp_targetILNS1_3genE5ELNS1_11target_archE942ELNS1_3gpuE9ELNS1_3repE0EEENS1_30default_config_static_selectorELNS0_4arch9wavefront6targetE1EEEvT1_,"axG",@progbits,_ZN7rocprim17ROCPRIM_400000_NS6detail17trampoline_kernelINS0_14default_configENS1_25partition_config_selectorILNS1_17partition_subalgoE5ElNS0_10empty_typeEbEEZZNS1_14partition_implILS5_5ELb0ES3_mN6hipcub16HIPCUB_304000_NS21CountingInputIteratorIllEEPS6_NSA_22TransformInputIteratorIb7NonZeroIsEPslEENS0_5tupleIJPlS6_EEENSJ_IJSD_SD_EEES6_SK_JS6_EEE10hipError_tPvRmT3_T4_T5_T6_T7_T9_mT8_P12ihipStream_tbDpT10_ENKUlT_T0_E_clISt17integral_constantIbLb1EES16_EEDaS11_S12_EUlS11_E_NS1_11comp_targetILNS1_3genE5ELNS1_11target_archE942ELNS1_3gpuE9ELNS1_3repE0EEENS1_30default_config_static_selectorELNS0_4arch9wavefront6targetE1EEEvT1_,comdat
.Lfunc_end126:
	.size	_ZN7rocprim17ROCPRIM_400000_NS6detail17trampoline_kernelINS0_14default_configENS1_25partition_config_selectorILNS1_17partition_subalgoE5ElNS0_10empty_typeEbEEZZNS1_14partition_implILS5_5ELb0ES3_mN6hipcub16HIPCUB_304000_NS21CountingInputIteratorIllEEPS6_NSA_22TransformInputIteratorIb7NonZeroIsEPslEENS0_5tupleIJPlS6_EEENSJ_IJSD_SD_EEES6_SK_JS6_EEE10hipError_tPvRmT3_T4_T5_T6_T7_T9_mT8_P12ihipStream_tbDpT10_ENKUlT_T0_E_clISt17integral_constantIbLb1EES16_EEDaS11_S12_EUlS11_E_NS1_11comp_targetILNS1_3genE5ELNS1_11target_archE942ELNS1_3gpuE9ELNS1_3repE0EEENS1_30default_config_static_selectorELNS0_4arch9wavefront6targetE1EEEvT1_, .Lfunc_end126-_ZN7rocprim17ROCPRIM_400000_NS6detail17trampoline_kernelINS0_14default_configENS1_25partition_config_selectorILNS1_17partition_subalgoE5ElNS0_10empty_typeEbEEZZNS1_14partition_implILS5_5ELb0ES3_mN6hipcub16HIPCUB_304000_NS21CountingInputIteratorIllEEPS6_NSA_22TransformInputIteratorIb7NonZeroIsEPslEENS0_5tupleIJPlS6_EEENSJ_IJSD_SD_EEES6_SK_JS6_EEE10hipError_tPvRmT3_T4_T5_T6_T7_T9_mT8_P12ihipStream_tbDpT10_ENKUlT_T0_E_clISt17integral_constantIbLb1EES16_EEDaS11_S12_EUlS11_E_NS1_11comp_targetILNS1_3genE5ELNS1_11target_archE942ELNS1_3gpuE9ELNS1_3repE0EEENS1_30default_config_static_selectorELNS0_4arch9wavefront6targetE1EEEvT1_
                                        ; -- End function
	.set _ZN7rocprim17ROCPRIM_400000_NS6detail17trampoline_kernelINS0_14default_configENS1_25partition_config_selectorILNS1_17partition_subalgoE5ElNS0_10empty_typeEbEEZZNS1_14partition_implILS5_5ELb0ES3_mN6hipcub16HIPCUB_304000_NS21CountingInputIteratorIllEEPS6_NSA_22TransformInputIteratorIb7NonZeroIsEPslEENS0_5tupleIJPlS6_EEENSJ_IJSD_SD_EEES6_SK_JS6_EEE10hipError_tPvRmT3_T4_T5_T6_T7_T9_mT8_P12ihipStream_tbDpT10_ENKUlT_T0_E_clISt17integral_constantIbLb1EES16_EEDaS11_S12_EUlS11_E_NS1_11comp_targetILNS1_3genE5ELNS1_11target_archE942ELNS1_3gpuE9ELNS1_3repE0EEENS1_30default_config_static_selectorELNS0_4arch9wavefront6targetE1EEEvT1_.num_vgpr, 0
	.set _ZN7rocprim17ROCPRIM_400000_NS6detail17trampoline_kernelINS0_14default_configENS1_25partition_config_selectorILNS1_17partition_subalgoE5ElNS0_10empty_typeEbEEZZNS1_14partition_implILS5_5ELb0ES3_mN6hipcub16HIPCUB_304000_NS21CountingInputIteratorIllEEPS6_NSA_22TransformInputIteratorIb7NonZeroIsEPslEENS0_5tupleIJPlS6_EEENSJ_IJSD_SD_EEES6_SK_JS6_EEE10hipError_tPvRmT3_T4_T5_T6_T7_T9_mT8_P12ihipStream_tbDpT10_ENKUlT_T0_E_clISt17integral_constantIbLb1EES16_EEDaS11_S12_EUlS11_E_NS1_11comp_targetILNS1_3genE5ELNS1_11target_archE942ELNS1_3gpuE9ELNS1_3repE0EEENS1_30default_config_static_selectorELNS0_4arch9wavefront6targetE1EEEvT1_.num_agpr, 0
	.set _ZN7rocprim17ROCPRIM_400000_NS6detail17trampoline_kernelINS0_14default_configENS1_25partition_config_selectorILNS1_17partition_subalgoE5ElNS0_10empty_typeEbEEZZNS1_14partition_implILS5_5ELb0ES3_mN6hipcub16HIPCUB_304000_NS21CountingInputIteratorIllEEPS6_NSA_22TransformInputIteratorIb7NonZeroIsEPslEENS0_5tupleIJPlS6_EEENSJ_IJSD_SD_EEES6_SK_JS6_EEE10hipError_tPvRmT3_T4_T5_T6_T7_T9_mT8_P12ihipStream_tbDpT10_ENKUlT_T0_E_clISt17integral_constantIbLb1EES16_EEDaS11_S12_EUlS11_E_NS1_11comp_targetILNS1_3genE5ELNS1_11target_archE942ELNS1_3gpuE9ELNS1_3repE0EEENS1_30default_config_static_selectorELNS0_4arch9wavefront6targetE1EEEvT1_.numbered_sgpr, 0
	.set _ZN7rocprim17ROCPRIM_400000_NS6detail17trampoline_kernelINS0_14default_configENS1_25partition_config_selectorILNS1_17partition_subalgoE5ElNS0_10empty_typeEbEEZZNS1_14partition_implILS5_5ELb0ES3_mN6hipcub16HIPCUB_304000_NS21CountingInputIteratorIllEEPS6_NSA_22TransformInputIteratorIb7NonZeroIsEPslEENS0_5tupleIJPlS6_EEENSJ_IJSD_SD_EEES6_SK_JS6_EEE10hipError_tPvRmT3_T4_T5_T6_T7_T9_mT8_P12ihipStream_tbDpT10_ENKUlT_T0_E_clISt17integral_constantIbLb1EES16_EEDaS11_S12_EUlS11_E_NS1_11comp_targetILNS1_3genE5ELNS1_11target_archE942ELNS1_3gpuE9ELNS1_3repE0EEENS1_30default_config_static_selectorELNS0_4arch9wavefront6targetE1EEEvT1_.num_named_barrier, 0
	.set _ZN7rocprim17ROCPRIM_400000_NS6detail17trampoline_kernelINS0_14default_configENS1_25partition_config_selectorILNS1_17partition_subalgoE5ElNS0_10empty_typeEbEEZZNS1_14partition_implILS5_5ELb0ES3_mN6hipcub16HIPCUB_304000_NS21CountingInputIteratorIllEEPS6_NSA_22TransformInputIteratorIb7NonZeroIsEPslEENS0_5tupleIJPlS6_EEENSJ_IJSD_SD_EEES6_SK_JS6_EEE10hipError_tPvRmT3_T4_T5_T6_T7_T9_mT8_P12ihipStream_tbDpT10_ENKUlT_T0_E_clISt17integral_constantIbLb1EES16_EEDaS11_S12_EUlS11_E_NS1_11comp_targetILNS1_3genE5ELNS1_11target_archE942ELNS1_3gpuE9ELNS1_3repE0EEENS1_30default_config_static_selectorELNS0_4arch9wavefront6targetE1EEEvT1_.private_seg_size, 0
	.set _ZN7rocprim17ROCPRIM_400000_NS6detail17trampoline_kernelINS0_14default_configENS1_25partition_config_selectorILNS1_17partition_subalgoE5ElNS0_10empty_typeEbEEZZNS1_14partition_implILS5_5ELb0ES3_mN6hipcub16HIPCUB_304000_NS21CountingInputIteratorIllEEPS6_NSA_22TransformInputIteratorIb7NonZeroIsEPslEENS0_5tupleIJPlS6_EEENSJ_IJSD_SD_EEES6_SK_JS6_EEE10hipError_tPvRmT3_T4_T5_T6_T7_T9_mT8_P12ihipStream_tbDpT10_ENKUlT_T0_E_clISt17integral_constantIbLb1EES16_EEDaS11_S12_EUlS11_E_NS1_11comp_targetILNS1_3genE5ELNS1_11target_archE942ELNS1_3gpuE9ELNS1_3repE0EEENS1_30default_config_static_selectorELNS0_4arch9wavefront6targetE1EEEvT1_.uses_vcc, 0
	.set _ZN7rocprim17ROCPRIM_400000_NS6detail17trampoline_kernelINS0_14default_configENS1_25partition_config_selectorILNS1_17partition_subalgoE5ElNS0_10empty_typeEbEEZZNS1_14partition_implILS5_5ELb0ES3_mN6hipcub16HIPCUB_304000_NS21CountingInputIteratorIllEEPS6_NSA_22TransformInputIteratorIb7NonZeroIsEPslEENS0_5tupleIJPlS6_EEENSJ_IJSD_SD_EEES6_SK_JS6_EEE10hipError_tPvRmT3_T4_T5_T6_T7_T9_mT8_P12ihipStream_tbDpT10_ENKUlT_T0_E_clISt17integral_constantIbLb1EES16_EEDaS11_S12_EUlS11_E_NS1_11comp_targetILNS1_3genE5ELNS1_11target_archE942ELNS1_3gpuE9ELNS1_3repE0EEENS1_30default_config_static_selectorELNS0_4arch9wavefront6targetE1EEEvT1_.uses_flat_scratch, 0
	.set _ZN7rocprim17ROCPRIM_400000_NS6detail17trampoline_kernelINS0_14default_configENS1_25partition_config_selectorILNS1_17partition_subalgoE5ElNS0_10empty_typeEbEEZZNS1_14partition_implILS5_5ELb0ES3_mN6hipcub16HIPCUB_304000_NS21CountingInputIteratorIllEEPS6_NSA_22TransformInputIteratorIb7NonZeroIsEPslEENS0_5tupleIJPlS6_EEENSJ_IJSD_SD_EEES6_SK_JS6_EEE10hipError_tPvRmT3_T4_T5_T6_T7_T9_mT8_P12ihipStream_tbDpT10_ENKUlT_T0_E_clISt17integral_constantIbLb1EES16_EEDaS11_S12_EUlS11_E_NS1_11comp_targetILNS1_3genE5ELNS1_11target_archE942ELNS1_3gpuE9ELNS1_3repE0EEENS1_30default_config_static_selectorELNS0_4arch9wavefront6targetE1EEEvT1_.has_dyn_sized_stack, 0
	.set _ZN7rocprim17ROCPRIM_400000_NS6detail17trampoline_kernelINS0_14default_configENS1_25partition_config_selectorILNS1_17partition_subalgoE5ElNS0_10empty_typeEbEEZZNS1_14partition_implILS5_5ELb0ES3_mN6hipcub16HIPCUB_304000_NS21CountingInputIteratorIllEEPS6_NSA_22TransformInputIteratorIb7NonZeroIsEPslEENS0_5tupleIJPlS6_EEENSJ_IJSD_SD_EEES6_SK_JS6_EEE10hipError_tPvRmT3_T4_T5_T6_T7_T9_mT8_P12ihipStream_tbDpT10_ENKUlT_T0_E_clISt17integral_constantIbLb1EES16_EEDaS11_S12_EUlS11_E_NS1_11comp_targetILNS1_3genE5ELNS1_11target_archE942ELNS1_3gpuE9ELNS1_3repE0EEENS1_30default_config_static_selectorELNS0_4arch9wavefront6targetE1EEEvT1_.has_recursion, 0
	.set _ZN7rocprim17ROCPRIM_400000_NS6detail17trampoline_kernelINS0_14default_configENS1_25partition_config_selectorILNS1_17partition_subalgoE5ElNS0_10empty_typeEbEEZZNS1_14partition_implILS5_5ELb0ES3_mN6hipcub16HIPCUB_304000_NS21CountingInputIteratorIllEEPS6_NSA_22TransformInputIteratorIb7NonZeroIsEPslEENS0_5tupleIJPlS6_EEENSJ_IJSD_SD_EEES6_SK_JS6_EEE10hipError_tPvRmT3_T4_T5_T6_T7_T9_mT8_P12ihipStream_tbDpT10_ENKUlT_T0_E_clISt17integral_constantIbLb1EES16_EEDaS11_S12_EUlS11_E_NS1_11comp_targetILNS1_3genE5ELNS1_11target_archE942ELNS1_3gpuE9ELNS1_3repE0EEENS1_30default_config_static_selectorELNS0_4arch9wavefront6targetE1EEEvT1_.has_indirect_call, 0
	.section	.AMDGPU.csdata,"",@progbits
; Kernel info:
; codeLenInByte = 0
; TotalNumSgprs: 6
; NumVgprs: 0
; NumAgprs: 0
; TotalNumVgprs: 0
; ScratchSize: 0
; MemoryBound: 0
; FloatMode: 240
; IeeeMode: 1
; LDSByteSize: 0 bytes/workgroup (compile time only)
; SGPRBlocks: 0
; VGPRBlocks: 0
; NumSGPRsForWavesPerEU: 6
; NumVGPRsForWavesPerEU: 1
; AccumOffset: 4
; Occupancy: 8
; WaveLimiterHint : 0
; COMPUTE_PGM_RSRC2:SCRATCH_EN: 0
; COMPUTE_PGM_RSRC2:USER_SGPR: 2
; COMPUTE_PGM_RSRC2:TRAP_HANDLER: 0
; COMPUTE_PGM_RSRC2:TGID_X_EN: 1
; COMPUTE_PGM_RSRC2:TGID_Y_EN: 0
; COMPUTE_PGM_RSRC2:TGID_Z_EN: 0
; COMPUTE_PGM_RSRC2:TIDIG_COMP_CNT: 0
; COMPUTE_PGM_RSRC3_GFX90A:ACCUM_OFFSET: 0
; COMPUTE_PGM_RSRC3_GFX90A:TG_SPLIT: 0
	.section	.text._ZN7rocprim17ROCPRIM_400000_NS6detail17trampoline_kernelINS0_14default_configENS1_25partition_config_selectorILNS1_17partition_subalgoE5ElNS0_10empty_typeEbEEZZNS1_14partition_implILS5_5ELb0ES3_mN6hipcub16HIPCUB_304000_NS21CountingInputIteratorIllEEPS6_NSA_22TransformInputIteratorIb7NonZeroIsEPslEENS0_5tupleIJPlS6_EEENSJ_IJSD_SD_EEES6_SK_JS6_EEE10hipError_tPvRmT3_T4_T5_T6_T7_T9_mT8_P12ihipStream_tbDpT10_ENKUlT_T0_E_clISt17integral_constantIbLb1EES16_EEDaS11_S12_EUlS11_E_NS1_11comp_targetILNS1_3genE4ELNS1_11target_archE910ELNS1_3gpuE8ELNS1_3repE0EEENS1_30default_config_static_selectorELNS0_4arch9wavefront6targetE1EEEvT1_,"axG",@progbits,_ZN7rocprim17ROCPRIM_400000_NS6detail17trampoline_kernelINS0_14default_configENS1_25partition_config_selectorILNS1_17partition_subalgoE5ElNS0_10empty_typeEbEEZZNS1_14partition_implILS5_5ELb0ES3_mN6hipcub16HIPCUB_304000_NS21CountingInputIteratorIllEEPS6_NSA_22TransformInputIteratorIb7NonZeroIsEPslEENS0_5tupleIJPlS6_EEENSJ_IJSD_SD_EEES6_SK_JS6_EEE10hipError_tPvRmT3_T4_T5_T6_T7_T9_mT8_P12ihipStream_tbDpT10_ENKUlT_T0_E_clISt17integral_constantIbLb1EES16_EEDaS11_S12_EUlS11_E_NS1_11comp_targetILNS1_3genE4ELNS1_11target_archE910ELNS1_3gpuE8ELNS1_3repE0EEENS1_30default_config_static_selectorELNS0_4arch9wavefront6targetE1EEEvT1_,comdat
	.protected	_ZN7rocprim17ROCPRIM_400000_NS6detail17trampoline_kernelINS0_14default_configENS1_25partition_config_selectorILNS1_17partition_subalgoE5ElNS0_10empty_typeEbEEZZNS1_14partition_implILS5_5ELb0ES3_mN6hipcub16HIPCUB_304000_NS21CountingInputIteratorIllEEPS6_NSA_22TransformInputIteratorIb7NonZeroIsEPslEENS0_5tupleIJPlS6_EEENSJ_IJSD_SD_EEES6_SK_JS6_EEE10hipError_tPvRmT3_T4_T5_T6_T7_T9_mT8_P12ihipStream_tbDpT10_ENKUlT_T0_E_clISt17integral_constantIbLb1EES16_EEDaS11_S12_EUlS11_E_NS1_11comp_targetILNS1_3genE4ELNS1_11target_archE910ELNS1_3gpuE8ELNS1_3repE0EEENS1_30default_config_static_selectorELNS0_4arch9wavefront6targetE1EEEvT1_ ; -- Begin function _ZN7rocprim17ROCPRIM_400000_NS6detail17trampoline_kernelINS0_14default_configENS1_25partition_config_selectorILNS1_17partition_subalgoE5ElNS0_10empty_typeEbEEZZNS1_14partition_implILS5_5ELb0ES3_mN6hipcub16HIPCUB_304000_NS21CountingInputIteratorIllEEPS6_NSA_22TransformInputIteratorIb7NonZeroIsEPslEENS0_5tupleIJPlS6_EEENSJ_IJSD_SD_EEES6_SK_JS6_EEE10hipError_tPvRmT3_T4_T5_T6_T7_T9_mT8_P12ihipStream_tbDpT10_ENKUlT_T0_E_clISt17integral_constantIbLb1EES16_EEDaS11_S12_EUlS11_E_NS1_11comp_targetILNS1_3genE4ELNS1_11target_archE910ELNS1_3gpuE8ELNS1_3repE0EEENS1_30default_config_static_selectorELNS0_4arch9wavefront6targetE1EEEvT1_
	.globl	_ZN7rocprim17ROCPRIM_400000_NS6detail17trampoline_kernelINS0_14default_configENS1_25partition_config_selectorILNS1_17partition_subalgoE5ElNS0_10empty_typeEbEEZZNS1_14partition_implILS5_5ELb0ES3_mN6hipcub16HIPCUB_304000_NS21CountingInputIteratorIllEEPS6_NSA_22TransformInputIteratorIb7NonZeroIsEPslEENS0_5tupleIJPlS6_EEENSJ_IJSD_SD_EEES6_SK_JS6_EEE10hipError_tPvRmT3_T4_T5_T6_T7_T9_mT8_P12ihipStream_tbDpT10_ENKUlT_T0_E_clISt17integral_constantIbLb1EES16_EEDaS11_S12_EUlS11_E_NS1_11comp_targetILNS1_3genE4ELNS1_11target_archE910ELNS1_3gpuE8ELNS1_3repE0EEENS1_30default_config_static_selectorELNS0_4arch9wavefront6targetE1EEEvT1_
	.p2align	8
	.type	_ZN7rocprim17ROCPRIM_400000_NS6detail17trampoline_kernelINS0_14default_configENS1_25partition_config_selectorILNS1_17partition_subalgoE5ElNS0_10empty_typeEbEEZZNS1_14partition_implILS5_5ELb0ES3_mN6hipcub16HIPCUB_304000_NS21CountingInputIteratorIllEEPS6_NSA_22TransformInputIteratorIb7NonZeroIsEPslEENS0_5tupleIJPlS6_EEENSJ_IJSD_SD_EEES6_SK_JS6_EEE10hipError_tPvRmT3_T4_T5_T6_T7_T9_mT8_P12ihipStream_tbDpT10_ENKUlT_T0_E_clISt17integral_constantIbLb1EES16_EEDaS11_S12_EUlS11_E_NS1_11comp_targetILNS1_3genE4ELNS1_11target_archE910ELNS1_3gpuE8ELNS1_3repE0EEENS1_30default_config_static_selectorELNS0_4arch9wavefront6targetE1EEEvT1_,@function
_ZN7rocprim17ROCPRIM_400000_NS6detail17trampoline_kernelINS0_14default_configENS1_25partition_config_selectorILNS1_17partition_subalgoE5ElNS0_10empty_typeEbEEZZNS1_14partition_implILS5_5ELb0ES3_mN6hipcub16HIPCUB_304000_NS21CountingInputIteratorIllEEPS6_NSA_22TransformInputIteratorIb7NonZeroIsEPslEENS0_5tupleIJPlS6_EEENSJ_IJSD_SD_EEES6_SK_JS6_EEE10hipError_tPvRmT3_T4_T5_T6_T7_T9_mT8_P12ihipStream_tbDpT10_ENKUlT_T0_E_clISt17integral_constantIbLb1EES16_EEDaS11_S12_EUlS11_E_NS1_11comp_targetILNS1_3genE4ELNS1_11target_archE910ELNS1_3gpuE8ELNS1_3repE0EEENS1_30default_config_static_selectorELNS0_4arch9wavefront6targetE1EEEvT1_: ; @_ZN7rocprim17ROCPRIM_400000_NS6detail17trampoline_kernelINS0_14default_configENS1_25partition_config_selectorILNS1_17partition_subalgoE5ElNS0_10empty_typeEbEEZZNS1_14partition_implILS5_5ELb0ES3_mN6hipcub16HIPCUB_304000_NS21CountingInputIteratorIllEEPS6_NSA_22TransformInputIteratorIb7NonZeroIsEPslEENS0_5tupleIJPlS6_EEENSJ_IJSD_SD_EEES6_SK_JS6_EEE10hipError_tPvRmT3_T4_T5_T6_T7_T9_mT8_P12ihipStream_tbDpT10_ENKUlT_T0_E_clISt17integral_constantIbLb1EES16_EEDaS11_S12_EUlS11_E_NS1_11comp_targetILNS1_3genE4ELNS1_11target_archE910ELNS1_3gpuE8ELNS1_3repE0EEENS1_30default_config_static_selectorELNS0_4arch9wavefront6targetE1EEEvT1_
; %bb.0:
	.section	.rodata,"a",@progbits
	.p2align	6, 0x0
	.amdhsa_kernel _ZN7rocprim17ROCPRIM_400000_NS6detail17trampoline_kernelINS0_14default_configENS1_25partition_config_selectorILNS1_17partition_subalgoE5ElNS0_10empty_typeEbEEZZNS1_14partition_implILS5_5ELb0ES3_mN6hipcub16HIPCUB_304000_NS21CountingInputIteratorIllEEPS6_NSA_22TransformInputIteratorIb7NonZeroIsEPslEENS0_5tupleIJPlS6_EEENSJ_IJSD_SD_EEES6_SK_JS6_EEE10hipError_tPvRmT3_T4_T5_T6_T7_T9_mT8_P12ihipStream_tbDpT10_ENKUlT_T0_E_clISt17integral_constantIbLb1EES16_EEDaS11_S12_EUlS11_E_NS1_11comp_targetILNS1_3genE4ELNS1_11target_archE910ELNS1_3gpuE8ELNS1_3repE0EEENS1_30default_config_static_selectorELNS0_4arch9wavefront6targetE1EEEvT1_
		.amdhsa_group_segment_fixed_size 0
		.amdhsa_private_segment_fixed_size 0
		.amdhsa_kernarg_size 136
		.amdhsa_user_sgpr_count 2
		.amdhsa_user_sgpr_dispatch_ptr 0
		.amdhsa_user_sgpr_queue_ptr 0
		.amdhsa_user_sgpr_kernarg_segment_ptr 1
		.amdhsa_user_sgpr_dispatch_id 0
		.amdhsa_user_sgpr_kernarg_preload_length 0
		.amdhsa_user_sgpr_kernarg_preload_offset 0
		.amdhsa_user_sgpr_private_segment_size 0
		.amdhsa_uses_dynamic_stack 0
		.amdhsa_enable_private_segment 0
		.amdhsa_system_sgpr_workgroup_id_x 1
		.amdhsa_system_sgpr_workgroup_id_y 0
		.amdhsa_system_sgpr_workgroup_id_z 0
		.amdhsa_system_sgpr_workgroup_info 0
		.amdhsa_system_vgpr_workitem_id 0
		.amdhsa_next_free_vgpr 1
		.amdhsa_next_free_sgpr 0
		.amdhsa_accum_offset 4
		.amdhsa_reserve_vcc 0
		.amdhsa_float_round_mode_32 0
		.amdhsa_float_round_mode_16_64 0
		.amdhsa_float_denorm_mode_32 3
		.amdhsa_float_denorm_mode_16_64 3
		.amdhsa_dx10_clamp 1
		.amdhsa_ieee_mode 1
		.amdhsa_fp16_overflow 0
		.amdhsa_tg_split 0
		.amdhsa_exception_fp_ieee_invalid_op 0
		.amdhsa_exception_fp_denorm_src 0
		.amdhsa_exception_fp_ieee_div_zero 0
		.amdhsa_exception_fp_ieee_overflow 0
		.amdhsa_exception_fp_ieee_underflow 0
		.amdhsa_exception_fp_ieee_inexact 0
		.amdhsa_exception_int_div_zero 0
	.end_amdhsa_kernel
	.section	.text._ZN7rocprim17ROCPRIM_400000_NS6detail17trampoline_kernelINS0_14default_configENS1_25partition_config_selectorILNS1_17partition_subalgoE5ElNS0_10empty_typeEbEEZZNS1_14partition_implILS5_5ELb0ES3_mN6hipcub16HIPCUB_304000_NS21CountingInputIteratorIllEEPS6_NSA_22TransformInputIteratorIb7NonZeroIsEPslEENS0_5tupleIJPlS6_EEENSJ_IJSD_SD_EEES6_SK_JS6_EEE10hipError_tPvRmT3_T4_T5_T6_T7_T9_mT8_P12ihipStream_tbDpT10_ENKUlT_T0_E_clISt17integral_constantIbLb1EES16_EEDaS11_S12_EUlS11_E_NS1_11comp_targetILNS1_3genE4ELNS1_11target_archE910ELNS1_3gpuE8ELNS1_3repE0EEENS1_30default_config_static_selectorELNS0_4arch9wavefront6targetE1EEEvT1_,"axG",@progbits,_ZN7rocprim17ROCPRIM_400000_NS6detail17trampoline_kernelINS0_14default_configENS1_25partition_config_selectorILNS1_17partition_subalgoE5ElNS0_10empty_typeEbEEZZNS1_14partition_implILS5_5ELb0ES3_mN6hipcub16HIPCUB_304000_NS21CountingInputIteratorIllEEPS6_NSA_22TransformInputIteratorIb7NonZeroIsEPslEENS0_5tupleIJPlS6_EEENSJ_IJSD_SD_EEES6_SK_JS6_EEE10hipError_tPvRmT3_T4_T5_T6_T7_T9_mT8_P12ihipStream_tbDpT10_ENKUlT_T0_E_clISt17integral_constantIbLb1EES16_EEDaS11_S12_EUlS11_E_NS1_11comp_targetILNS1_3genE4ELNS1_11target_archE910ELNS1_3gpuE8ELNS1_3repE0EEENS1_30default_config_static_selectorELNS0_4arch9wavefront6targetE1EEEvT1_,comdat
.Lfunc_end127:
	.size	_ZN7rocprim17ROCPRIM_400000_NS6detail17trampoline_kernelINS0_14default_configENS1_25partition_config_selectorILNS1_17partition_subalgoE5ElNS0_10empty_typeEbEEZZNS1_14partition_implILS5_5ELb0ES3_mN6hipcub16HIPCUB_304000_NS21CountingInputIteratorIllEEPS6_NSA_22TransformInputIteratorIb7NonZeroIsEPslEENS0_5tupleIJPlS6_EEENSJ_IJSD_SD_EEES6_SK_JS6_EEE10hipError_tPvRmT3_T4_T5_T6_T7_T9_mT8_P12ihipStream_tbDpT10_ENKUlT_T0_E_clISt17integral_constantIbLb1EES16_EEDaS11_S12_EUlS11_E_NS1_11comp_targetILNS1_3genE4ELNS1_11target_archE910ELNS1_3gpuE8ELNS1_3repE0EEENS1_30default_config_static_selectorELNS0_4arch9wavefront6targetE1EEEvT1_, .Lfunc_end127-_ZN7rocprim17ROCPRIM_400000_NS6detail17trampoline_kernelINS0_14default_configENS1_25partition_config_selectorILNS1_17partition_subalgoE5ElNS0_10empty_typeEbEEZZNS1_14partition_implILS5_5ELb0ES3_mN6hipcub16HIPCUB_304000_NS21CountingInputIteratorIllEEPS6_NSA_22TransformInputIteratorIb7NonZeroIsEPslEENS0_5tupleIJPlS6_EEENSJ_IJSD_SD_EEES6_SK_JS6_EEE10hipError_tPvRmT3_T4_T5_T6_T7_T9_mT8_P12ihipStream_tbDpT10_ENKUlT_T0_E_clISt17integral_constantIbLb1EES16_EEDaS11_S12_EUlS11_E_NS1_11comp_targetILNS1_3genE4ELNS1_11target_archE910ELNS1_3gpuE8ELNS1_3repE0EEENS1_30default_config_static_selectorELNS0_4arch9wavefront6targetE1EEEvT1_
                                        ; -- End function
	.set _ZN7rocprim17ROCPRIM_400000_NS6detail17trampoline_kernelINS0_14default_configENS1_25partition_config_selectorILNS1_17partition_subalgoE5ElNS0_10empty_typeEbEEZZNS1_14partition_implILS5_5ELb0ES3_mN6hipcub16HIPCUB_304000_NS21CountingInputIteratorIllEEPS6_NSA_22TransformInputIteratorIb7NonZeroIsEPslEENS0_5tupleIJPlS6_EEENSJ_IJSD_SD_EEES6_SK_JS6_EEE10hipError_tPvRmT3_T4_T5_T6_T7_T9_mT8_P12ihipStream_tbDpT10_ENKUlT_T0_E_clISt17integral_constantIbLb1EES16_EEDaS11_S12_EUlS11_E_NS1_11comp_targetILNS1_3genE4ELNS1_11target_archE910ELNS1_3gpuE8ELNS1_3repE0EEENS1_30default_config_static_selectorELNS0_4arch9wavefront6targetE1EEEvT1_.num_vgpr, 0
	.set _ZN7rocprim17ROCPRIM_400000_NS6detail17trampoline_kernelINS0_14default_configENS1_25partition_config_selectorILNS1_17partition_subalgoE5ElNS0_10empty_typeEbEEZZNS1_14partition_implILS5_5ELb0ES3_mN6hipcub16HIPCUB_304000_NS21CountingInputIteratorIllEEPS6_NSA_22TransformInputIteratorIb7NonZeroIsEPslEENS0_5tupleIJPlS6_EEENSJ_IJSD_SD_EEES6_SK_JS6_EEE10hipError_tPvRmT3_T4_T5_T6_T7_T9_mT8_P12ihipStream_tbDpT10_ENKUlT_T0_E_clISt17integral_constantIbLb1EES16_EEDaS11_S12_EUlS11_E_NS1_11comp_targetILNS1_3genE4ELNS1_11target_archE910ELNS1_3gpuE8ELNS1_3repE0EEENS1_30default_config_static_selectorELNS0_4arch9wavefront6targetE1EEEvT1_.num_agpr, 0
	.set _ZN7rocprim17ROCPRIM_400000_NS6detail17trampoline_kernelINS0_14default_configENS1_25partition_config_selectorILNS1_17partition_subalgoE5ElNS0_10empty_typeEbEEZZNS1_14partition_implILS5_5ELb0ES3_mN6hipcub16HIPCUB_304000_NS21CountingInputIteratorIllEEPS6_NSA_22TransformInputIteratorIb7NonZeroIsEPslEENS0_5tupleIJPlS6_EEENSJ_IJSD_SD_EEES6_SK_JS6_EEE10hipError_tPvRmT3_T4_T5_T6_T7_T9_mT8_P12ihipStream_tbDpT10_ENKUlT_T0_E_clISt17integral_constantIbLb1EES16_EEDaS11_S12_EUlS11_E_NS1_11comp_targetILNS1_3genE4ELNS1_11target_archE910ELNS1_3gpuE8ELNS1_3repE0EEENS1_30default_config_static_selectorELNS0_4arch9wavefront6targetE1EEEvT1_.numbered_sgpr, 0
	.set _ZN7rocprim17ROCPRIM_400000_NS6detail17trampoline_kernelINS0_14default_configENS1_25partition_config_selectorILNS1_17partition_subalgoE5ElNS0_10empty_typeEbEEZZNS1_14partition_implILS5_5ELb0ES3_mN6hipcub16HIPCUB_304000_NS21CountingInputIteratorIllEEPS6_NSA_22TransformInputIteratorIb7NonZeroIsEPslEENS0_5tupleIJPlS6_EEENSJ_IJSD_SD_EEES6_SK_JS6_EEE10hipError_tPvRmT3_T4_T5_T6_T7_T9_mT8_P12ihipStream_tbDpT10_ENKUlT_T0_E_clISt17integral_constantIbLb1EES16_EEDaS11_S12_EUlS11_E_NS1_11comp_targetILNS1_3genE4ELNS1_11target_archE910ELNS1_3gpuE8ELNS1_3repE0EEENS1_30default_config_static_selectorELNS0_4arch9wavefront6targetE1EEEvT1_.num_named_barrier, 0
	.set _ZN7rocprim17ROCPRIM_400000_NS6detail17trampoline_kernelINS0_14default_configENS1_25partition_config_selectorILNS1_17partition_subalgoE5ElNS0_10empty_typeEbEEZZNS1_14partition_implILS5_5ELb0ES3_mN6hipcub16HIPCUB_304000_NS21CountingInputIteratorIllEEPS6_NSA_22TransformInputIteratorIb7NonZeroIsEPslEENS0_5tupleIJPlS6_EEENSJ_IJSD_SD_EEES6_SK_JS6_EEE10hipError_tPvRmT3_T4_T5_T6_T7_T9_mT8_P12ihipStream_tbDpT10_ENKUlT_T0_E_clISt17integral_constantIbLb1EES16_EEDaS11_S12_EUlS11_E_NS1_11comp_targetILNS1_3genE4ELNS1_11target_archE910ELNS1_3gpuE8ELNS1_3repE0EEENS1_30default_config_static_selectorELNS0_4arch9wavefront6targetE1EEEvT1_.private_seg_size, 0
	.set _ZN7rocprim17ROCPRIM_400000_NS6detail17trampoline_kernelINS0_14default_configENS1_25partition_config_selectorILNS1_17partition_subalgoE5ElNS0_10empty_typeEbEEZZNS1_14partition_implILS5_5ELb0ES3_mN6hipcub16HIPCUB_304000_NS21CountingInputIteratorIllEEPS6_NSA_22TransformInputIteratorIb7NonZeroIsEPslEENS0_5tupleIJPlS6_EEENSJ_IJSD_SD_EEES6_SK_JS6_EEE10hipError_tPvRmT3_T4_T5_T6_T7_T9_mT8_P12ihipStream_tbDpT10_ENKUlT_T0_E_clISt17integral_constantIbLb1EES16_EEDaS11_S12_EUlS11_E_NS1_11comp_targetILNS1_3genE4ELNS1_11target_archE910ELNS1_3gpuE8ELNS1_3repE0EEENS1_30default_config_static_selectorELNS0_4arch9wavefront6targetE1EEEvT1_.uses_vcc, 0
	.set _ZN7rocprim17ROCPRIM_400000_NS6detail17trampoline_kernelINS0_14default_configENS1_25partition_config_selectorILNS1_17partition_subalgoE5ElNS0_10empty_typeEbEEZZNS1_14partition_implILS5_5ELb0ES3_mN6hipcub16HIPCUB_304000_NS21CountingInputIteratorIllEEPS6_NSA_22TransformInputIteratorIb7NonZeroIsEPslEENS0_5tupleIJPlS6_EEENSJ_IJSD_SD_EEES6_SK_JS6_EEE10hipError_tPvRmT3_T4_T5_T6_T7_T9_mT8_P12ihipStream_tbDpT10_ENKUlT_T0_E_clISt17integral_constantIbLb1EES16_EEDaS11_S12_EUlS11_E_NS1_11comp_targetILNS1_3genE4ELNS1_11target_archE910ELNS1_3gpuE8ELNS1_3repE0EEENS1_30default_config_static_selectorELNS0_4arch9wavefront6targetE1EEEvT1_.uses_flat_scratch, 0
	.set _ZN7rocprim17ROCPRIM_400000_NS6detail17trampoline_kernelINS0_14default_configENS1_25partition_config_selectorILNS1_17partition_subalgoE5ElNS0_10empty_typeEbEEZZNS1_14partition_implILS5_5ELb0ES3_mN6hipcub16HIPCUB_304000_NS21CountingInputIteratorIllEEPS6_NSA_22TransformInputIteratorIb7NonZeroIsEPslEENS0_5tupleIJPlS6_EEENSJ_IJSD_SD_EEES6_SK_JS6_EEE10hipError_tPvRmT3_T4_T5_T6_T7_T9_mT8_P12ihipStream_tbDpT10_ENKUlT_T0_E_clISt17integral_constantIbLb1EES16_EEDaS11_S12_EUlS11_E_NS1_11comp_targetILNS1_3genE4ELNS1_11target_archE910ELNS1_3gpuE8ELNS1_3repE0EEENS1_30default_config_static_selectorELNS0_4arch9wavefront6targetE1EEEvT1_.has_dyn_sized_stack, 0
	.set _ZN7rocprim17ROCPRIM_400000_NS6detail17trampoline_kernelINS0_14default_configENS1_25partition_config_selectorILNS1_17partition_subalgoE5ElNS0_10empty_typeEbEEZZNS1_14partition_implILS5_5ELb0ES3_mN6hipcub16HIPCUB_304000_NS21CountingInputIteratorIllEEPS6_NSA_22TransformInputIteratorIb7NonZeroIsEPslEENS0_5tupleIJPlS6_EEENSJ_IJSD_SD_EEES6_SK_JS6_EEE10hipError_tPvRmT3_T4_T5_T6_T7_T9_mT8_P12ihipStream_tbDpT10_ENKUlT_T0_E_clISt17integral_constantIbLb1EES16_EEDaS11_S12_EUlS11_E_NS1_11comp_targetILNS1_3genE4ELNS1_11target_archE910ELNS1_3gpuE8ELNS1_3repE0EEENS1_30default_config_static_selectorELNS0_4arch9wavefront6targetE1EEEvT1_.has_recursion, 0
	.set _ZN7rocprim17ROCPRIM_400000_NS6detail17trampoline_kernelINS0_14default_configENS1_25partition_config_selectorILNS1_17partition_subalgoE5ElNS0_10empty_typeEbEEZZNS1_14partition_implILS5_5ELb0ES3_mN6hipcub16HIPCUB_304000_NS21CountingInputIteratorIllEEPS6_NSA_22TransformInputIteratorIb7NonZeroIsEPslEENS0_5tupleIJPlS6_EEENSJ_IJSD_SD_EEES6_SK_JS6_EEE10hipError_tPvRmT3_T4_T5_T6_T7_T9_mT8_P12ihipStream_tbDpT10_ENKUlT_T0_E_clISt17integral_constantIbLb1EES16_EEDaS11_S12_EUlS11_E_NS1_11comp_targetILNS1_3genE4ELNS1_11target_archE910ELNS1_3gpuE8ELNS1_3repE0EEENS1_30default_config_static_selectorELNS0_4arch9wavefront6targetE1EEEvT1_.has_indirect_call, 0
	.section	.AMDGPU.csdata,"",@progbits
; Kernel info:
; codeLenInByte = 0
; TotalNumSgprs: 6
; NumVgprs: 0
; NumAgprs: 0
; TotalNumVgprs: 0
; ScratchSize: 0
; MemoryBound: 0
; FloatMode: 240
; IeeeMode: 1
; LDSByteSize: 0 bytes/workgroup (compile time only)
; SGPRBlocks: 0
; VGPRBlocks: 0
; NumSGPRsForWavesPerEU: 6
; NumVGPRsForWavesPerEU: 1
; AccumOffset: 4
; Occupancy: 8
; WaveLimiterHint : 0
; COMPUTE_PGM_RSRC2:SCRATCH_EN: 0
; COMPUTE_PGM_RSRC2:USER_SGPR: 2
; COMPUTE_PGM_RSRC2:TRAP_HANDLER: 0
; COMPUTE_PGM_RSRC2:TGID_X_EN: 1
; COMPUTE_PGM_RSRC2:TGID_Y_EN: 0
; COMPUTE_PGM_RSRC2:TGID_Z_EN: 0
; COMPUTE_PGM_RSRC2:TIDIG_COMP_CNT: 0
; COMPUTE_PGM_RSRC3_GFX90A:ACCUM_OFFSET: 0
; COMPUTE_PGM_RSRC3_GFX90A:TG_SPLIT: 0
	.section	.text._ZN7rocprim17ROCPRIM_400000_NS6detail17trampoline_kernelINS0_14default_configENS1_25partition_config_selectorILNS1_17partition_subalgoE5ElNS0_10empty_typeEbEEZZNS1_14partition_implILS5_5ELb0ES3_mN6hipcub16HIPCUB_304000_NS21CountingInputIteratorIllEEPS6_NSA_22TransformInputIteratorIb7NonZeroIsEPslEENS0_5tupleIJPlS6_EEENSJ_IJSD_SD_EEES6_SK_JS6_EEE10hipError_tPvRmT3_T4_T5_T6_T7_T9_mT8_P12ihipStream_tbDpT10_ENKUlT_T0_E_clISt17integral_constantIbLb1EES16_EEDaS11_S12_EUlS11_E_NS1_11comp_targetILNS1_3genE3ELNS1_11target_archE908ELNS1_3gpuE7ELNS1_3repE0EEENS1_30default_config_static_selectorELNS0_4arch9wavefront6targetE1EEEvT1_,"axG",@progbits,_ZN7rocprim17ROCPRIM_400000_NS6detail17trampoline_kernelINS0_14default_configENS1_25partition_config_selectorILNS1_17partition_subalgoE5ElNS0_10empty_typeEbEEZZNS1_14partition_implILS5_5ELb0ES3_mN6hipcub16HIPCUB_304000_NS21CountingInputIteratorIllEEPS6_NSA_22TransformInputIteratorIb7NonZeroIsEPslEENS0_5tupleIJPlS6_EEENSJ_IJSD_SD_EEES6_SK_JS6_EEE10hipError_tPvRmT3_T4_T5_T6_T7_T9_mT8_P12ihipStream_tbDpT10_ENKUlT_T0_E_clISt17integral_constantIbLb1EES16_EEDaS11_S12_EUlS11_E_NS1_11comp_targetILNS1_3genE3ELNS1_11target_archE908ELNS1_3gpuE7ELNS1_3repE0EEENS1_30default_config_static_selectorELNS0_4arch9wavefront6targetE1EEEvT1_,comdat
	.protected	_ZN7rocprim17ROCPRIM_400000_NS6detail17trampoline_kernelINS0_14default_configENS1_25partition_config_selectorILNS1_17partition_subalgoE5ElNS0_10empty_typeEbEEZZNS1_14partition_implILS5_5ELb0ES3_mN6hipcub16HIPCUB_304000_NS21CountingInputIteratorIllEEPS6_NSA_22TransformInputIteratorIb7NonZeroIsEPslEENS0_5tupleIJPlS6_EEENSJ_IJSD_SD_EEES6_SK_JS6_EEE10hipError_tPvRmT3_T4_T5_T6_T7_T9_mT8_P12ihipStream_tbDpT10_ENKUlT_T0_E_clISt17integral_constantIbLb1EES16_EEDaS11_S12_EUlS11_E_NS1_11comp_targetILNS1_3genE3ELNS1_11target_archE908ELNS1_3gpuE7ELNS1_3repE0EEENS1_30default_config_static_selectorELNS0_4arch9wavefront6targetE1EEEvT1_ ; -- Begin function _ZN7rocprim17ROCPRIM_400000_NS6detail17trampoline_kernelINS0_14default_configENS1_25partition_config_selectorILNS1_17partition_subalgoE5ElNS0_10empty_typeEbEEZZNS1_14partition_implILS5_5ELb0ES3_mN6hipcub16HIPCUB_304000_NS21CountingInputIteratorIllEEPS6_NSA_22TransformInputIteratorIb7NonZeroIsEPslEENS0_5tupleIJPlS6_EEENSJ_IJSD_SD_EEES6_SK_JS6_EEE10hipError_tPvRmT3_T4_T5_T6_T7_T9_mT8_P12ihipStream_tbDpT10_ENKUlT_T0_E_clISt17integral_constantIbLb1EES16_EEDaS11_S12_EUlS11_E_NS1_11comp_targetILNS1_3genE3ELNS1_11target_archE908ELNS1_3gpuE7ELNS1_3repE0EEENS1_30default_config_static_selectorELNS0_4arch9wavefront6targetE1EEEvT1_
	.globl	_ZN7rocprim17ROCPRIM_400000_NS6detail17trampoline_kernelINS0_14default_configENS1_25partition_config_selectorILNS1_17partition_subalgoE5ElNS0_10empty_typeEbEEZZNS1_14partition_implILS5_5ELb0ES3_mN6hipcub16HIPCUB_304000_NS21CountingInputIteratorIllEEPS6_NSA_22TransformInputIteratorIb7NonZeroIsEPslEENS0_5tupleIJPlS6_EEENSJ_IJSD_SD_EEES6_SK_JS6_EEE10hipError_tPvRmT3_T4_T5_T6_T7_T9_mT8_P12ihipStream_tbDpT10_ENKUlT_T0_E_clISt17integral_constantIbLb1EES16_EEDaS11_S12_EUlS11_E_NS1_11comp_targetILNS1_3genE3ELNS1_11target_archE908ELNS1_3gpuE7ELNS1_3repE0EEENS1_30default_config_static_selectorELNS0_4arch9wavefront6targetE1EEEvT1_
	.p2align	8
	.type	_ZN7rocprim17ROCPRIM_400000_NS6detail17trampoline_kernelINS0_14default_configENS1_25partition_config_selectorILNS1_17partition_subalgoE5ElNS0_10empty_typeEbEEZZNS1_14partition_implILS5_5ELb0ES3_mN6hipcub16HIPCUB_304000_NS21CountingInputIteratorIllEEPS6_NSA_22TransformInputIteratorIb7NonZeroIsEPslEENS0_5tupleIJPlS6_EEENSJ_IJSD_SD_EEES6_SK_JS6_EEE10hipError_tPvRmT3_T4_T5_T6_T7_T9_mT8_P12ihipStream_tbDpT10_ENKUlT_T0_E_clISt17integral_constantIbLb1EES16_EEDaS11_S12_EUlS11_E_NS1_11comp_targetILNS1_3genE3ELNS1_11target_archE908ELNS1_3gpuE7ELNS1_3repE0EEENS1_30default_config_static_selectorELNS0_4arch9wavefront6targetE1EEEvT1_,@function
_ZN7rocprim17ROCPRIM_400000_NS6detail17trampoline_kernelINS0_14default_configENS1_25partition_config_selectorILNS1_17partition_subalgoE5ElNS0_10empty_typeEbEEZZNS1_14partition_implILS5_5ELb0ES3_mN6hipcub16HIPCUB_304000_NS21CountingInputIteratorIllEEPS6_NSA_22TransformInputIteratorIb7NonZeroIsEPslEENS0_5tupleIJPlS6_EEENSJ_IJSD_SD_EEES6_SK_JS6_EEE10hipError_tPvRmT3_T4_T5_T6_T7_T9_mT8_P12ihipStream_tbDpT10_ENKUlT_T0_E_clISt17integral_constantIbLb1EES16_EEDaS11_S12_EUlS11_E_NS1_11comp_targetILNS1_3genE3ELNS1_11target_archE908ELNS1_3gpuE7ELNS1_3repE0EEENS1_30default_config_static_selectorELNS0_4arch9wavefront6targetE1EEEvT1_: ; @_ZN7rocprim17ROCPRIM_400000_NS6detail17trampoline_kernelINS0_14default_configENS1_25partition_config_selectorILNS1_17partition_subalgoE5ElNS0_10empty_typeEbEEZZNS1_14partition_implILS5_5ELb0ES3_mN6hipcub16HIPCUB_304000_NS21CountingInputIteratorIllEEPS6_NSA_22TransformInputIteratorIb7NonZeroIsEPslEENS0_5tupleIJPlS6_EEENSJ_IJSD_SD_EEES6_SK_JS6_EEE10hipError_tPvRmT3_T4_T5_T6_T7_T9_mT8_P12ihipStream_tbDpT10_ENKUlT_T0_E_clISt17integral_constantIbLb1EES16_EEDaS11_S12_EUlS11_E_NS1_11comp_targetILNS1_3genE3ELNS1_11target_archE908ELNS1_3gpuE7ELNS1_3repE0EEENS1_30default_config_static_selectorELNS0_4arch9wavefront6targetE1EEEvT1_
; %bb.0:
	.section	.rodata,"a",@progbits
	.p2align	6, 0x0
	.amdhsa_kernel _ZN7rocprim17ROCPRIM_400000_NS6detail17trampoline_kernelINS0_14default_configENS1_25partition_config_selectorILNS1_17partition_subalgoE5ElNS0_10empty_typeEbEEZZNS1_14partition_implILS5_5ELb0ES3_mN6hipcub16HIPCUB_304000_NS21CountingInputIteratorIllEEPS6_NSA_22TransformInputIteratorIb7NonZeroIsEPslEENS0_5tupleIJPlS6_EEENSJ_IJSD_SD_EEES6_SK_JS6_EEE10hipError_tPvRmT3_T4_T5_T6_T7_T9_mT8_P12ihipStream_tbDpT10_ENKUlT_T0_E_clISt17integral_constantIbLb1EES16_EEDaS11_S12_EUlS11_E_NS1_11comp_targetILNS1_3genE3ELNS1_11target_archE908ELNS1_3gpuE7ELNS1_3repE0EEENS1_30default_config_static_selectorELNS0_4arch9wavefront6targetE1EEEvT1_
		.amdhsa_group_segment_fixed_size 0
		.amdhsa_private_segment_fixed_size 0
		.amdhsa_kernarg_size 136
		.amdhsa_user_sgpr_count 2
		.amdhsa_user_sgpr_dispatch_ptr 0
		.amdhsa_user_sgpr_queue_ptr 0
		.amdhsa_user_sgpr_kernarg_segment_ptr 1
		.amdhsa_user_sgpr_dispatch_id 0
		.amdhsa_user_sgpr_kernarg_preload_length 0
		.amdhsa_user_sgpr_kernarg_preload_offset 0
		.amdhsa_user_sgpr_private_segment_size 0
		.amdhsa_uses_dynamic_stack 0
		.amdhsa_enable_private_segment 0
		.amdhsa_system_sgpr_workgroup_id_x 1
		.amdhsa_system_sgpr_workgroup_id_y 0
		.amdhsa_system_sgpr_workgroup_id_z 0
		.amdhsa_system_sgpr_workgroup_info 0
		.amdhsa_system_vgpr_workitem_id 0
		.amdhsa_next_free_vgpr 1
		.amdhsa_next_free_sgpr 0
		.amdhsa_accum_offset 4
		.amdhsa_reserve_vcc 0
		.amdhsa_float_round_mode_32 0
		.amdhsa_float_round_mode_16_64 0
		.amdhsa_float_denorm_mode_32 3
		.amdhsa_float_denorm_mode_16_64 3
		.amdhsa_dx10_clamp 1
		.amdhsa_ieee_mode 1
		.amdhsa_fp16_overflow 0
		.amdhsa_tg_split 0
		.amdhsa_exception_fp_ieee_invalid_op 0
		.amdhsa_exception_fp_denorm_src 0
		.amdhsa_exception_fp_ieee_div_zero 0
		.amdhsa_exception_fp_ieee_overflow 0
		.amdhsa_exception_fp_ieee_underflow 0
		.amdhsa_exception_fp_ieee_inexact 0
		.amdhsa_exception_int_div_zero 0
	.end_amdhsa_kernel
	.section	.text._ZN7rocprim17ROCPRIM_400000_NS6detail17trampoline_kernelINS0_14default_configENS1_25partition_config_selectorILNS1_17partition_subalgoE5ElNS0_10empty_typeEbEEZZNS1_14partition_implILS5_5ELb0ES3_mN6hipcub16HIPCUB_304000_NS21CountingInputIteratorIllEEPS6_NSA_22TransformInputIteratorIb7NonZeroIsEPslEENS0_5tupleIJPlS6_EEENSJ_IJSD_SD_EEES6_SK_JS6_EEE10hipError_tPvRmT3_T4_T5_T6_T7_T9_mT8_P12ihipStream_tbDpT10_ENKUlT_T0_E_clISt17integral_constantIbLb1EES16_EEDaS11_S12_EUlS11_E_NS1_11comp_targetILNS1_3genE3ELNS1_11target_archE908ELNS1_3gpuE7ELNS1_3repE0EEENS1_30default_config_static_selectorELNS0_4arch9wavefront6targetE1EEEvT1_,"axG",@progbits,_ZN7rocprim17ROCPRIM_400000_NS6detail17trampoline_kernelINS0_14default_configENS1_25partition_config_selectorILNS1_17partition_subalgoE5ElNS0_10empty_typeEbEEZZNS1_14partition_implILS5_5ELb0ES3_mN6hipcub16HIPCUB_304000_NS21CountingInputIteratorIllEEPS6_NSA_22TransformInputIteratorIb7NonZeroIsEPslEENS0_5tupleIJPlS6_EEENSJ_IJSD_SD_EEES6_SK_JS6_EEE10hipError_tPvRmT3_T4_T5_T6_T7_T9_mT8_P12ihipStream_tbDpT10_ENKUlT_T0_E_clISt17integral_constantIbLb1EES16_EEDaS11_S12_EUlS11_E_NS1_11comp_targetILNS1_3genE3ELNS1_11target_archE908ELNS1_3gpuE7ELNS1_3repE0EEENS1_30default_config_static_selectorELNS0_4arch9wavefront6targetE1EEEvT1_,comdat
.Lfunc_end128:
	.size	_ZN7rocprim17ROCPRIM_400000_NS6detail17trampoline_kernelINS0_14default_configENS1_25partition_config_selectorILNS1_17partition_subalgoE5ElNS0_10empty_typeEbEEZZNS1_14partition_implILS5_5ELb0ES3_mN6hipcub16HIPCUB_304000_NS21CountingInputIteratorIllEEPS6_NSA_22TransformInputIteratorIb7NonZeroIsEPslEENS0_5tupleIJPlS6_EEENSJ_IJSD_SD_EEES6_SK_JS6_EEE10hipError_tPvRmT3_T4_T5_T6_T7_T9_mT8_P12ihipStream_tbDpT10_ENKUlT_T0_E_clISt17integral_constantIbLb1EES16_EEDaS11_S12_EUlS11_E_NS1_11comp_targetILNS1_3genE3ELNS1_11target_archE908ELNS1_3gpuE7ELNS1_3repE0EEENS1_30default_config_static_selectorELNS0_4arch9wavefront6targetE1EEEvT1_, .Lfunc_end128-_ZN7rocprim17ROCPRIM_400000_NS6detail17trampoline_kernelINS0_14default_configENS1_25partition_config_selectorILNS1_17partition_subalgoE5ElNS0_10empty_typeEbEEZZNS1_14partition_implILS5_5ELb0ES3_mN6hipcub16HIPCUB_304000_NS21CountingInputIteratorIllEEPS6_NSA_22TransformInputIteratorIb7NonZeroIsEPslEENS0_5tupleIJPlS6_EEENSJ_IJSD_SD_EEES6_SK_JS6_EEE10hipError_tPvRmT3_T4_T5_T6_T7_T9_mT8_P12ihipStream_tbDpT10_ENKUlT_T0_E_clISt17integral_constantIbLb1EES16_EEDaS11_S12_EUlS11_E_NS1_11comp_targetILNS1_3genE3ELNS1_11target_archE908ELNS1_3gpuE7ELNS1_3repE0EEENS1_30default_config_static_selectorELNS0_4arch9wavefront6targetE1EEEvT1_
                                        ; -- End function
	.set _ZN7rocprim17ROCPRIM_400000_NS6detail17trampoline_kernelINS0_14default_configENS1_25partition_config_selectorILNS1_17partition_subalgoE5ElNS0_10empty_typeEbEEZZNS1_14partition_implILS5_5ELb0ES3_mN6hipcub16HIPCUB_304000_NS21CountingInputIteratorIllEEPS6_NSA_22TransformInputIteratorIb7NonZeroIsEPslEENS0_5tupleIJPlS6_EEENSJ_IJSD_SD_EEES6_SK_JS6_EEE10hipError_tPvRmT3_T4_T5_T6_T7_T9_mT8_P12ihipStream_tbDpT10_ENKUlT_T0_E_clISt17integral_constantIbLb1EES16_EEDaS11_S12_EUlS11_E_NS1_11comp_targetILNS1_3genE3ELNS1_11target_archE908ELNS1_3gpuE7ELNS1_3repE0EEENS1_30default_config_static_selectorELNS0_4arch9wavefront6targetE1EEEvT1_.num_vgpr, 0
	.set _ZN7rocprim17ROCPRIM_400000_NS6detail17trampoline_kernelINS0_14default_configENS1_25partition_config_selectorILNS1_17partition_subalgoE5ElNS0_10empty_typeEbEEZZNS1_14partition_implILS5_5ELb0ES3_mN6hipcub16HIPCUB_304000_NS21CountingInputIteratorIllEEPS6_NSA_22TransformInputIteratorIb7NonZeroIsEPslEENS0_5tupleIJPlS6_EEENSJ_IJSD_SD_EEES6_SK_JS6_EEE10hipError_tPvRmT3_T4_T5_T6_T7_T9_mT8_P12ihipStream_tbDpT10_ENKUlT_T0_E_clISt17integral_constantIbLb1EES16_EEDaS11_S12_EUlS11_E_NS1_11comp_targetILNS1_3genE3ELNS1_11target_archE908ELNS1_3gpuE7ELNS1_3repE0EEENS1_30default_config_static_selectorELNS0_4arch9wavefront6targetE1EEEvT1_.num_agpr, 0
	.set _ZN7rocprim17ROCPRIM_400000_NS6detail17trampoline_kernelINS0_14default_configENS1_25partition_config_selectorILNS1_17partition_subalgoE5ElNS0_10empty_typeEbEEZZNS1_14partition_implILS5_5ELb0ES3_mN6hipcub16HIPCUB_304000_NS21CountingInputIteratorIllEEPS6_NSA_22TransformInputIteratorIb7NonZeroIsEPslEENS0_5tupleIJPlS6_EEENSJ_IJSD_SD_EEES6_SK_JS6_EEE10hipError_tPvRmT3_T4_T5_T6_T7_T9_mT8_P12ihipStream_tbDpT10_ENKUlT_T0_E_clISt17integral_constantIbLb1EES16_EEDaS11_S12_EUlS11_E_NS1_11comp_targetILNS1_3genE3ELNS1_11target_archE908ELNS1_3gpuE7ELNS1_3repE0EEENS1_30default_config_static_selectorELNS0_4arch9wavefront6targetE1EEEvT1_.numbered_sgpr, 0
	.set _ZN7rocprim17ROCPRIM_400000_NS6detail17trampoline_kernelINS0_14default_configENS1_25partition_config_selectorILNS1_17partition_subalgoE5ElNS0_10empty_typeEbEEZZNS1_14partition_implILS5_5ELb0ES3_mN6hipcub16HIPCUB_304000_NS21CountingInputIteratorIllEEPS6_NSA_22TransformInputIteratorIb7NonZeroIsEPslEENS0_5tupleIJPlS6_EEENSJ_IJSD_SD_EEES6_SK_JS6_EEE10hipError_tPvRmT3_T4_T5_T6_T7_T9_mT8_P12ihipStream_tbDpT10_ENKUlT_T0_E_clISt17integral_constantIbLb1EES16_EEDaS11_S12_EUlS11_E_NS1_11comp_targetILNS1_3genE3ELNS1_11target_archE908ELNS1_3gpuE7ELNS1_3repE0EEENS1_30default_config_static_selectorELNS0_4arch9wavefront6targetE1EEEvT1_.num_named_barrier, 0
	.set _ZN7rocprim17ROCPRIM_400000_NS6detail17trampoline_kernelINS0_14default_configENS1_25partition_config_selectorILNS1_17partition_subalgoE5ElNS0_10empty_typeEbEEZZNS1_14partition_implILS5_5ELb0ES3_mN6hipcub16HIPCUB_304000_NS21CountingInputIteratorIllEEPS6_NSA_22TransformInputIteratorIb7NonZeroIsEPslEENS0_5tupleIJPlS6_EEENSJ_IJSD_SD_EEES6_SK_JS6_EEE10hipError_tPvRmT3_T4_T5_T6_T7_T9_mT8_P12ihipStream_tbDpT10_ENKUlT_T0_E_clISt17integral_constantIbLb1EES16_EEDaS11_S12_EUlS11_E_NS1_11comp_targetILNS1_3genE3ELNS1_11target_archE908ELNS1_3gpuE7ELNS1_3repE0EEENS1_30default_config_static_selectorELNS0_4arch9wavefront6targetE1EEEvT1_.private_seg_size, 0
	.set _ZN7rocprim17ROCPRIM_400000_NS6detail17trampoline_kernelINS0_14default_configENS1_25partition_config_selectorILNS1_17partition_subalgoE5ElNS0_10empty_typeEbEEZZNS1_14partition_implILS5_5ELb0ES3_mN6hipcub16HIPCUB_304000_NS21CountingInputIteratorIllEEPS6_NSA_22TransformInputIteratorIb7NonZeroIsEPslEENS0_5tupleIJPlS6_EEENSJ_IJSD_SD_EEES6_SK_JS6_EEE10hipError_tPvRmT3_T4_T5_T6_T7_T9_mT8_P12ihipStream_tbDpT10_ENKUlT_T0_E_clISt17integral_constantIbLb1EES16_EEDaS11_S12_EUlS11_E_NS1_11comp_targetILNS1_3genE3ELNS1_11target_archE908ELNS1_3gpuE7ELNS1_3repE0EEENS1_30default_config_static_selectorELNS0_4arch9wavefront6targetE1EEEvT1_.uses_vcc, 0
	.set _ZN7rocprim17ROCPRIM_400000_NS6detail17trampoline_kernelINS0_14default_configENS1_25partition_config_selectorILNS1_17partition_subalgoE5ElNS0_10empty_typeEbEEZZNS1_14partition_implILS5_5ELb0ES3_mN6hipcub16HIPCUB_304000_NS21CountingInputIteratorIllEEPS6_NSA_22TransformInputIteratorIb7NonZeroIsEPslEENS0_5tupleIJPlS6_EEENSJ_IJSD_SD_EEES6_SK_JS6_EEE10hipError_tPvRmT3_T4_T5_T6_T7_T9_mT8_P12ihipStream_tbDpT10_ENKUlT_T0_E_clISt17integral_constantIbLb1EES16_EEDaS11_S12_EUlS11_E_NS1_11comp_targetILNS1_3genE3ELNS1_11target_archE908ELNS1_3gpuE7ELNS1_3repE0EEENS1_30default_config_static_selectorELNS0_4arch9wavefront6targetE1EEEvT1_.uses_flat_scratch, 0
	.set _ZN7rocprim17ROCPRIM_400000_NS6detail17trampoline_kernelINS0_14default_configENS1_25partition_config_selectorILNS1_17partition_subalgoE5ElNS0_10empty_typeEbEEZZNS1_14partition_implILS5_5ELb0ES3_mN6hipcub16HIPCUB_304000_NS21CountingInputIteratorIllEEPS6_NSA_22TransformInputIteratorIb7NonZeroIsEPslEENS0_5tupleIJPlS6_EEENSJ_IJSD_SD_EEES6_SK_JS6_EEE10hipError_tPvRmT3_T4_T5_T6_T7_T9_mT8_P12ihipStream_tbDpT10_ENKUlT_T0_E_clISt17integral_constantIbLb1EES16_EEDaS11_S12_EUlS11_E_NS1_11comp_targetILNS1_3genE3ELNS1_11target_archE908ELNS1_3gpuE7ELNS1_3repE0EEENS1_30default_config_static_selectorELNS0_4arch9wavefront6targetE1EEEvT1_.has_dyn_sized_stack, 0
	.set _ZN7rocprim17ROCPRIM_400000_NS6detail17trampoline_kernelINS0_14default_configENS1_25partition_config_selectorILNS1_17partition_subalgoE5ElNS0_10empty_typeEbEEZZNS1_14partition_implILS5_5ELb0ES3_mN6hipcub16HIPCUB_304000_NS21CountingInputIteratorIllEEPS6_NSA_22TransformInputIteratorIb7NonZeroIsEPslEENS0_5tupleIJPlS6_EEENSJ_IJSD_SD_EEES6_SK_JS6_EEE10hipError_tPvRmT3_T4_T5_T6_T7_T9_mT8_P12ihipStream_tbDpT10_ENKUlT_T0_E_clISt17integral_constantIbLb1EES16_EEDaS11_S12_EUlS11_E_NS1_11comp_targetILNS1_3genE3ELNS1_11target_archE908ELNS1_3gpuE7ELNS1_3repE0EEENS1_30default_config_static_selectorELNS0_4arch9wavefront6targetE1EEEvT1_.has_recursion, 0
	.set _ZN7rocprim17ROCPRIM_400000_NS6detail17trampoline_kernelINS0_14default_configENS1_25partition_config_selectorILNS1_17partition_subalgoE5ElNS0_10empty_typeEbEEZZNS1_14partition_implILS5_5ELb0ES3_mN6hipcub16HIPCUB_304000_NS21CountingInputIteratorIllEEPS6_NSA_22TransformInputIteratorIb7NonZeroIsEPslEENS0_5tupleIJPlS6_EEENSJ_IJSD_SD_EEES6_SK_JS6_EEE10hipError_tPvRmT3_T4_T5_T6_T7_T9_mT8_P12ihipStream_tbDpT10_ENKUlT_T0_E_clISt17integral_constantIbLb1EES16_EEDaS11_S12_EUlS11_E_NS1_11comp_targetILNS1_3genE3ELNS1_11target_archE908ELNS1_3gpuE7ELNS1_3repE0EEENS1_30default_config_static_selectorELNS0_4arch9wavefront6targetE1EEEvT1_.has_indirect_call, 0
	.section	.AMDGPU.csdata,"",@progbits
; Kernel info:
; codeLenInByte = 0
; TotalNumSgprs: 6
; NumVgprs: 0
; NumAgprs: 0
; TotalNumVgprs: 0
; ScratchSize: 0
; MemoryBound: 0
; FloatMode: 240
; IeeeMode: 1
; LDSByteSize: 0 bytes/workgroup (compile time only)
; SGPRBlocks: 0
; VGPRBlocks: 0
; NumSGPRsForWavesPerEU: 6
; NumVGPRsForWavesPerEU: 1
; AccumOffset: 4
; Occupancy: 8
; WaveLimiterHint : 0
; COMPUTE_PGM_RSRC2:SCRATCH_EN: 0
; COMPUTE_PGM_RSRC2:USER_SGPR: 2
; COMPUTE_PGM_RSRC2:TRAP_HANDLER: 0
; COMPUTE_PGM_RSRC2:TGID_X_EN: 1
; COMPUTE_PGM_RSRC2:TGID_Y_EN: 0
; COMPUTE_PGM_RSRC2:TGID_Z_EN: 0
; COMPUTE_PGM_RSRC2:TIDIG_COMP_CNT: 0
; COMPUTE_PGM_RSRC3_GFX90A:ACCUM_OFFSET: 0
; COMPUTE_PGM_RSRC3_GFX90A:TG_SPLIT: 0
	.section	.text._ZN7rocprim17ROCPRIM_400000_NS6detail17trampoline_kernelINS0_14default_configENS1_25partition_config_selectorILNS1_17partition_subalgoE5ElNS0_10empty_typeEbEEZZNS1_14partition_implILS5_5ELb0ES3_mN6hipcub16HIPCUB_304000_NS21CountingInputIteratorIllEEPS6_NSA_22TransformInputIteratorIb7NonZeroIsEPslEENS0_5tupleIJPlS6_EEENSJ_IJSD_SD_EEES6_SK_JS6_EEE10hipError_tPvRmT3_T4_T5_T6_T7_T9_mT8_P12ihipStream_tbDpT10_ENKUlT_T0_E_clISt17integral_constantIbLb1EES16_EEDaS11_S12_EUlS11_E_NS1_11comp_targetILNS1_3genE2ELNS1_11target_archE906ELNS1_3gpuE6ELNS1_3repE0EEENS1_30default_config_static_selectorELNS0_4arch9wavefront6targetE1EEEvT1_,"axG",@progbits,_ZN7rocprim17ROCPRIM_400000_NS6detail17trampoline_kernelINS0_14default_configENS1_25partition_config_selectorILNS1_17partition_subalgoE5ElNS0_10empty_typeEbEEZZNS1_14partition_implILS5_5ELb0ES3_mN6hipcub16HIPCUB_304000_NS21CountingInputIteratorIllEEPS6_NSA_22TransformInputIteratorIb7NonZeroIsEPslEENS0_5tupleIJPlS6_EEENSJ_IJSD_SD_EEES6_SK_JS6_EEE10hipError_tPvRmT3_T4_T5_T6_T7_T9_mT8_P12ihipStream_tbDpT10_ENKUlT_T0_E_clISt17integral_constantIbLb1EES16_EEDaS11_S12_EUlS11_E_NS1_11comp_targetILNS1_3genE2ELNS1_11target_archE906ELNS1_3gpuE6ELNS1_3repE0EEENS1_30default_config_static_selectorELNS0_4arch9wavefront6targetE1EEEvT1_,comdat
	.protected	_ZN7rocprim17ROCPRIM_400000_NS6detail17trampoline_kernelINS0_14default_configENS1_25partition_config_selectorILNS1_17partition_subalgoE5ElNS0_10empty_typeEbEEZZNS1_14partition_implILS5_5ELb0ES3_mN6hipcub16HIPCUB_304000_NS21CountingInputIteratorIllEEPS6_NSA_22TransformInputIteratorIb7NonZeroIsEPslEENS0_5tupleIJPlS6_EEENSJ_IJSD_SD_EEES6_SK_JS6_EEE10hipError_tPvRmT3_T4_T5_T6_T7_T9_mT8_P12ihipStream_tbDpT10_ENKUlT_T0_E_clISt17integral_constantIbLb1EES16_EEDaS11_S12_EUlS11_E_NS1_11comp_targetILNS1_3genE2ELNS1_11target_archE906ELNS1_3gpuE6ELNS1_3repE0EEENS1_30default_config_static_selectorELNS0_4arch9wavefront6targetE1EEEvT1_ ; -- Begin function _ZN7rocprim17ROCPRIM_400000_NS6detail17trampoline_kernelINS0_14default_configENS1_25partition_config_selectorILNS1_17partition_subalgoE5ElNS0_10empty_typeEbEEZZNS1_14partition_implILS5_5ELb0ES3_mN6hipcub16HIPCUB_304000_NS21CountingInputIteratorIllEEPS6_NSA_22TransformInputIteratorIb7NonZeroIsEPslEENS0_5tupleIJPlS6_EEENSJ_IJSD_SD_EEES6_SK_JS6_EEE10hipError_tPvRmT3_T4_T5_T6_T7_T9_mT8_P12ihipStream_tbDpT10_ENKUlT_T0_E_clISt17integral_constantIbLb1EES16_EEDaS11_S12_EUlS11_E_NS1_11comp_targetILNS1_3genE2ELNS1_11target_archE906ELNS1_3gpuE6ELNS1_3repE0EEENS1_30default_config_static_selectorELNS0_4arch9wavefront6targetE1EEEvT1_
	.globl	_ZN7rocprim17ROCPRIM_400000_NS6detail17trampoline_kernelINS0_14default_configENS1_25partition_config_selectorILNS1_17partition_subalgoE5ElNS0_10empty_typeEbEEZZNS1_14partition_implILS5_5ELb0ES3_mN6hipcub16HIPCUB_304000_NS21CountingInputIteratorIllEEPS6_NSA_22TransformInputIteratorIb7NonZeroIsEPslEENS0_5tupleIJPlS6_EEENSJ_IJSD_SD_EEES6_SK_JS6_EEE10hipError_tPvRmT3_T4_T5_T6_T7_T9_mT8_P12ihipStream_tbDpT10_ENKUlT_T0_E_clISt17integral_constantIbLb1EES16_EEDaS11_S12_EUlS11_E_NS1_11comp_targetILNS1_3genE2ELNS1_11target_archE906ELNS1_3gpuE6ELNS1_3repE0EEENS1_30default_config_static_selectorELNS0_4arch9wavefront6targetE1EEEvT1_
	.p2align	8
	.type	_ZN7rocprim17ROCPRIM_400000_NS6detail17trampoline_kernelINS0_14default_configENS1_25partition_config_selectorILNS1_17partition_subalgoE5ElNS0_10empty_typeEbEEZZNS1_14partition_implILS5_5ELb0ES3_mN6hipcub16HIPCUB_304000_NS21CountingInputIteratorIllEEPS6_NSA_22TransformInputIteratorIb7NonZeroIsEPslEENS0_5tupleIJPlS6_EEENSJ_IJSD_SD_EEES6_SK_JS6_EEE10hipError_tPvRmT3_T4_T5_T6_T7_T9_mT8_P12ihipStream_tbDpT10_ENKUlT_T0_E_clISt17integral_constantIbLb1EES16_EEDaS11_S12_EUlS11_E_NS1_11comp_targetILNS1_3genE2ELNS1_11target_archE906ELNS1_3gpuE6ELNS1_3repE0EEENS1_30default_config_static_selectorELNS0_4arch9wavefront6targetE1EEEvT1_,@function
_ZN7rocprim17ROCPRIM_400000_NS6detail17trampoline_kernelINS0_14default_configENS1_25partition_config_selectorILNS1_17partition_subalgoE5ElNS0_10empty_typeEbEEZZNS1_14partition_implILS5_5ELb0ES3_mN6hipcub16HIPCUB_304000_NS21CountingInputIteratorIllEEPS6_NSA_22TransformInputIteratorIb7NonZeroIsEPslEENS0_5tupleIJPlS6_EEENSJ_IJSD_SD_EEES6_SK_JS6_EEE10hipError_tPvRmT3_T4_T5_T6_T7_T9_mT8_P12ihipStream_tbDpT10_ENKUlT_T0_E_clISt17integral_constantIbLb1EES16_EEDaS11_S12_EUlS11_E_NS1_11comp_targetILNS1_3genE2ELNS1_11target_archE906ELNS1_3gpuE6ELNS1_3repE0EEENS1_30default_config_static_selectorELNS0_4arch9wavefront6targetE1EEEvT1_: ; @_ZN7rocprim17ROCPRIM_400000_NS6detail17trampoline_kernelINS0_14default_configENS1_25partition_config_selectorILNS1_17partition_subalgoE5ElNS0_10empty_typeEbEEZZNS1_14partition_implILS5_5ELb0ES3_mN6hipcub16HIPCUB_304000_NS21CountingInputIteratorIllEEPS6_NSA_22TransformInputIteratorIb7NonZeroIsEPslEENS0_5tupleIJPlS6_EEENSJ_IJSD_SD_EEES6_SK_JS6_EEE10hipError_tPvRmT3_T4_T5_T6_T7_T9_mT8_P12ihipStream_tbDpT10_ENKUlT_T0_E_clISt17integral_constantIbLb1EES16_EEDaS11_S12_EUlS11_E_NS1_11comp_targetILNS1_3genE2ELNS1_11target_archE906ELNS1_3gpuE6ELNS1_3repE0EEENS1_30default_config_static_selectorELNS0_4arch9wavefront6targetE1EEEvT1_
; %bb.0:
	.section	.rodata,"a",@progbits
	.p2align	6, 0x0
	.amdhsa_kernel _ZN7rocprim17ROCPRIM_400000_NS6detail17trampoline_kernelINS0_14default_configENS1_25partition_config_selectorILNS1_17partition_subalgoE5ElNS0_10empty_typeEbEEZZNS1_14partition_implILS5_5ELb0ES3_mN6hipcub16HIPCUB_304000_NS21CountingInputIteratorIllEEPS6_NSA_22TransformInputIteratorIb7NonZeroIsEPslEENS0_5tupleIJPlS6_EEENSJ_IJSD_SD_EEES6_SK_JS6_EEE10hipError_tPvRmT3_T4_T5_T6_T7_T9_mT8_P12ihipStream_tbDpT10_ENKUlT_T0_E_clISt17integral_constantIbLb1EES16_EEDaS11_S12_EUlS11_E_NS1_11comp_targetILNS1_3genE2ELNS1_11target_archE906ELNS1_3gpuE6ELNS1_3repE0EEENS1_30default_config_static_selectorELNS0_4arch9wavefront6targetE1EEEvT1_
		.amdhsa_group_segment_fixed_size 0
		.amdhsa_private_segment_fixed_size 0
		.amdhsa_kernarg_size 136
		.amdhsa_user_sgpr_count 2
		.amdhsa_user_sgpr_dispatch_ptr 0
		.amdhsa_user_sgpr_queue_ptr 0
		.amdhsa_user_sgpr_kernarg_segment_ptr 1
		.amdhsa_user_sgpr_dispatch_id 0
		.amdhsa_user_sgpr_kernarg_preload_length 0
		.amdhsa_user_sgpr_kernarg_preload_offset 0
		.amdhsa_user_sgpr_private_segment_size 0
		.amdhsa_uses_dynamic_stack 0
		.amdhsa_enable_private_segment 0
		.amdhsa_system_sgpr_workgroup_id_x 1
		.amdhsa_system_sgpr_workgroup_id_y 0
		.amdhsa_system_sgpr_workgroup_id_z 0
		.amdhsa_system_sgpr_workgroup_info 0
		.amdhsa_system_vgpr_workitem_id 0
		.amdhsa_next_free_vgpr 1
		.amdhsa_next_free_sgpr 0
		.amdhsa_accum_offset 4
		.amdhsa_reserve_vcc 0
		.amdhsa_float_round_mode_32 0
		.amdhsa_float_round_mode_16_64 0
		.amdhsa_float_denorm_mode_32 3
		.amdhsa_float_denorm_mode_16_64 3
		.amdhsa_dx10_clamp 1
		.amdhsa_ieee_mode 1
		.amdhsa_fp16_overflow 0
		.amdhsa_tg_split 0
		.amdhsa_exception_fp_ieee_invalid_op 0
		.amdhsa_exception_fp_denorm_src 0
		.amdhsa_exception_fp_ieee_div_zero 0
		.amdhsa_exception_fp_ieee_overflow 0
		.amdhsa_exception_fp_ieee_underflow 0
		.amdhsa_exception_fp_ieee_inexact 0
		.amdhsa_exception_int_div_zero 0
	.end_amdhsa_kernel
	.section	.text._ZN7rocprim17ROCPRIM_400000_NS6detail17trampoline_kernelINS0_14default_configENS1_25partition_config_selectorILNS1_17partition_subalgoE5ElNS0_10empty_typeEbEEZZNS1_14partition_implILS5_5ELb0ES3_mN6hipcub16HIPCUB_304000_NS21CountingInputIteratorIllEEPS6_NSA_22TransformInputIteratorIb7NonZeroIsEPslEENS0_5tupleIJPlS6_EEENSJ_IJSD_SD_EEES6_SK_JS6_EEE10hipError_tPvRmT3_T4_T5_T6_T7_T9_mT8_P12ihipStream_tbDpT10_ENKUlT_T0_E_clISt17integral_constantIbLb1EES16_EEDaS11_S12_EUlS11_E_NS1_11comp_targetILNS1_3genE2ELNS1_11target_archE906ELNS1_3gpuE6ELNS1_3repE0EEENS1_30default_config_static_selectorELNS0_4arch9wavefront6targetE1EEEvT1_,"axG",@progbits,_ZN7rocprim17ROCPRIM_400000_NS6detail17trampoline_kernelINS0_14default_configENS1_25partition_config_selectorILNS1_17partition_subalgoE5ElNS0_10empty_typeEbEEZZNS1_14partition_implILS5_5ELb0ES3_mN6hipcub16HIPCUB_304000_NS21CountingInputIteratorIllEEPS6_NSA_22TransformInputIteratorIb7NonZeroIsEPslEENS0_5tupleIJPlS6_EEENSJ_IJSD_SD_EEES6_SK_JS6_EEE10hipError_tPvRmT3_T4_T5_T6_T7_T9_mT8_P12ihipStream_tbDpT10_ENKUlT_T0_E_clISt17integral_constantIbLb1EES16_EEDaS11_S12_EUlS11_E_NS1_11comp_targetILNS1_3genE2ELNS1_11target_archE906ELNS1_3gpuE6ELNS1_3repE0EEENS1_30default_config_static_selectorELNS0_4arch9wavefront6targetE1EEEvT1_,comdat
.Lfunc_end129:
	.size	_ZN7rocprim17ROCPRIM_400000_NS6detail17trampoline_kernelINS0_14default_configENS1_25partition_config_selectorILNS1_17partition_subalgoE5ElNS0_10empty_typeEbEEZZNS1_14partition_implILS5_5ELb0ES3_mN6hipcub16HIPCUB_304000_NS21CountingInputIteratorIllEEPS6_NSA_22TransformInputIteratorIb7NonZeroIsEPslEENS0_5tupleIJPlS6_EEENSJ_IJSD_SD_EEES6_SK_JS6_EEE10hipError_tPvRmT3_T4_T5_T6_T7_T9_mT8_P12ihipStream_tbDpT10_ENKUlT_T0_E_clISt17integral_constantIbLb1EES16_EEDaS11_S12_EUlS11_E_NS1_11comp_targetILNS1_3genE2ELNS1_11target_archE906ELNS1_3gpuE6ELNS1_3repE0EEENS1_30default_config_static_selectorELNS0_4arch9wavefront6targetE1EEEvT1_, .Lfunc_end129-_ZN7rocprim17ROCPRIM_400000_NS6detail17trampoline_kernelINS0_14default_configENS1_25partition_config_selectorILNS1_17partition_subalgoE5ElNS0_10empty_typeEbEEZZNS1_14partition_implILS5_5ELb0ES3_mN6hipcub16HIPCUB_304000_NS21CountingInputIteratorIllEEPS6_NSA_22TransformInputIteratorIb7NonZeroIsEPslEENS0_5tupleIJPlS6_EEENSJ_IJSD_SD_EEES6_SK_JS6_EEE10hipError_tPvRmT3_T4_T5_T6_T7_T9_mT8_P12ihipStream_tbDpT10_ENKUlT_T0_E_clISt17integral_constantIbLb1EES16_EEDaS11_S12_EUlS11_E_NS1_11comp_targetILNS1_3genE2ELNS1_11target_archE906ELNS1_3gpuE6ELNS1_3repE0EEENS1_30default_config_static_selectorELNS0_4arch9wavefront6targetE1EEEvT1_
                                        ; -- End function
	.set _ZN7rocprim17ROCPRIM_400000_NS6detail17trampoline_kernelINS0_14default_configENS1_25partition_config_selectorILNS1_17partition_subalgoE5ElNS0_10empty_typeEbEEZZNS1_14partition_implILS5_5ELb0ES3_mN6hipcub16HIPCUB_304000_NS21CountingInputIteratorIllEEPS6_NSA_22TransformInputIteratorIb7NonZeroIsEPslEENS0_5tupleIJPlS6_EEENSJ_IJSD_SD_EEES6_SK_JS6_EEE10hipError_tPvRmT3_T4_T5_T6_T7_T9_mT8_P12ihipStream_tbDpT10_ENKUlT_T0_E_clISt17integral_constantIbLb1EES16_EEDaS11_S12_EUlS11_E_NS1_11comp_targetILNS1_3genE2ELNS1_11target_archE906ELNS1_3gpuE6ELNS1_3repE0EEENS1_30default_config_static_selectorELNS0_4arch9wavefront6targetE1EEEvT1_.num_vgpr, 0
	.set _ZN7rocprim17ROCPRIM_400000_NS6detail17trampoline_kernelINS0_14default_configENS1_25partition_config_selectorILNS1_17partition_subalgoE5ElNS0_10empty_typeEbEEZZNS1_14partition_implILS5_5ELb0ES3_mN6hipcub16HIPCUB_304000_NS21CountingInputIteratorIllEEPS6_NSA_22TransformInputIteratorIb7NonZeroIsEPslEENS0_5tupleIJPlS6_EEENSJ_IJSD_SD_EEES6_SK_JS6_EEE10hipError_tPvRmT3_T4_T5_T6_T7_T9_mT8_P12ihipStream_tbDpT10_ENKUlT_T0_E_clISt17integral_constantIbLb1EES16_EEDaS11_S12_EUlS11_E_NS1_11comp_targetILNS1_3genE2ELNS1_11target_archE906ELNS1_3gpuE6ELNS1_3repE0EEENS1_30default_config_static_selectorELNS0_4arch9wavefront6targetE1EEEvT1_.num_agpr, 0
	.set _ZN7rocprim17ROCPRIM_400000_NS6detail17trampoline_kernelINS0_14default_configENS1_25partition_config_selectorILNS1_17partition_subalgoE5ElNS0_10empty_typeEbEEZZNS1_14partition_implILS5_5ELb0ES3_mN6hipcub16HIPCUB_304000_NS21CountingInputIteratorIllEEPS6_NSA_22TransformInputIteratorIb7NonZeroIsEPslEENS0_5tupleIJPlS6_EEENSJ_IJSD_SD_EEES6_SK_JS6_EEE10hipError_tPvRmT3_T4_T5_T6_T7_T9_mT8_P12ihipStream_tbDpT10_ENKUlT_T0_E_clISt17integral_constantIbLb1EES16_EEDaS11_S12_EUlS11_E_NS1_11comp_targetILNS1_3genE2ELNS1_11target_archE906ELNS1_3gpuE6ELNS1_3repE0EEENS1_30default_config_static_selectorELNS0_4arch9wavefront6targetE1EEEvT1_.numbered_sgpr, 0
	.set _ZN7rocprim17ROCPRIM_400000_NS6detail17trampoline_kernelINS0_14default_configENS1_25partition_config_selectorILNS1_17partition_subalgoE5ElNS0_10empty_typeEbEEZZNS1_14partition_implILS5_5ELb0ES3_mN6hipcub16HIPCUB_304000_NS21CountingInputIteratorIllEEPS6_NSA_22TransformInputIteratorIb7NonZeroIsEPslEENS0_5tupleIJPlS6_EEENSJ_IJSD_SD_EEES6_SK_JS6_EEE10hipError_tPvRmT3_T4_T5_T6_T7_T9_mT8_P12ihipStream_tbDpT10_ENKUlT_T0_E_clISt17integral_constantIbLb1EES16_EEDaS11_S12_EUlS11_E_NS1_11comp_targetILNS1_3genE2ELNS1_11target_archE906ELNS1_3gpuE6ELNS1_3repE0EEENS1_30default_config_static_selectorELNS0_4arch9wavefront6targetE1EEEvT1_.num_named_barrier, 0
	.set _ZN7rocprim17ROCPRIM_400000_NS6detail17trampoline_kernelINS0_14default_configENS1_25partition_config_selectorILNS1_17partition_subalgoE5ElNS0_10empty_typeEbEEZZNS1_14partition_implILS5_5ELb0ES3_mN6hipcub16HIPCUB_304000_NS21CountingInputIteratorIllEEPS6_NSA_22TransformInputIteratorIb7NonZeroIsEPslEENS0_5tupleIJPlS6_EEENSJ_IJSD_SD_EEES6_SK_JS6_EEE10hipError_tPvRmT3_T4_T5_T6_T7_T9_mT8_P12ihipStream_tbDpT10_ENKUlT_T0_E_clISt17integral_constantIbLb1EES16_EEDaS11_S12_EUlS11_E_NS1_11comp_targetILNS1_3genE2ELNS1_11target_archE906ELNS1_3gpuE6ELNS1_3repE0EEENS1_30default_config_static_selectorELNS0_4arch9wavefront6targetE1EEEvT1_.private_seg_size, 0
	.set _ZN7rocprim17ROCPRIM_400000_NS6detail17trampoline_kernelINS0_14default_configENS1_25partition_config_selectorILNS1_17partition_subalgoE5ElNS0_10empty_typeEbEEZZNS1_14partition_implILS5_5ELb0ES3_mN6hipcub16HIPCUB_304000_NS21CountingInputIteratorIllEEPS6_NSA_22TransformInputIteratorIb7NonZeroIsEPslEENS0_5tupleIJPlS6_EEENSJ_IJSD_SD_EEES6_SK_JS6_EEE10hipError_tPvRmT3_T4_T5_T6_T7_T9_mT8_P12ihipStream_tbDpT10_ENKUlT_T0_E_clISt17integral_constantIbLb1EES16_EEDaS11_S12_EUlS11_E_NS1_11comp_targetILNS1_3genE2ELNS1_11target_archE906ELNS1_3gpuE6ELNS1_3repE0EEENS1_30default_config_static_selectorELNS0_4arch9wavefront6targetE1EEEvT1_.uses_vcc, 0
	.set _ZN7rocprim17ROCPRIM_400000_NS6detail17trampoline_kernelINS0_14default_configENS1_25partition_config_selectorILNS1_17partition_subalgoE5ElNS0_10empty_typeEbEEZZNS1_14partition_implILS5_5ELb0ES3_mN6hipcub16HIPCUB_304000_NS21CountingInputIteratorIllEEPS6_NSA_22TransformInputIteratorIb7NonZeroIsEPslEENS0_5tupleIJPlS6_EEENSJ_IJSD_SD_EEES6_SK_JS6_EEE10hipError_tPvRmT3_T4_T5_T6_T7_T9_mT8_P12ihipStream_tbDpT10_ENKUlT_T0_E_clISt17integral_constantIbLb1EES16_EEDaS11_S12_EUlS11_E_NS1_11comp_targetILNS1_3genE2ELNS1_11target_archE906ELNS1_3gpuE6ELNS1_3repE0EEENS1_30default_config_static_selectorELNS0_4arch9wavefront6targetE1EEEvT1_.uses_flat_scratch, 0
	.set _ZN7rocprim17ROCPRIM_400000_NS6detail17trampoline_kernelINS0_14default_configENS1_25partition_config_selectorILNS1_17partition_subalgoE5ElNS0_10empty_typeEbEEZZNS1_14partition_implILS5_5ELb0ES3_mN6hipcub16HIPCUB_304000_NS21CountingInputIteratorIllEEPS6_NSA_22TransformInputIteratorIb7NonZeroIsEPslEENS0_5tupleIJPlS6_EEENSJ_IJSD_SD_EEES6_SK_JS6_EEE10hipError_tPvRmT3_T4_T5_T6_T7_T9_mT8_P12ihipStream_tbDpT10_ENKUlT_T0_E_clISt17integral_constantIbLb1EES16_EEDaS11_S12_EUlS11_E_NS1_11comp_targetILNS1_3genE2ELNS1_11target_archE906ELNS1_3gpuE6ELNS1_3repE0EEENS1_30default_config_static_selectorELNS0_4arch9wavefront6targetE1EEEvT1_.has_dyn_sized_stack, 0
	.set _ZN7rocprim17ROCPRIM_400000_NS6detail17trampoline_kernelINS0_14default_configENS1_25partition_config_selectorILNS1_17partition_subalgoE5ElNS0_10empty_typeEbEEZZNS1_14partition_implILS5_5ELb0ES3_mN6hipcub16HIPCUB_304000_NS21CountingInputIteratorIllEEPS6_NSA_22TransformInputIteratorIb7NonZeroIsEPslEENS0_5tupleIJPlS6_EEENSJ_IJSD_SD_EEES6_SK_JS6_EEE10hipError_tPvRmT3_T4_T5_T6_T7_T9_mT8_P12ihipStream_tbDpT10_ENKUlT_T0_E_clISt17integral_constantIbLb1EES16_EEDaS11_S12_EUlS11_E_NS1_11comp_targetILNS1_3genE2ELNS1_11target_archE906ELNS1_3gpuE6ELNS1_3repE0EEENS1_30default_config_static_selectorELNS0_4arch9wavefront6targetE1EEEvT1_.has_recursion, 0
	.set _ZN7rocprim17ROCPRIM_400000_NS6detail17trampoline_kernelINS0_14default_configENS1_25partition_config_selectorILNS1_17partition_subalgoE5ElNS0_10empty_typeEbEEZZNS1_14partition_implILS5_5ELb0ES3_mN6hipcub16HIPCUB_304000_NS21CountingInputIteratorIllEEPS6_NSA_22TransformInputIteratorIb7NonZeroIsEPslEENS0_5tupleIJPlS6_EEENSJ_IJSD_SD_EEES6_SK_JS6_EEE10hipError_tPvRmT3_T4_T5_T6_T7_T9_mT8_P12ihipStream_tbDpT10_ENKUlT_T0_E_clISt17integral_constantIbLb1EES16_EEDaS11_S12_EUlS11_E_NS1_11comp_targetILNS1_3genE2ELNS1_11target_archE906ELNS1_3gpuE6ELNS1_3repE0EEENS1_30default_config_static_selectorELNS0_4arch9wavefront6targetE1EEEvT1_.has_indirect_call, 0
	.section	.AMDGPU.csdata,"",@progbits
; Kernel info:
; codeLenInByte = 0
; TotalNumSgprs: 6
; NumVgprs: 0
; NumAgprs: 0
; TotalNumVgprs: 0
; ScratchSize: 0
; MemoryBound: 0
; FloatMode: 240
; IeeeMode: 1
; LDSByteSize: 0 bytes/workgroup (compile time only)
; SGPRBlocks: 0
; VGPRBlocks: 0
; NumSGPRsForWavesPerEU: 6
; NumVGPRsForWavesPerEU: 1
; AccumOffset: 4
; Occupancy: 8
; WaveLimiterHint : 0
; COMPUTE_PGM_RSRC2:SCRATCH_EN: 0
; COMPUTE_PGM_RSRC2:USER_SGPR: 2
; COMPUTE_PGM_RSRC2:TRAP_HANDLER: 0
; COMPUTE_PGM_RSRC2:TGID_X_EN: 1
; COMPUTE_PGM_RSRC2:TGID_Y_EN: 0
; COMPUTE_PGM_RSRC2:TGID_Z_EN: 0
; COMPUTE_PGM_RSRC2:TIDIG_COMP_CNT: 0
; COMPUTE_PGM_RSRC3_GFX90A:ACCUM_OFFSET: 0
; COMPUTE_PGM_RSRC3_GFX90A:TG_SPLIT: 0
	.section	.text._ZN7rocprim17ROCPRIM_400000_NS6detail17trampoline_kernelINS0_14default_configENS1_25partition_config_selectorILNS1_17partition_subalgoE5ElNS0_10empty_typeEbEEZZNS1_14partition_implILS5_5ELb0ES3_mN6hipcub16HIPCUB_304000_NS21CountingInputIteratorIllEEPS6_NSA_22TransformInputIteratorIb7NonZeroIsEPslEENS0_5tupleIJPlS6_EEENSJ_IJSD_SD_EEES6_SK_JS6_EEE10hipError_tPvRmT3_T4_T5_T6_T7_T9_mT8_P12ihipStream_tbDpT10_ENKUlT_T0_E_clISt17integral_constantIbLb1EES16_EEDaS11_S12_EUlS11_E_NS1_11comp_targetILNS1_3genE10ELNS1_11target_archE1200ELNS1_3gpuE4ELNS1_3repE0EEENS1_30default_config_static_selectorELNS0_4arch9wavefront6targetE1EEEvT1_,"axG",@progbits,_ZN7rocprim17ROCPRIM_400000_NS6detail17trampoline_kernelINS0_14default_configENS1_25partition_config_selectorILNS1_17partition_subalgoE5ElNS0_10empty_typeEbEEZZNS1_14partition_implILS5_5ELb0ES3_mN6hipcub16HIPCUB_304000_NS21CountingInputIteratorIllEEPS6_NSA_22TransformInputIteratorIb7NonZeroIsEPslEENS0_5tupleIJPlS6_EEENSJ_IJSD_SD_EEES6_SK_JS6_EEE10hipError_tPvRmT3_T4_T5_T6_T7_T9_mT8_P12ihipStream_tbDpT10_ENKUlT_T0_E_clISt17integral_constantIbLb1EES16_EEDaS11_S12_EUlS11_E_NS1_11comp_targetILNS1_3genE10ELNS1_11target_archE1200ELNS1_3gpuE4ELNS1_3repE0EEENS1_30default_config_static_selectorELNS0_4arch9wavefront6targetE1EEEvT1_,comdat
	.protected	_ZN7rocprim17ROCPRIM_400000_NS6detail17trampoline_kernelINS0_14default_configENS1_25partition_config_selectorILNS1_17partition_subalgoE5ElNS0_10empty_typeEbEEZZNS1_14partition_implILS5_5ELb0ES3_mN6hipcub16HIPCUB_304000_NS21CountingInputIteratorIllEEPS6_NSA_22TransformInputIteratorIb7NonZeroIsEPslEENS0_5tupleIJPlS6_EEENSJ_IJSD_SD_EEES6_SK_JS6_EEE10hipError_tPvRmT3_T4_T5_T6_T7_T9_mT8_P12ihipStream_tbDpT10_ENKUlT_T0_E_clISt17integral_constantIbLb1EES16_EEDaS11_S12_EUlS11_E_NS1_11comp_targetILNS1_3genE10ELNS1_11target_archE1200ELNS1_3gpuE4ELNS1_3repE0EEENS1_30default_config_static_selectorELNS0_4arch9wavefront6targetE1EEEvT1_ ; -- Begin function _ZN7rocprim17ROCPRIM_400000_NS6detail17trampoline_kernelINS0_14default_configENS1_25partition_config_selectorILNS1_17partition_subalgoE5ElNS0_10empty_typeEbEEZZNS1_14partition_implILS5_5ELb0ES3_mN6hipcub16HIPCUB_304000_NS21CountingInputIteratorIllEEPS6_NSA_22TransformInputIteratorIb7NonZeroIsEPslEENS0_5tupleIJPlS6_EEENSJ_IJSD_SD_EEES6_SK_JS6_EEE10hipError_tPvRmT3_T4_T5_T6_T7_T9_mT8_P12ihipStream_tbDpT10_ENKUlT_T0_E_clISt17integral_constantIbLb1EES16_EEDaS11_S12_EUlS11_E_NS1_11comp_targetILNS1_3genE10ELNS1_11target_archE1200ELNS1_3gpuE4ELNS1_3repE0EEENS1_30default_config_static_selectorELNS0_4arch9wavefront6targetE1EEEvT1_
	.globl	_ZN7rocprim17ROCPRIM_400000_NS6detail17trampoline_kernelINS0_14default_configENS1_25partition_config_selectorILNS1_17partition_subalgoE5ElNS0_10empty_typeEbEEZZNS1_14partition_implILS5_5ELb0ES3_mN6hipcub16HIPCUB_304000_NS21CountingInputIteratorIllEEPS6_NSA_22TransformInputIteratorIb7NonZeroIsEPslEENS0_5tupleIJPlS6_EEENSJ_IJSD_SD_EEES6_SK_JS6_EEE10hipError_tPvRmT3_T4_T5_T6_T7_T9_mT8_P12ihipStream_tbDpT10_ENKUlT_T0_E_clISt17integral_constantIbLb1EES16_EEDaS11_S12_EUlS11_E_NS1_11comp_targetILNS1_3genE10ELNS1_11target_archE1200ELNS1_3gpuE4ELNS1_3repE0EEENS1_30default_config_static_selectorELNS0_4arch9wavefront6targetE1EEEvT1_
	.p2align	8
	.type	_ZN7rocprim17ROCPRIM_400000_NS6detail17trampoline_kernelINS0_14default_configENS1_25partition_config_selectorILNS1_17partition_subalgoE5ElNS0_10empty_typeEbEEZZNS1_14partition_implILS5_5ELb0ES3_mN6hipcub16HIPCUB_304000_NS21CountingInputIteratorIllEEPS6_NSA_22TransformInputIteratorIb7NonZeroIsEPslEENS0_5tupleIJPlS6_EEENSJ_IJSD_SD_EEES6_SK_JS6_EEE10hipError_tPvRmT3_T4_T5_T6_T7_T9_mT8_P12ihipStream_tbDpT10_ENKUlT_T0_E_clISt17integral_constantIbLb1EES16_EEDaS11_S12_EUlS11_E_NS1_11comp_targetILNS1_3genE10ELNS1_11target_archE1200ELNS1_3gpuE4ELNS1_3repE0EEENS1_30default_config_static_selectorELNS0_4arch9wavefront6targetE1EEEvT1_,@function
_ZN7rocprim17ROCPRIM_400000_NS6detail17trampoline_kernelINS0_14default_configENS1_25partition_config_selectorILNS1_17partition_subalgoE5ElNS0_10empty_typeEbEEZZNS1_14partition_implILS5_5ELb0ES3_mN6hipcub16HIPCUB_304000_NS21CountingInputIteratorIllEEPS6_NSA_22TransformInputIteratorIb7NonZeroIsEPslEENS0_5tupleIJPlS6_EEENSJ_IJSD_SD_EEES6_SK_JS6_EEE10hipError_tPvRmT3_T4_T5_T6_T7_T9_mT8_P12ihipStream_tbDpT10_ENKUlT_T0_E_clISt17integral_constantIbLb1EES16_EEDaS11_S12_EUlS11_E_NS1_11comp_targetILNS1_3genE10ELNS1_11target_archE1200ELNS1_3gpuE4ELNS1_3repE0EEENS1_30default_config_static_selectorELNS0_4arch9wavefront6targetE1EEEvT1_: ; @_ZN7rocprim17ROCPRIM_400000_NS6detail17trampoline_kernelINS0_14default_configENS1_25partition_config_selectorILNS1_17partition_subalgoE5ElNS0_10empty_typeEbEEZZNS1_14partition_implILS5_5ELb0ES3_mN6hipcub16HIPCUB_304000_NS21CountingInputIteratorIllEEPS6_NSA_22TransformInputIteratorIb7NonZeroIsEPslEENS0_5tupleIJPlS6_EEENSJ_IJSD_SD_EEES6_SK_JS6_EEE10hipError_tPvRmT3_T4_T5_T6_T7_T9_mT8_P12ihipStream_tbDpT10_ENKUlT_T0_E_clISt17integral_constantIbLb1EES16_EEDaS11_S12_EUlS11_E_NS1_11comp_targetILNS1_3genE10ELNS1_11target_archE1200ELNS1_3gpuE4ELNS1_3repE0EEENS1_30default_config_static_selectorELNS0_4arch9wavefront6targetE1EEEvT1_
; %bb.0:
	.section	.rodata,"a",@progbits
	.p2align	6, 0x0
	.amdhsa_kernel _ZN7rocprim17ROCPRIM_400000_NS6detail17trampoline_kernelINS0_14default_configENS1_25partition_config_selectorILNS1_17partition_subalgoE5ElNS0_10empty_typeEbEEZZNS1_14partition_implILS5_5ELb0ES3_mN6hipcub16HIPCUB_304000_NS21CountingInputIteratorIllEEPS6_NSA_22TransformInputIteratorIb7NonZeroIsEPslEENS0_5tupleIJPlS6_EEENSJ_IJSD_SD_EEES6_SK_JS6_EEE10hipError_tPvRmT3_T4_T5_T6_T7_T9_mT8_P12ihipStream_tbDpT10_ENKUlT_T0_E_clISt17integral_constantIbLb1EES16_EEDaS11_S12_EUlS11_E_NS1_11comp_targetILNS1_3genE10ELNS1_11target_archE1200ELNS1_3gpuE4ELNS1_3repE0EEENS1_30default_config_static_selectorELNS0_4arch9wavefront6targetE1EEEvT1_
		.amdhsa_group_segment_fixed_size 0
		.amdhsa_private_segment_fixed_size 0
		.amdhsa_kernarg_size 136
		.amdhsa_user_sgpr_count 2
		.amdhsa_user_sgpr_dispatch_ptr 0
		.amdhsa_user_sgpr_queue_ptr 0
		.amdhsa_user_sgpr_kernarg_segment_ptr 1
		.amdhsa_user_sgpr_dispatch_id 0
		.amdhsa_user_sgpr_kernarg_preload_length 0
		.amdhsa_user_sgpr_kernarg_preload_offset 0
		.amdhsa_user_sgpr_private_segment_size 0
		.amdhsa_uses_dynamic_stack 0
		.amdhsa_enable_private_segment 0
		.amdhsa_system_sgpr_workgroup_id_x 1
		.amdhsa_system_sgpr_workgroup_id_y 0
		.amdhsa_system_sgpr_workgroup_id_z 0
		.amdhsa_system_sgpr_workgroup_info 0
		.amdhsa_system_vgpr_workitem_id 0
		.amdhsa_next_free_vgpr 1
		.amdhsa_next_free_sgpr 0
		.amdhsa_accum_offset 4
		.amdhsa_reserve_vcc 0
		.amdhsa_float_round_mode_32 0
		.amdhsa_float_round_mode_16_64 0
		.amdhsa_float_denorm_mode_32 3
		.amdhsa_float_denorm_mode_16_64 3
		.amdhsa_dx10_clamp 1
		.amdhsa_ieee_mode 1
		.amdhsa_fp16_overflow 0
		.amdhsa_tg_split 0
		.amdhsa_exception_fp_ieee_invalid_op 0
		.amdhsa_exception_fp_denorm_src 0
		.amdhsa_exception_fp_ieee_div_zero 0
		.amdhsa_exception_fp_ieee_overflow 0
		.amdhsa_exception_fp_ieee_underflow 0
		.amdhsa_exception_fp_ieee_inexact 0
		.amdhsa_exception_int_div_zero 0
	.end_amdhsa_kernel
	.section	.text._ZN7rocprim17ROCPRIM_400000_NS6detail17trampoline_kernelINS0_14default_configENS1_25partition_config_selectorILNS1_17partition_subalgoE5ElNS0_10empty_typeEbEEZZNS1_14partition_implILS5_5ELb0ES3_mN6hipcub16HIPCUB_304000_NS21CountingInputIteratorIllEEPS6_NSA_22TransformInputIteratorIb7NonZeroIsEPslEENS0_5tupleIJPlS6_EEENSJ_IJSD_SD_EEES6_SK_JS6_EEE10hipError_tPvRmT3_T4_T5_T6_T7_T9_mT8_P12ihipStream_tbDpT10_ENKUlT_T0_E_clISt17integral_constantIbLb1EES16_EEDaS11_S12_EUlS11_E_NS1_11comp_targetILNS1_3genE10ELNS1_11target_archE1200ELNS1_3gpuE4ELNS1_3repE0EEENS1_30default_config_static_selectorELNS0_4arch9wavefront6targetE1EEEvT1_,"axG",@progbits,_ZN7rocprim17ROCPRIM_400000_NS6detail17trampoline_kernelINS0_14default_configENS1_25partition_config_selectorILNS1_17partition_subalgoE5ElNS0_10empty_typeEbEEZZNS1_14partition_implILS5_5ELb0ES3_mN6hipcub16HIPCUB_304000_NS21CountingInputIteratorIllEEPS6_NSA_22TransformInputIteratorIb7NonZeroIsEPslEENS0_5tupleIJPlS6_EEENSJ_IJSD_SD_EEES6_SK_JS6_EEE10hipError_tPvRmT3_T4_T5_T6_T7_T9_mT8_P12ihipStream_tbDpT10_ENKUlT_T0_E_clISt17integral_constantIbLb1EES16_EEDaS11_S12_EUlS11_E_NS1_11comp_targetILNS1_3genE10ELNS1_11target_archE1200ELNS1_3gpuE4ELNS1_3repE0EEENS1_30default_config_static_selectorELNS0_4arch9wavefront6targetE1EEEvT1_,comdat
.Lfunc_end130:
	.size	_ZN7rocprim17ROCPRIM_400000_NS6detail17trampoline_kernelINS0_14default_configENS1_25partition_config_selectorILNS1_17partition_subalgoE5ElNS0_10empty_typeEbEEZZNS1_14partition_implILS5_5ELb0ES3_mN6hipcub16HIPCUB_304000_NS21CountingInputIteratorIllEEPS6_NSA_22TransformInputIteratorIb7NonZeroIsEPslEENS0_5tupleIJPlS6_EEENSJ_IJSD_SD_EEES6_SK_JS6_EEE10hipError_tPvRmT3_T4_T5_T6_T7_T9_mT8_P12ihipStream_tbDpT10_ENKUlT_T0_E_clISt17integral_constantIbLb1EES16_EEDaS11_S12_EUlS11_E_NS1_11comp_targetILNS1_3genE10ELNS1_11target_archE1200ELNS1_3gpuE4ELNS1_3repE0EEENS1_30default_config_static_selectorELNS0_4arch9wavefront6targetE1EEEvT1_, .Lfunc_end130-_ZN7rocprim17ROCPRIM_400000_NS6detail17trampoline_kernelINS0_14default_configENS1_25partition_config_selectorILNS1_17partition_subalgoE5ElNS0_10empty_typeEbEEZZNS1_14partition_implILS5_5ELb0ES3_mN6hipcub16HIPCUB_304000_NS21CountingInputIteratorIllEEPS6_NSA_22TransformInputIteratorIb7NonZeroIsEPslEENS0_5tupleIJPlS6_EEENSJ_IJSD_SD_EEES6_SK_JS6_EEE10hipError_tPvRmT3_T4_T5_T6_T7_T9_mT8_P12ihipStream_tbDpT10_ENKUlT_T0_E_clISt17integral_constantIbLb1EES16_EEDaS11_S12_EUlS11_E_NS1_11comp_targetILNS1_3genE10ELNS1_11target_archE1200ELNS1_3gpuE4ELNS1_3repE0EEENS1_30default_config_static_selectorELNS0_4arch9wavefront6targetE1EEEvT1_
                                        ; -- End function
	.set _ZN7rocprim17ROCPRIM_400000_NS6detail17trampoline_kernelINS0_14default_configENS1_25partition_config_selectorILNS1_17partition_subalgoE5ElNS0_10empty_typeEbEEZZNS1_14partition_implILS5_5ELb0ES3_mN6hipcub16HIPCUB_304000_NS21CountingInputIteratorIllEEPS6_NSA_22TransformInputIteratorIb7NonZeroIsEPslEENS0_5tupleIJPlS6_EEENSJ_IJSD_SD_EEES6_SK_JS6_EEE10hipError_tPvRmT3_T4_T5_T6_T7_T9_mT8_P12ihipStream_tbDpT10_ENKUlT_T0_E_clISt17integral_constantIbLb1EES16_EEDaS11_S12_EUlS11_E_NS1_11comp_targetILNS1_3genE10ELNS1_11target_archE1200ELNS1_3gpuE4ELNS1_3repE0EEENS1_30default_config_static_selectorELNS0_4arch9wavefront6targetE1EEEvT1_.num_vgpr, 0
	.set _ZN7rocprim17ROCPRIM_400000_NS6detail17trampoline_kernelINS0_14default_configENS1_25partition_config_selectorILNS1_17partition_subalgoE5ElNS0_10empty_typeEbEEZZNS1_14partition_implILS5_5ELb0ES3_mN6hipcub16HIPCUB_304000_NS21CountingInputIteratorIllEEPS6_NSA_22TransformInputIteratorIb7NonZeroIsEPslEENS0_5tupleIJPlS6_EEENSJ_IJSD_SD_EEES6_SK_JS6_EEE10hipError_tPvRmT3_T4_T5_T6_T7_T9_mT8_P12ihipStream_tbDpT10_ENKUlT_T0_E_clISt17integral_constantIbLb1EES16_EEDaS11_S12_EUlS11_E_NS1_11comp_targetILNS1_3genE10ELNS1_11target_archE1200ELNS1_3gpuE4ELNS1_3repE0EEENS1_30default_config_static_selectorELNS0_4arch9wavefront6targetE1EEEvT1_.num_agpr, 0
	.set _ZN7rocprim17ROCPRIM_400000_NS6detail17trampoline_kernelINS0_14default_configENS1_25partition_config_selectorILNS1_17partition_subalgoE5ElNS0_10empty_typeEbEEZZNS1_14partition_implILS5_5ELb0ES3_mN6hipcub16HIPCUB_304000_NS21CountingInputIteratorIllEEPS6_NSA_22TransformInputIteratorIb7NonZeroIsEPslEENS0_5tupleIJPlS6_EEENSJ_IJSD_SD_EEES6_SK_JS6_EEE10hipError_tPvRmT3_T4_T5_T6_T7_T9_mT8_P12ihipStream_tbDpT10_ENKUlT_T0_E_clISt17integral_constantIbLb1EES16_EEDaS11_S12_EUlS11_E_NS1_11comp_targetILNS1_3genE10ELNS1_11target_archE1200ELNS1_3gpuE4ELNS1_3repE0EEENS1_30default_config_static_selectorELNS0_4arch9wavefront6targetE1EEEvT1_.numbered_sgpr, 0
	.set _ZN7rocprim17ROCPRIM_400000_NS6detail17trampoline_kernelINS0_14default_configENS1_25partition_config_selectorILNS1_17partition_subalgoE5ElNS0_10empty_typeEbEEZZNS1_14partition_implILS5_5ELb0ES3_mN6hipcub16HIPCUB_304000_NS21CountingInputIteratorIllEEPS6_NSA_22TransformInputIteratorIb7NonZeroIsEPslEENS0_5tupleIJPlS6_EEENSJ_IJSD_SD_EEES6_SK_JS6_EEE10hipError_tPvRmT3_T4_T5_T6_T7_T9_mT8_P12ihipStream_tbDpT10_ENKUlT_T0_E_clISt17integral_constantIbLb1EES16_EEDaS11_S12_EUlS11_E_NS1_11comp_targetILNS1_3genE10ELNS1_11target_archE1200ELNS1_3gpuE4ELNS1_3repE0EEENS1_30default_config_static_selectorELNS0_4arch9wavefront6targetE1EEEvT1_.num_named_barrier, 0
	.set _ZN7rocprim17ROCPRIM_400000_NS6detail17trampoline_kernelINS0_14default_configENS1_25partition_config_selectorILNS1_17partition_subalgoE5ElNS0_10empty_typeEbEEZZNS1_14partition_implILS5_5ELb0ES3_mN6hipcub16HIPCUB_304000_NS21CountingInputIteratorIllEEPS6_NSA_22TransformInputIteratorIb7NonZeroIsEPslEENS0_5tupleIJPlS6_EEENSJ_IJSD_SD_EEES6_SK_JS6_EEE10hipError_tPvRmT3_T4_T5_T6_T7_T9_mT8_P12ihipStream_tbDpT10_ENKUlT_T0_E_clISt17integral_constantIbLb1EES16_EEDaS11_S12_EUlS11_E_NS1_11comp_targetILNS1_3genE10ELNS1_11target_archE1200ELNS1_3gpuE4ELNS1_3repE0EEENS1_30default_config_static_selectorELNS0_4arch9wavefront6targetE1EEEvT1_.private_seg_size, 0
	.set _ZN7rocprim17ROCPRIM_400000_NS6detail17trampoline_kernelINS0_14default_configENS1_25partition_config_selectorILNS1_17partition_subalgoE5ElNS0_10empty_typeEbEEZZNS1_14partition_implILS5_5ELb0ES3_mN6hipcub16HIPCUB_304000_NS21CountingInputIteratorIllEEPS6_NSA_22TransformInputIteratorIb7NonZeroIsEPslEENS0_5tupleIJPlS6_EEENSJ_IJSD_SD_EEES6_SK_JS6_EEE10hipError_tPvRmT3_T4_T5_T6_T7_T9_mT8_P12ihipStream_tbDpT10_ENKUlT_T0_E_clISt17integral_constantIbLb1EES16_EEDaS11_S12_EUlS11_E_NS1_11comp_targetILNS1_3genE10ELNS1_11target_archE1200ELNS1_3gpuE4ELNS1_3repE0EEENS1_30default_config_static_selectorELNS0_4arch9wavefront6targetE1EEEvT1_.uses_vcc, 0
	.set _ZN7rocprim17ROCPRIM_400000_NS6detail17trampoline_kernelINS0_14default_configENS1_25partition_config_selectorILNS1_17partition_subalgoE5ElNS0_10empty_typeEbEEZZNS1_14partition_implILS5_5ELb0ES3_mN6hipcub16HIPCUB_304000_NS21CountingInputIteratorIllEEPS6_NSA_22TransformInputIteratorIb7NonZeroIsEPslEENS0_5tupleIJPlS6_EEENSJ_IJSD_SD_EEES6_SK_JS6_EEE10hipError_tPvRmT3_T4_T5_T6_T7_T9_mT8_P12ihipStream_tbDpT10_ENKUlT_T0_E_clISt17integral_constantIbLb1EES16_EEDaS11_S12_EUlS11_E_NS1_11comp_targetILNS1_3genE10ELNS1_11target_archE1200ELNS1_3gpuE4ELNS1_3repE0EEENS1_30default_config_static_selectorELNS0_4arch9wavefront6targetE1EEEvT1_.uses_flat_scratch, 0
	.set _ZN7rocprim17ROCPRIM_400000_NS6detail17trampoline_kernelINS0_14default_configENS1_25partition_config_selectorILNS1_17partition_subalgoE5ElNS0_10empty_typeEbEEZZNS1_14partition_implILS5_5ELb0ES3_mN6hipcub16HIPCUB_304000_NS21CountingInputIteratorIllEEPS6_NSA_22TransformInputIteratorIb7NonZeroIsEPslEENS0_5tupleIJPlS6_EEENSJ_IJSD_SD_EEES6_SK_JS6_EEE10hipError_tPvRmT3_T4_T5_T6_T7_T9_mT8_P12ihipStream_tbDpT10_ENKUlT_T0_E_clISt17integral_constantIbLb1EES16_EEDaS11_S12_EUlS11_E_NS1_11comp_targetILNS1_3genE10ELNS1_11target_archE1200ELNS1_3gpuE4ELNS1_3repE0EEENS1_30default_config_static_selectorELNS0_4arch9wavefront6targetE1EEEvT1_.has_dyn_sized_stack, 0
	.set _ZN7rocprim17ROCPRIM_400000_NS6detail17trampoline_kernelINS0_14default_configENS1_25partition_config_selectorILNS1_17partition_subalgoE5ElNS0_10empty_typeEbEEZZNS1_14partition_implILS5_5ELb0ES3_mN6hipcub16HIPCUB_304000_NS21CountingInputIteratorIllEEPS6_NSA_22TransformInputIteratorIb7NonZeroIsEPslEENS0_5tupleIJPlS6_EEENSJ_IJSD_SD_EEES6_SK_JS6_EEE10hipError_tPvRmT3_T4_T5_T6_T7_T9_mT8_P12ihipStream_tbDpT10_ENKUlT_T0_E_clISt17integral_constantIbLb1EES16_EEDaS11_S12_EUlS11_E_NS1_11comp_targetILNS1_3genE10ELNS1_11target_archE1200ELNS1_3gpuE4ELNS1_3repE0EEENS1_30default_config_static_selectorELNS0_4arch9wavefront6targetE1EEEvT1_.has_recursion, 0
	.set _ZN7rocprim17ROCPRIM_400000_NS6detail17trampoline_kernelINS0_14default_configENS1_25partition_config_selectorILNS1_17partition_subalgoE5ElNS0_10empty_typeEbEEZZNS1_14partition_implILS5_5ELb0ES3_mN6hipcub16HIPCUB_304000_NS21CountingInputIteratorIllEEPS6_NSA_22TransformInputIteratorIb7NonZeroIsEPslEENS0_5tupleIJPlS6_EEENSJ_IJSD_SD_EEES6_SK_JS6_EEE10hipError_tPvRmT3_T4_T5_T6_T7_T9_mT8_P12ihipStream_tbDpT10_ENKUlT_T0_E_clISt17integral_constantIbLb1EES16_EEDaS11_S12_EUlS11_E_NS1_11comp_targetILNS1_3genE10ELNS1_11target_archE1200ELNS1_3gpuE4ELNS1_3repE0EEENS1_30default_config_static_selectorELNS0_4arch9wavefront6targetE1EEEvT1_.has_indirect_call, 0
	.section	.AMDGPU.csdata,"",@progbits
; Kernel info:
; codeLenInByte = 0
; TotalNumSgprs: 6
; NumVgprs: 0
; NumAgprs: 0
; TotalNumVgprs: 0
; ScratchSize: 0
; MemoryBound: 0
; FloatMode: 240
; IeeeMode: 1
; LDSByteSize: 0 bytes/workgroup (compile time only)
; SGPRBlocks: 0
; VGPRBlocks: 0
; NumSGPRsForWavesPerEU: 6
; NumVGPRsForWavesPerEU: 1
; AccumOffset: 4
; Occupancy: 8
; WaveLimiterHint : 0
; COMPUTE_PGM_RSRC2:SCRATCH_EN: 0
; COMPUTE_PGM_RSRC2:USER_SGPR: 2
; COMPUTE_PGM_RSRC2:TRAP_HANDLER: 0
; COMPUTE_PGM_RSRC2:TGID_X_EN: 1
; COMPUTE_PGM_RSRC2:TGID_Y_EN: 0
; COMPUTE_PGM_RSRC2:TGID_Z_EN: 0
; COMPUTE_PGM_RSRC2:TIDIG_COMP_CNT: 0
; COMPUTE_PGM_RSRC3_GFX90A:ACCUM_OFFSET: 0
; COMPUTE_PGM_RSRC3_GFX90A:TG_SPLIT: 0
	.section	.text._ZN7rocprim17ROCPRIM_400000_NS6detail17trampoline_kernelINS0_14default_configENS1_25partition_config_selectorILNS1_17partition_subalgoE5ElNS0_10empty_typeEbEEZZNS1_14partition_implILS5_5ELb0ES3_mN6hipcub16HIPCUB_304000_NS21CountingInputIteratorIllEEPS6_NSA_22TransformInputIteratorIb7NonZeroIsEPslEENS0_5tupleIJPlS6_EEENSJ_IJSD_SD_EEES6_SK_JS6_EEE10hipError_tPvRmT3_T4_T5_T6_T7_T9_mT8_P12ihipStream_tbDpT10_ENKUlT_T0_E_clISt17integral_constantIbLb1EES16_EEDaS11_S12_EUlS11_E_NS1_11comp_targetILNS1_3genE9ELNS1_11target_archE1100ELNS1_3gpuE3ELNS1_3repE0EEENS1_30default_config_static_selectorELNS0_4arch9wavefront6targetE1EEEvT1_,"axG",@progbits,_ZN7rocprim17ROCPRIM_400000_NS6detail17trampoline_kernelINS0_14default_configENS1_25partition_config_selectorILNS1_17partition_subalgoE5ElNS0_10empty_typeEbEEZZNS1_14partition_implILS5_5ELb0ES3_mN6hipcub16HIPCUB_304000_NS21CountingInputIteratorIllEEPS6_NSA_22TransformInputIteratorIb7NonZeroIsEPslEENS0_5tupleIJPlS6_EEENSJ_IJSD_SD_EEES6_SK_JS6_EEE10hipError_tPvRmT3_T4_T5_T6_T7_T9_mT8_P12ihipStream_tbDpT10_ENKUlT_T0_E_clISt17integral_constantIbLb1EES16_EEDaS11_S12_EUlS11_E_NS1_11comp_targetILNS1_3genE9ELNS1_11target_archE1100ELNS1_3gpuE3ELNS1_3repE0EEENS1_30default_config_static_selectorELNS0_4arch9wavefront6targetE1EEEvT1_,comdat
	.protected	_ZN7rocprim17ROCPRIM_400000_NS6detail17trampoline_kernelINS0_14default_configENS1_25partition_config_selectorILNS1_17partition_subalgoE5ElNS0_10empty_typeEbEEZZNS1_14partition_implILS5_5ELb0ES3_mN6hipcub16HIPCUB_304000_NS21CountingInputIteratorIllEEPS6_NSA_22TransformInputIteratorIb7NonZeroIsEPslEENS0_5tupleIJPlS6_EEENSJ_IJSD_SD_EEES6_SK_JS6_EEE10hipError_tPvRmT3_T4_T5_T6_T7_T9_mT8_P12ihipStream_tbDpT10_ENKUlT_T0_E_clISt17integral_constantIbLb1EES16_EEDaS11_S12_EUlS11_E_NS1_11comp_targetILNS1_3genE9ELNS1_11target_archE1100ELNS1_3gpuE3ELNS1_3repE0EEENS1_30default_config_static_selectorELNS0_4arch9wavefront6targetE1EEEvT1_ ; -- Begin function _ZN7rocprim17ROCPRIM_400000_NS6detail17trampoline_kernelINS0_14default_configENS1_25partition_config_selectorILNS1_17partition_subalgoE5ElNS0_10empty_typeEbEEZZNS1_14partition_implILS5_5ELb0ES3_mN6hipcub16HIPCUB_304000_NS21CountingInputIteratorIllEEPS6_NSA_22TransformInputIteratorIb7NonZeroIsEPslEENS0_5tupleIJPlS6_EEENSJ_IJSD_SD_EEES6_SK_JS6_EEE10hipError_tPvRmT3_T4_T5_T6_T7_T9_mT8_P12ihipStream_tbDpT10_ENKUlT_T0_E_clISt17integral_constantIbLb1EES16_EEDaS11_S12_EUlS11_E_NS1_11comp_targetILNS1_3genE9ELNS1_11target_archE1100ELNS1_3gpuE3ELNS1_3repE0EEENS1_30default_config_static_selectorELNS0_4arch9wavefront6targetE1EEEvT1_
	.globl	_ZN7rocprim17ROCPRIM_400000_NS6detail17trampoline_kernelINS0_14default_configENS1_25partition_config_selectorILNS1_17partition_subalgoE5ElNS0_10empty_typeEbEEZZNS1_14partition_implILS5_5ELb0ES3_mN6hipcub16HIPCUB_304000_NS21CountingInputIteratorIllEEPS6_NSA_22TransformInputIteratorIb7NonZeroIsEPslEENS0_5tupleIJPlS6_EEENSJ_IJSD_SD_EEES6_SK_JS6_EEE10hipError_tPvRmT3_T4_T5_T6_T7_T9_mT8_P12ihipStream_tbDpT10_ENKUlT_T0_E_clISt17integral_constantIbLb1EES16_EEDaS11_S12_EUlS11_E_NS1_11comp_targetILNS1_3genE9ELNS1_11target_archE1100ELNS1_3gpuE3ELNS1_3repE0EEENS1_30default_config_static_selectorELNS0_4arch9wavefront6targetE1EEEvT1_
	.p2align	8
	.type	_ZN7rocprim17ROCPRIM_400000_NS6detail17trampoline_kernelINS0_14default_configENS1_25partition_config_selectorILNS1_17partition_subalgoE5ElNS0_10empty_typeEbEEZZNS1_14partition_implILS5_5ELb0ES3_mN6hipcub16HIPCUB_304000_NS21CountingInputIteratorIllEEPS6_NSA_22TransformInputIteratorIb7NonZeroIsEPslEENS0_5tupleIJPlS6_EEENSJ_IJSD_SD_EEES6_SK_JS6_EEE10hipError_tPvRmT3_T4_T5_T6_T7_T9_mT8_P12ihipStream_tbDpT10_ENKUlT_T0_E_clISt17integral_constantIbLb1EES16_EEDaS11_S12_EUlS11_E_NS1_11comp_targetILNS1_3genE9ELNS1_11target_archE1100ELNS1_3gpuE3ELNS1_3repE0EEENS1_30default_config_static_selectorELNS0_4arch9wavefront6targetE1EEEvT1_,@function
_ZN7rocprim17ROCPRIM_400000_NS6detail17trampoline_kernelINS0_14default_configENS1_25partition_config_selectorILNS1_17partition_subalgoE5ElNS0_10empty_typeEbEEZZNS1_14partition_implILS5_5ELb0ES3_mN6hipcub16HIPCUB_304000_NS21CountingInputIteratorIllEEPS6_NSA_22TransformInputIteratorIb7NonZeroIsEPslEENS0_5tupleIJPlS6_EEENSJ_IJSD_SD_EEES6_SK_JS6_EEE10hipError_tPvRmT3_T4_T5_T6_T7_T9_mT8_P12ihipStream_tbDpT10_ENKUlT_T0_E_clISt17integral_constantIbLb1EES16_EEDaS11_S12_EUlS11_E_NS1_11comp_targetILNS1_3genE9ELNS1_11target_archE1100ELNS1_3gpuE3ELNS1_3repE0EEENS1_30default_config_static_selectorELNS0_4arch9wavefront6targetE1EEEvT1_: ; @_ZN7rocprim17ROCPRIM_400000_NS6detail17trampoline_kernelINS0_14default_configENS1_25partition_config_selectorILNS1_17partition_subalgoE5ElNS0_10empty_typeEbEEZZNS1_14partition_implILS5_5ELb0ES3_mN6hipcub16HIPCUB_304000_NS21CountingInputIteratorIllEEPS6_NSA_22TransformInputIteratorIb7NonZeroIsEPslEENS0_5tupleIJPlS6_EEENSJ_IJSD_SD_EEES6_SK_JS6_EEE10hipError_tPvRmT3_T4_T5_T6_T7_T9_mT8_P12ihipStream_tbDpT10_ENKUlT_T0_E_clISt17integral_constantIbLb1EES16_EEDaS11_S12_EUlS11_E_NS1_11comp_targetILNS1_3genE9ELNS1_11target_archE1100ELNS1_3gpuE3ELNS1_3repE0EEENS1_30default_config_static_selectorELNS0_4arch9wavefront6targetE1EEEvT1_
; %bb.0:
	.section	.rodata,"a",@progbits
	.p2align	6, 0x0
	.amdhsa_kernel _ZN7rocprim17ROCPRIM_400000_NS6detail17trampoline_kernelINS0_14default_configENS1_25partition_config_selectorILNS1_17partition_subalgoE5ElNS0_10empty_typeEbEEZZNS1_14partition_implILS5_5ELb0ES3_mN6hipcub16HIPCUB_304000_NS21CountingInputIteratorIllEEPS6_NSA_22TransformInputIteratorIb7NonZeroIsEPslEENS0_5tupleIJPlS6_EEENSJ_IJSD_SD_EEES6_SK_JS6_EEE10hipError_tPvRmT3_T4_T5_T6_T7_T9_mT8_P12ihipStream_tbDpT10_ENKUlT_T0_E_clISt17integral_constantIbLb1EES16_EEDaS11_S12_EUlS11_E_NS1_11comp_targetILNS1_3genE9ELNS1_11target_archE1100ELNS1_3gpuE3ELNS1_3repE0EEENS1_30default_config_static_selectorELNS0_4arch9wavefront6targetE1EEEvT1_
		.amdhsa_group_segment_fixed_size 0
		.amdhsa_private_segment_fixed_size 0
		.amdhsa_kernarg_size 136
		.amdhsa_user_sgpr_count 2
		.amdhsa_user_sgpr_dispatch_ptr 0
		.amdhsa_user_sgpr_queue_ptr 0
		.amdhsa_user_sgpr_kernarg_segment_ptr 1
		.amdhsa_user_sgpr_dispatch_id 0
		.amdhsa_user_sgpr_kernarg_preload_length 0
		.amdhsa_user_sgpr_kernarg_preload_offset 0
		.amdhsa_user_sgpr_private_segment_size 0
		.amdhsa_uses_dynamic_stack 0
		.amdhsa_enable_private_segment 0
		.amdhsa_system_sgpr_workgroup_id_x 1
		.amdhsa_system_sgpr_workgroup_id_y 0
		.amdhsa_system_sgpr_workgroup_id_z 0
		.amdhsa_system_sgpr_workgroup_info 0
		.amdhsa_system_vgpr_workitem_id 0
		.amdhsa_next_free_vgpr 1
		.amdhsa_next_free_sgpr 0
		.amdhsa_accum_offset 4
		.amdhsa_reserve_vcc 0
		.amdhsa_float_round_mode_32 0
		.amdhsa_float_round_mode_16_64 0
		.amdhsa_float_denorm_mode_32 3
		.amdhsa_float_denorm_mode_16_64 3
		.amdhsa_dx10_clamp 1
		.amdhsa_ieee_mode 1
		.amdhsa_fp16_overflow 0
		.amdhsa_tg_split 0
		.amdhsa_exception_fp_ieee_invalid_op 0
		.amdhsa_exception_fp_denorm_src 0
		.amdhsa_exception_fp_ieee_div_zero 0
		.amdhsa_exception_fp_ieee_overflow 0
		.amdhsa_exception_fp_ieee_underflow 0
		.amdhsa_exception_fp_ieee_inexact 0
		.amdhsa_exception_int_div_zero 0
	.end_amdhsa_kernel
	.section	.text._ZN7rocprim17ROCPRIM_400000_NS6detail17trampoline_kernelINS0_14default_configENS1_25partition_config_selectorILNS1_17partition_subalgoE5ElNS0_10empty_typeEbEEZZNS1_14partition_implILS5_5ELb0ES3_mN6hipcub16HIPCUB_304000_NS21CountingInputIteratorIllEEPS6_NSA_22TransformInputIteratorIb7NonZeroIsEPslEENS0_5tupleIJPlS6_EEENSJ_IJSD_SD_EEES6_SK_JS6_EEE10hipError_tPvRmT3_T4_T5_T6_T7_T9_mT8_P12ihipStream_tbDpT10_ENKUlT_T0_E_clISt17integral_constantIbLb1EES16_EEDaS11_S12_EUlS11_E_NS1_11comp_targetILNS1_3genE9ELNS1_11target_archE1100ELNS1_3gpuE3ELNS1_3repE0EEENS1_30default_config_static_selectorELNS0_4arch9wavefront6targetE1EEEvT1_,"axG",@progbits,_ZN7rocprim17ROCPRIM_400000_NS6detail17trampoline_kernelINS0_14default_configENS1_25partition_config_selectorILNS1_17partition_subalgoE5ElNS0_10empty_typeEbEEZZNS1_14partition_implILS5_5ELb0ES3_mN6hipcub16HIPCUB_304000_NS21CountingInputIteratorIllEEPS6_NSA_22TransformInputIteratorIb7NonZeroIsEPslEENS0_5tupleIJPlS6_EEENSJ_IJSD_SD_EEES6_SK_JS6_EEE10hipError_tPvRmT3_T4_T5_T6_T7_T9_mT8_P12ihipStream_tbDpT10_ENKUlT_T0_E_clISt17integral_constantIbLb1EES16_EEDaS11_S12_EUlS11_E_NS1_11comp_targetILNS1_3genE9ELNS1_11target_archE1100ELNS1_3gpuE3ELNS1_3repE0EEENS1_30default_config_static_selectorELNS0_4arch9wavefront6targetE1EEEvT1_,comdat
.Lfunc_end131:
	.size	_ZN7rocprim17ROCPRIM_400000_NS6detail17trampoline_kernelINS0_14default_configENS1_25partition_config_selectorILNS1_17partition_subalgoE5ElNS0_10empty_typeEbEEZZNS1_14partition_implILS5_5ELb0ES3_mN6hipcub16HIPCUB_304000_NS21CountingInputIteratorIllEEPS6_NSA_22TransformInputIteratorIb7NonZeroIsEPslEENS0_5tupleIJPlS6_EEENSJ_IJSD_SD_EEES6_SK_JS6_EEE10hipError_tPvRmT3_T4_T5_T6_T7_T9_mT8_P12ihipStream_tbDpT10_ENKUlT_T0_E_clISt17integral_constantIbLb1EES16_EEDaS11_S12_EUlS11_E_NS1_11comp_targetILNS1_3genE9ELNS1_11target_archE1100ELNS1_3gpuE3ELNS1_3repE0EEENS1_30default_config_static_selectorELNS0_4arch9wavefront6targetE1EEEvT1_, .Lfunc_end131-_ZN7rocprim17ROCPRIM_400000_NS6detail17trampoline_kernelINS0_14default_configENS1_25partition_config_selectorILNS1_17partition_subalgoE5ElNS0_10empty_typeEbEEZZNS1_14partition_implILS5_5ELb0ES3_mN6hipcub16HIPCUB_304000_NS21CountingInputIteratorIllEEPS6_NSA_22TransformInputIteratorIb7NonZeroIsEPslEENS0_5tupleIJPlS6_EEENSJ_IJSD_SD_EEES6_SK_JS6_EEE10hipError_tPvRmT3_T4_T5_T6_T7_T9_mT8_P12ihipStream_tbDpT10_ENKUlT_T0_E_clISt17integral_constantIbLb1EES16_EEDaS11_S12_EUlS11_E_NS1_11comp_targetILNS1_3genE9ELNS1_11target_archE1100ELNS1_3gpuE3ELNS1_3repE0EEENS1_30default_config_static_selectorELNS0_4arch9wavefront6targetE1EEEvT1_
                                        ; -- End function
	.set _ZN7rocprim17ROCPRIM_400000_NS6detail17trampoline_kernelINS0_14default_configENS1_25partition_config_selectorILNS1_17partition_subalgoE5ElNS0_10empty_typeEbEEZZNS1_14partition_implILS5_5ELb0ES3_mN6hipcub16HIPCUB_304000_NS21CountingInputIteratorIllEEPS6_NSA_22TransformInputIteratorIb7NonZeroIsEPslEENS0_5tupleIJPlS6_EEENSJ_IJSD_SD_EEES6_SK_JS6_EEE10hipError_tPvRmT3_T4_T5_T6_T7_T9_mT8_P12ihipStream_tbDpT10_ENKUlT_T0_E_clISt17integral_constantIbLb1EES16_EEDaS11_S12_EUlS11_E_NS1_11comp_targetILNS1_3genE9ELNS1_11target_archE1100ELNS1_3gpuE3ELNS1_3repE0EEENS1_30default_config_static_selectorELNS0_4arch9wavefront6targetE1EEEvT1_.num_vgpr, 0
	.set _ZN7rocprim17ROCPRIM_400000_NS6detail17trampoline_kernelINS0_14default_configENS1_25partition_config_selectorILNS1_17partition_subalgoE5ElNS0_10empty_typeEbEEZZNS1_14partition_implILS5_5ELb0ES3_mN6hipcub16HIPCUB_304000_NS21CountingInputIteratorIllEEPS6_NSA_22TransformInputIteratorIb7NonZeroIsEPslEENS0_5tupleIJPlS6_EEENSJ_IJSD_SD_EEES6_SK_JS6_EEE10hipError_tPvRmT3_T4_T5_T6_T7_T9_mT8_P12ihipStream_tbDpT10_ENKUlT_T0_E_clISt17integral_constantIbLb1EES16_EEDaS11_S12_EUlS11_E_NS1_11comp_targetILNS1_3genE9ELNS1_11target_archE1100ELNS1_3gpuE3ELNS1_3repE0EEENS1_30default_config_static_selectorELNS0_4arch9wavefront6targetE1EEEvT1_.num_agpr, 0
	.set _ZN7rocprim17ROCPRIM_400000_NS6detail17trampoline_kernelINS0_14default_configENS1_25partition_config_selectorILNS1_17partition_subalgoE5ElNS0_10empty_typeEbEEZZNS1_14partition_implILS5_5ELb0ES3_mN6hipcub16HIPCUB_304000_NS21CountingInputIteratorIllEEPS6_NSA_22TransformInputIteratorIb7NonZeroIsEPslEENS0_5tupleIJPlS6_EEENSJ_IJSD_SD_EEES6_SK_JS6_EEE10hipError_tPvRmT3_T4_T5_T6_T7_T9_mT8_P12ihipStream_tbDpT10_ENKUlT_T0_E_clISt17integral_constantIbLb1EES16_EEDaS11_S12_EUlS11_E_NS1_11comp_targetILNS1_3genE9ELNS1_11target_archE1100ELNS1_3gpuE3ELNS1_3repE0EEENS1_30default_config_static_selectorELNS0_4arch9wavefront6targetE1EEEvT1_.numbered_sgpr, 0
	.set _ZN7rocprim17ROCPRIM_400000_NS6detail17trampoline_kernelINS0_14default_configENS1_25partition_config_selectorILNS1_17partition_subalgoE5ElNS0_10empty_typeEbEEZZNS1_14partition_implILS5_5ELb0ES3_mN6hipcub16HIPCUB_304000_NS21CountingInputIteratorIllEEPS6_NSA_22TransformInputIteratorIb7NonZeroIsEPslEENS0_5tupleIJPlS6_EEENSJ_IJSD_SD_EEES6_SK_JS6_EEE10hipError_tPvRmT3_T4_T5_T6_T7_T9_mT8_P12ihipStream_tbDpT10_ENKUlT_T0_E_clISt17integral_constantIbLb1EES16_EEDaS11_S12_EUlS11_E_NS1_11comp_targetILNS1_3genE9ELNS1_11target_archE1100ELNS1_3gpuE3ELNS1_3repE0EEENS1_30default_config_static_selectorELNS0_4arch9wavefront6targetE1EEEvT1_.num_named_barrier, 0
	.set _ZN7rocprim17ROCPRIM_400000_NS6detail17trampoline_kernelINS0_14default_configENS1_25partition_config_selectorILNS1_17partition_subalgoE5ElNS0_10empty_typeEbEEZZNS1_14partition_implILS5_5ELb0ES3_mN6hipcub16HIPCUB_304000_NS21CountingInputIteratorIllEEPS6_NSA_22TransformInputIteratorIb7NonZeroIsEPslEENS0_5tupleIJPlS6_EEENSJ_IJSD_SD_EEES6_SK_JS6_EEE10hipError_tPvRmT3_T4_T5_T6_T7_T9_mT8_P12ihipStream_tbDpT10_ENKUlT_T0_E_clISt17integral_constantIbLb1EES16_EEDaS11_S12_EUlS11_E_NS1_11comp_targetILNS1_3genE9ELNS1_11target_archE1100ELNS1_3gpuE3ELNS1_3repE0EEENS1_30default_config_static_selectorELNS0_4arch9wavefront6targetE1EEEvT1_.private_seg_size, 0
	.set _ZN7rocprim17ROCPRIM_400000_NS6detail17trampoline_kernelINS0_14default_configENS1_25partition_config_selectorILNS1_17partition_subalgoE5ElNS0_10empty_typeEbEEZZNS1_14partition_implILS5_5ELb0ES3_mN6hipcub16HIPCUB_304000_NS21CountingInputIteratorIllEEPS6_NSA_22TransformInputIteratorIb7NonZeroIsEPslEENS0_5tupleIJPlS6_EEENSJ_IJSD_SD_EEES6_SK_JS6_EEE10hipError_tPvRmT3_T4_T5_T6_T7_T9_mT8_P12ihipStream_tbDpT10_ENKUlT_T0_E_clISt17integral_constantIbLb1EES16_EEDaS11_S12_EUlS11_E_NS1_11comp_targetILNS1_3genE9ELNS1_11target_archE1100ELNS1_3gpuE3ELNS1_3repE0EEENS1_30default_config_static_selectorELNS0_4arch9wavefront6targetE1EEEvT1_.uses_vcc, 0
	.set _ZN7rocprim17ROCPRIM_400000_NS6detail17trampoline_kernelINS0_14default_configENS1_25partition_config_selectorILNS1_17partition_subalgoE5ElNS0_10empty_typeEbEEZZNS1_14partition_implILS5_5ELb0ES3_mN6hipcub16HIPCUB_304000_NS21CountingInputIteratorIllEEPS6_NSA_22TransformInputIteratorIb7NonZeroIsEPslEENS0_5tupleIJPlS6_EEENSJ_IJSD_SD_EEES6_SK_JS6_EEE10hipError_tPvRmT3_T4_T5_T6_T7_T9_mT8_P12ihipStream_tbDpT10_ENKUlT_T0_E_clISt17integral_constantIbLb1EES16_EEDaS11_S12_EUlS11_E_NS1_11comp_targetILNS1_3genE9ELNS1_11target_archE1100ELNS1_3gpuE3ELNS1_3repE0EEENS1_30default_config_static_selectorELNS0_4arch9wavefront6targetE1EEEvT1_.uses_flat_scratch, 0
	.set _ZN7rocprim17ROCPRIM_400000_NS6detail17trampoline_kernelINS0_14default_configENS1_25partition_config_selectorILNS1_17partition_subalgoE5ElNS0_10empty_typeEbEEZZNS1_14partition_implILS5_5ELb0ES3_mN6hipcub16HIPCUB_304000_NS21CountingInputIteratorIllEEPS6_NSA_22TransformInputIteratorIb7NonZeroIsEPslEENS0_5tupleIJPlS6_EEENSJ_IJSD_SD_EEES6_SK_JS6_EEE10hipError_tPvRmT3_T4_T5_T6_T7_T9_mT8_P12ihipStream_tbDpT10_ENKUlT_T0_E_clISt17integral_constantIbLb1EES16_EEDaS11_S12_EUlS11_E_NS1_11comp_targetILNS1_3genE9ELNS1_11target_archE1100ELNS1_3gpuE3ELNS1_3repE0EEENS1_30default_config_static_selectorELNS0_4arch9wavefront6targetE1EEEvT1_.has_dyn_sized_stack, 0
	.set _ZN7rocprim17ROCPRIM_400000_NS6detail17trampoline_kernelINS0_14default_configENS1_25partition_config_selectorILNS1_17partition_subalgoE5ElNS0_10empty_typeEbEEZZNS1_14partition_implILS5_5ELb0ES3_mN6hipcub16HIPCUB_304000_NS21CountingInputIteratorIllEEPS6_NSA_22TransformInputIteratorIb7NonZeroIsEPslEENS0_5tupleIJPlS6_EEENSJ_IJSD_SD_EEES6_SK_JS6_EEE10hipError_tPvRmT3_T4_T5_T6_T7_T9_mT8_P12ihipStream_tbDpT10_ENKUlT_T0_E_clISt17integral_constantIbLb1EES16_EEDaS11_S12_EUlS11_E_NS1_11comp_targetILNS1_3genE9ELNS1_11target_archE1100ELNS1_3gpuE3ELNS1_3repE0EEENS1_30default_config_static_selectorELNS0_4arch9wavefront6targetE1EEEvT1_.has_recursion, 0
	.set _ZN7rocprim17ROCPRIM_400000_NS6detail17trampoline_kernelINS0_14default_configENS1_25partition_config_selectorILNS1_17partition_subalgoE5ElNS0_10empty_typeEbEEZZNS1_14partition_implILS5_5ELb0ES3_mN6hipcub16HIPCUB_304000_NS21CountingInputIteratorIllEEPS6_NSA_22TransformInputIteratorIb7NonZeroIsEPslEENS0_5tupleIJPlS6_EEENSJ_IJSD_SD_EEES6_SK_JS6_EEE10hipError_tPvRmT3_T4_T5_T6_T7_T9_mT8_P12ihipStream_tbDpT10_ENKUlT_T0_E_clISt17integral_constantIbLb1EES16_EEDaS11_S12_EUlS11_E_NS1_11comp_targetILNS1_3genE9ELNS1_11target_archE1100ELNS1_3gpuE3ELNS1_3repE0EEENS1_30default_config_static_selectorELNS0_4arch9wavefront6targetE1EEEvT1_.has_indirect_call, 0
	.section	.AMDGPU.csdata,"",@progbits
; Kernel info:
; codeLenInByte = 0
; TotalNumSgprs: 6
; NumVgprs: 0
; NumAgprs: 0
; TotalNumVgprs: 0
; ScratchSize: 0
; MemoryBound: 0
; FloatMode: 240
; IeeeMode: 1
; LDSByteSize: 0 bytes/workgroup (compile time only)
; SGPRBlocks: 0
; VGPRBlocks: 0
; NumSGPRsForWavesPerEU: 6
; NumVGPRsForWavesPerEU: 1
; AccumOffset: 4
; Occupancy: 8
; WaveLimiterHint : 0
; COMPUTE_PGM_RSRC2:SCRATCH_EN: 0
; COMPUTE_PGM_RSRC2:USER_SGPR: 2
; COMPUTE_PGM_RSRC2:TRAP_HANDLER: 0
; COMPUTE_PGM_RSRC2:TGID_X_EN: 1
; COMPUTE_PGM_RSRC2:TGID_Y_EN: 0
; COMPUTE_PGM_RSRC2:TGID_Z_EN: 0
; COMPUTE_PGM_RSRC2:TIDIG_COMP_CNT: 0
; COMPUTE_PGM_RSRC3_GFX90A:ACCUM_OFFSET: 0
; COMPUTE_PGM_RSRC3_GFX90A:TG_SPLIT: 0
	.section	.text._ZN7rocprim17ROCPRIM_400000_NS6detail17trampoline_kernelINS0_14default_configENS1_25partition_config_selectorILNS1_17partition_subalgoE5ElNS0_10empty_typeEbEEZZNS1_14partition_implILS5_5ELb0ES3_mN6hipcub16HIPCUB_304000_NS21CountingInputIteratorIllEEPS6_NSA_22TransformInputIteratorIb7NonZeroIsEPslEENS0_5tupleIJPlS6_EEENSJ_IJSD_SD_EEES6_SK_JS6_EEE10hipError_tPvRmT3_T4_T5_T6_T7_T9_mT8_P12ihipStream_tbDpT10_ENKUlT_T0_E_clISt17integral_constantIbLb1EES16_EEDaS11_S12_EUlS11_E_NS1_11comp_targetILNS1_3genE8ELNS1_11target_archE1030ELNS1_3gpuE2ELNS1_3repE0EEENS1_30default_config_static_selectorELNS0_4arch9wavefront6targetE1EEEvT1_,"axG",@progbits,_ZN7rocprim17ROCPRIM_400000_NS6detail17trampoline_kernelINS0_14default_configENS1_25partition_config_selectorILNS1_17partition_subalgoE5ElNS0_10empty_typeEbEEZZNS1_14partition_implILS5_5ELb0ES3_mN6hipcub16HIPCUB_304000_NS21CountingInputIteratorIllEEPS6_NSA_22TransformInputIteratorIb7NonZeroIsEPslEENS0_5tupleIJPlS6_EEENSJ_IJSD_SD_EEES6_SK_JS6_EEE10hipError_tPvRmT3_T4_T5_T6_T7_T9_mT8_P12ihipStream_tbDpT10_ENKUlT_T0_E_clISt17integral_constantIbLb1EES16_EEDaS11_S12_EUlS11_E_NS1_11comp_targetILNS1_3genE8ELNS1_11target_archE1030ELNS1_3gpuE2ELNS1_3repE0EEENS1_30default_config_static_selectorELNS0_4arch9wavefront6targetE1EEEvT1_,comdat
	.protected	_ZN7rocprim17ROCPRIM_400000_NS6detail17trampoline_kernelINS0_14default_configENS1_25partition_config_selectorILNS1_17partition_subalgoE5ElNS0_10empty_typeEbEEZZNS1_14partition_implILS5_5ELb0ES3_mN6hipcub16HIPCUB_304000_NS21CountingInputIteratorIllEEPS6_NSA_22TransformInputIteratorIb7NonZeroIsEPslEENS0_5tupleIJPlS6_EEENSJ_IJSD_SD_EEES6_SK_JS6_EEE10hipError_tPvRmT3_T4_T5_T6_T7_T9_mT8_P12ihipStream_tbDpT10_ENKUlT_T0_E_clISt17integral_constantIbLb1EES16_EEDaS11_S12_EUlS11_E_NS1_11comp_targetILNS1_3genE8ELNS1_11target_archE1030ELNS1_3gpuE2ELNS1_3repE0EEENS1_30default_config_static_selectorELNS0_4arch9wavefront6targetE1EEEvT1_ ; -- Begin function _ZN7rocprim17ROCPRIM_400000_NS6detail17trampoline_kernelINS0_14default_configENS1_25partition_config_selectorILNS1_17partition_subalgoE5ElNS0_10empty_typeEbEEZZNS1_14partition_implILS5_5ELb0ES3_mN6hipcub16HIPCUB_304000_NS21CountingInputIteratorIllEEPS6_NSA_22TransformInputIteratorIb7NonZeroIsEPslEENS0_5tupleIJPlS6_EEENSJ_IJSD_SD_EEES6_SK_JS6_EEE10hipError_tPvRmT3_T4_T5_T6_T7_T9_mT8_P12ihipStream_tbDpT10_ENKUlT_T0_E_clISt17integral_constantIbLb1EES16_EEDaS11_S12_EUlS11_E_NS1_11comp_targetILNS1_3genE8ELNS1_11target_archE1030ELNS1_3gpuE2ELNS1_3repE0EEENS1_30default_config_static_selectorELNS0_4arch9wavefront6targetE1EEEvT1_
	.globl	_ZN7rocprim17ROCPRIM_400000_NS6detail17trampoline_kernelINS0_14default_configENS1_25partition_config_selectorILNS1_17partition_subalgoE5ElNS0_10empty_typeEbEEZZNS1_14partition_implILS5_5ELb0ES3_mN6hipcub16HIPCUB_304000_NS21CountingInputIteratorIllEEPS6_NSA_22TransformInputIteratorIb7NonZeroIsEPslEENS0_5tupleIJPlS6_EEENSJ_IJSD_SD_EEES6_SK_JS6_EEE10hipError_tPvRmT3_T4_T5_T6_T7_T9_mT8_P12ihipStream_tbDpT10_ENKUlT_T0_E_clISt17integral_constantIbLb1EES16_EEDaS11_S12_EUlS11_E_NS1_11comp_targetILNS1_3genE8ELNS1_11target_archE1030ELNS1_3gpuE2ELNS1_3repE0EEENS1_30default_config_static_selectorELNS0_4arch9wavefront6targetE1EEEvT1_
	.p2align	8
	.type	_ZN7rocprim17ROCPRIM_400000_NS6detail17trampoline_kernelINS0_14default_configENS1_25partition_config_selectorILNS1_17partition_subalgoE5ElNS0_10empty_typeEbEEZZNS1_14partition_implILS5_5ELb0ES3_mN6hipcub16HIPCUB_304000_NS21CountingInputIteratorIllEEPS6_NSA_22TransformInputIteratorIb7NonZeroIsEPslEENS0_5tupleIJPlS6_EEENSJ_IJSD_SD_EEES6_SK_JS6_EEE10hipError_tPvRmT3_T4_T5_T6_T7_T9_mT8_P12ihipStream_tbDpT10_ENKUlT_T0_E_clISt17integral_constantIbLb1EES16_EEDaS11_S12_EUlS11_E_NS1_11comp_targetILNS1_3genE8ELNS1_11target_archE1030ELNS1_3gpuE2ELNS1_3repE0EEENS1_30default_config_static_selectorELNS0_4arch9wavefront6targetE1EEEvT1_,@function
_ZN7rocprim17ROCPRIM_400000_NS6detail17trampoline_kernelINS0_14default_configENS1_25partition_config_selectorILNS1_17partition_subalgoE5ElNS0_10empty_typeEbEEZZNS1_14partition_implILS5_5ELb0ES3_mN6hipcub16HIPCUB_304000_NS21CountingInputIteratorIllEEPS6_NSA_22TransformInputIteratorIb7NonZeroIsEPslEENS0_5tupleIJPlS6_EEENSJ_IJSD_SD_EEES6_SK_JS6_EEE10hipError_tPvRmT3_T4_T5_T6_T7_T9_mT8_P12ihipStream_tbDpT10_ENKUlT_T0_E_clISt17integral_constantIbLb1EES16_EEDaS11_S12_EUlS11_E_NS1_11comp_targetILNS1_3genE8ELNS1_11target_archE1030ELNS1_3gpuE2ELNS1_3repE0EEENS1_30default_config_static_selectorELNS0_4arch9wavefront6targetE1EEEvT1_: ; @_ZN7rocprim17ROCPRIM_400000_NS6detail17trampoline_kernelINS0_14default_configENS1_25partition_config_selectorILNS1_17partition_subalgoE5ElNS0_10empty_typeEbEEZZNS1_14partition_implILS5_5ELb0ES3_mN6hipcub16HIPCUB_304000_NS21CountingInputIteratorIllEEPS6_NSA_22TransformInputIteratorIb7NonZeroIsEPslEENS0_5tupleIJPlS6_EEENSJ_IJSD_SD_EEES6_SK_JS6_EEE10hipError_tPvRmT3_T4_T5_T6_T7_T9_mT8_P12ihipStream_tbDpT10_ENKUlT_T0_E_clISt17integral_constantIbLb1EES16_EEDaS11_S12_EUlS11_E_NS1_11comp_targetILNS1_3genE8ELNS1_11target_archE1030ELNS1_3gpuE2ELNS1_3repE0EEENS1_30default_config_static_selectorELNS0_4arch9wavefront6targetE1EEEvT1_
; %bb.0:
	.section	.rodata,"a",@progbits
	.p2align	6, 0x0
	.amdhsa_kernel _ZN7rocprim17ROCPRIM_400000_NS6detail17trampoline_kernelINS0_14default_configENS1_25partition_config_selectorILNS1_17partition_subalgoE5ElNS0_10empty_typeEbEEZZNS1_14partition_implILS5_5ELb0ES3_mN6hipcub16HIPCUB_304000_NS21CountingInputIteratorIllEEPS6_NSA_22TransformInputIteratorIb7NonZeroIsEPslEENS0_5tupleIJPlS6_EEENSJ_IJSD_SD_EEES6_SK_JS6_EEE10hipError_tPvRmT3_T4_T5_T6_T7_T9_mT8_P12ihipStream_tbDpT10_ENKUlT_T0_E_clISt17integral_constantIbLb1EES16_EEDaS11_S12_EUlS11_E_NS1_11comp_targetILNS1_3genE8ELNS1_11target_archE1030ELNS1_3gpuE2ELNS1_3repE0EEENS1_30default_config_static_selectorELNS0_4arch9wavefront6targetE1EEEvT1_
		.amdhsa_group_segment_fixed_size 0
		.amdhsa_private_segment_fixed_size 0
		.amdhsa_kernarg_size 136
		.amdhsa_user_sgpr_count 2
		.amdhsa_user_sgpr_dispatch_ptr 0
		.amdhsa_user_sgpr_queue_ptr 0
		.amdhsa_user_sgpr_kernarg_segment_ptr 1
		.amdhsa_user_sgpr_dispatch_id 0
		.amdhsa_user_sgpr_kernarg_preload_length 0
		.amdhsa_user_sgpr_kernarg_preload_offset 0
		.amdhsa_user_sgpr_private_segment_size 0
		.amdhsa_uses_dynamic_stack 0
		.amdhsa_enable_private_segment 0
		.amdhsa_system_sgpr_workgroup_id_x 1
		.amdhsa_system_sgpr_workgroup_id_y 0
		.amdhsa_system_sgpr_workgroup_id_z 0
		.amdhsa_system_sgpr_workgroup_info 0
		.amdhsa_system_vgpr_workitem_id 0
		.amdhsa_next_free_vgpr 1
		.amdhsa_next_free_sgpr 0
		.amdhsa_accum_offset 4
		.amdhsa_reserve_vcc 0
		.amdhsa_float_round_mode_32 0
		.amdhsa_float_round_mode_16_64 0
		.amdhsa_float_denorm_mode_32 3
		.amdhsa_float_denorm_mode_16_64 3
		.amdhsa_dx10_clamp 1
		.amdhsa_ieee_mode 1
		.amdhsa_fp16_overflow 0
		.amdhsa_tg_split 0
		.amdhsa_exception_fp_ieee_invalid_op 0
		.amdhsa_exception_fp_denorm_src 0
		.amdhsa_exception_fp_ieee_div_zero 0
		.amdhsa_exception_fp_ieee_overflow 0
		.amdhsa_exception_fp_ieee_underflow 0
		.amdhsa_exception_fp_ieee_inexact 0
		.amdhsa_exception_int_div_zero 0
	.end_amdhsa_kernel
	.section	.text._ZN7rocprim17ROCPRIM_400000_NS6detail17trampoline_kernelINS0_14default_configENS1_25partition_config_selectorILNS1_17partition_subalgoE5ElNS0_10empty_typeEbEEZZNS1_14partition_implILS5_5ELb0ES3_mN6hipcub16HIPCUB_304000_NS21CountingInputIteratorIllEEPS6_NSA_22TransformInputIteratorIb7NonZeroIsEPslEENS0_5tupleIJPlS6_EEENSJ_IJSD_SD_EEES6_SK_JS6_EEE10hipError_tPvRmT3_T4_T5_T6_T7_T9_mT8_P12ihipStream_tbDpT10_ENKUlT_T0_E_clISt17integral_constantIbLb1EES16_EEDaS11_S12_EUlS11_E_NS1_11comp_targetILNS1_3genE8ELNS1_11target_archE1030ELNS1_3gpuE2ELNS1_3repE0EEENS1_30default_config_static_selectorELNS0_4arch9wavefront6targetE1EEEvT1_,"axG",@progbits,_ZN7rocprim17ROCPRIM_400000_NS6detail17trampoline_kernelINS0_14default_configENS1_25partition_config_selectorILNS1_17partition_subalgoE5ElNS0_10empty_typeEbEEZZNS1_14partition_implILS5_5ELb0ES3_mN6hipcub16HIPCUB_304000_NS21CountingInputIteratorIllEEPS6_NSA_22TransformInputIteratorIb7NonZeroIsEPslEENS0_5tupleIJPlS6_EEENSJ_IJSD_SD_EEES6_SK_JS6_EEE10hipError_tPvRmT3_T4_T5_T6_T7_T9_mT8_P12ihipStream_tbDpT10_ENKUlT_T0_E_clISt17integral_constantIbLb1EES16_EEDaS11_S12_EUlS11_E_NS1_11comp_targetILNS1_3genE8ELNS1_11target_archE1030ELNS1_3gpuE2ELNS1_3repE0EEENS1_30default_config_static_selectorELNS0_4arch9wavefront6targetE1EEEvT1_,comdat
.Lfunc_end132:
	.size	_ZN7rocprim17ROCPRIM_400000_NS6detail17trampoline_kernelINS0_14default_configENS1_25partition_config_selectorILNS1_17partition_subalgoE5ElNS0_10empty_typeEbEEZZNS1_14partition_implILS5_5ELb0ES3_mN6hipcub16HIPCUB_304000_NS21CountingInputIteratorIllEEPS6_NSA_22TransformInputIteratorIb7NonZeroIsEPslEENS0_5tupleIJPlS6_EEENSJ_IJSD_SD_EEES6_SK_JS6_EEE10hipError_tPvRmT3_T4_T5_T6_T7_T9_mT8_P12ihipStream_tbDpT10_ENKUlT_T0_E_clISt17integral_constantIbLb1EES16_EEDaS11_S12_EUlS11_E_NS1_11comp_targetILNS1_3genE8ELNS1_11target_archE1030ELNS1_3gpuE2ELNS1_3repE0EEENS1_30default_config_static_selectorELNS0_4arch9wavefront6targetE1EEEvT1_, .Lfunc_end132-_ZN7rocprim17ROCPRIM_400000_NS6detail17trampoline_kernelINS0_14default_configENS1_25partition_config_selectorILNS1_17partition_subalgoE5ElNS0_10empty_typeEbEEZZNS1_14partition_implILS5_5ELb0ES3_mN6hipcub16HIPCUB_304000_NS21CountingInputIteratorIllEEPS6_NSA_22TransformInputIteratorIb7NonZeroIsEPslEENS0_5tupleIJPlS6_EEENSJ_IJSD_SD_EEES6_SK_JS6_EEE10hipError_tPvRmT3_T4_T5_T6_T7_T9_mT8_P12ihipStream_tbDpT10_ENKUlT_T0_E_clISt17integral_constantIbLb1EES16_EEDaS11_S12_EUlS11_E_NS1_11comp_targetILNS1_3genE8ELNS1_11target_archE1030ELNS1_3gpuE2ELNS1_3repE0EEENS1_30default_config_static_selectorELNS0_4arch9wavefront6targetE1EEEvT1_
                                        ; -- End function
	.set _ZN7rocprim17ROCPRIM_400000_NS6detail17trampoline_kernelINS0_14default_configENS1_25partition_config_selectorILNS1_17partition_subalgoE5ElNS0_10empty_typeEbEEZZNS1_14partition_implILS5_5ELb0ES3_mN6hipcub16HIPCUB_304000_NS21CountingInputIteratorIllEEPS6_NSA_22TransformInputIteratorIb7NonZeroIsEPslEENS0_5tupleIJPlS6_EEENSJ_IJSD_SD_EEES6_SK_JS6_EEE10hipError_tPvRmT3_T4_T5_T6_T7_T9_mT8_P12ihipStream_tbDpT10_ENKUlT_T0_E_clISt17integral_constantIbLb1EES16_EEDaS11_S12_EUlS11_E_NS1_11comp_targetILNS1_3genE8ELNS1_11target_archE1030ELNS1_3gpuE2ELNS1_3repE0EEENS1_30default_config_static_selectorELNS0_4arch9wavefront6targetE1EEEvT1_.num_vgpr, 0
	.set _ZN7rocprim17ROCPRIM_400000_NS6detail17trampoline_kernelINS0_14default_configENS1_25partition_config_selectorILNS1_17partition_subalgoE5ElNS0_10empty_typeEbEEZZNS1_14partition_implILS5_5ELb0ES3_mN6hipcub16HIPCUB_304000_NS21CountingInputIteratorIllEEPS6_NSA_22TransformInputIteratorIb7NonZeroIsEPslEENS0_5tupleIJPlS6_EEENSJ_IJSD_SD_EEES6_SK_JS6_EEE10hipError_tPvRmT3_T4_T5_T6_T7_T9_mT8_P12ihipStream_tbDpT10_ENKUlT_T0_E_clISt17integral_constantIbLb1EES16_EEDaS11_S12_EUlS11_E_NS1_11comp_targetILNS1_3genE8ELNS1_11target_archE1030ELNS1_3gpuE2ELNS1_3repE0EEENS1_30default_config_static_selectorELNS0_4arch9wavefront6targetE1EEEvT1_.num_agpr, 0
	.set _ZN7rocprim17ROCPRIM_400000_NS6detail17trampoline_kernelINS0_14default_configENS1_25partition_config_selectorILNS1_17partition_subalgoE5ElNS0_10empty_typeEbEEZZNS1_14partition_implILS5_5ELb0ES3_mN6hipcub16HIPCUB_304000_NS21CountingInputIteratorIllEEPS6_NSA_22TransformInputIteratorIb7NonZeroIsEPslEENS0_5tupleIJPlS6_EEENSJ_IJSD_SD_EEES6_SK_JS6_EEE10hipError_tPvRmT3_T4_T5_T6_T7_T9_mT8_P12ihipStream_tbDpT10_ENKUlT_T0_E_clISt17integral_constantIbLb1EES16_EEDaS11_S12_EUlS11_E_NS1_11comp_targetILNS1_3genE8ELNS1_11target_archE1030ELNS1_3gpuE2ELNS1_3repE0EEENS1_30default_config_static_selectorELNS0_4arch9wavefront6targetE1EEEvT1_.numbered_sgpr, 0
	.set _ZN7rocprim17ROCPRIM_400000_NS6detail17trampoline_kernelINS0_14default_configENS1_25partition_config_selectorILNS1_17partition_subalgoE5ElNS0_10empty_typeEbEEZZNS1_14partition_implILS5_5ELb0ES3_mN6hipcub16HIPCUB_304000_NS21CountingInputIteratorIllEEPS6_NSA_22TransformInputIteratorIb7NonZeroIsEPslEENS0_5tupleIJPlS6_EEENSJ_IJSD_SD_EEES6_SK_JS6_EEE10hipError_tPvRmT3_T4_T5_T6_T7_T9_mT8_P12ihipStream_tbDpT10_ENKUlT_T0_E_clISt17integral_constantIbLb1EES16_EEDaS11_S12_EUlS11_E_NS1_11comp_targetILNS1_3genE8ELNS1_11target_archE1030ELNS1_3gpuE2ELNS1_3repE0EEENS1_30default_config_static_selectorELNS0_4arch9wavefront6targetE1EEEvT1_.num_named_barrier, 0
	.set _ZN7rocprim17ROCPRIM_400000_NS6detail17trampoline_kernelINS0_14default_configENS1_25partition_config_selectorILNS1_17partition_subalgoE5ElNS0_10empty_typeEbEEZZNS1_14partition_implILS5_5ELb0ES3_mN6hipcub16HIPCUB_304000_NS21CountingInputIteratorIllEEPS6_NSA_22TransformInputIteratorIb7NonZeroIsEPslEENS0_5tupleIJPlS6_EEENSJ_IJSD_SD_EEES6_SK_JS6_EEE10hipError_tPvRmT3_T4_T5_T6_T7_T9_mT8_P12ihipStream_tbDpT10_ENKUlT_T0_E_clISt17integral_constantIbLb1EES16_EEDaS11_S12_EUlS11_E_NS1_11comp_targetILNS1_3genE8ELNS1_11target_archE1030ELNS1_3gpuE2ELNS1_3repE0EEENS1_30default_config_static_selectorELNS0_4arch9wavefront6targetE1EEEvT1_.private_seg_size, 0
	.set _ZN7rocprim17ROCPRIM_400000_NS6detail17trampoline_kernelINS0_14default_configENS1_25partition_config_selectorILNS1_17partition_subalgoE5ElNS0_10empty_typeEbEEZZNS1_14partition_implILS5_5ELb0ES3_mN6hipcub16HIPCUB_304000_NS21CountingInputIteratorIllEEPS6_NSA_22TransformInputIteratorIb7NonZeroIsEPslEENS0_5tupleIJPlS6_EEENSJ_IJSD_SD_EEES6_SK_JS6_EEE10hipError_tPvRmT3_T4_T5_T6_T7_T9_mT8_P12ihipStream_tbDpT10_ENKUlT_T0_E_clISt17integral_constantIbLb1EES16_EEDaS11_S12_EUlS11_E_NS1_11comp_targetILNS1_3genE8ELNS1_11target_archE1030ELNS1_3gpuE2ELNS1_3repE0EEENS1_30default_config_static_selectorELNS0_4arch9wavefront6targetE1EEEvT1_.uses_vcc, 0
	.set _ZN7rocprim17ROCPRIM_400000_NS6detail17trampoline_kernelINS0_14default_configENS1_25partition_config_selectorILNS1_17partition_subalgoE5ElNS0_10empty_typeEbEEZZNS1_14partition_implILS5_5ELb0ES3_mN6hipcub16HIPCUB_304000_NS21CountingInputIteratorIllEEPS6_NSA_22TransformInputIteratorIb7NonZeroIsEPslEENS0_5tupleIJPlS6_EEENSJ_IJSD_SD_EEES6_SK_JS6_EEE10hipError_tPvRmT3_T4_T5_T6_T7_T9_mT8_P12ihipStream_tbDpT10_ENKUlT_T0_E_clISt17integral_constantIbLb1EES16_EEDaS11_S12_EUlS11_E_NS1_11comp_targetILNS1_3genE8ELNS1_11target_archE1030ELNS1_3gpuE2ELNS1_3repE0EEENS1_30default_config_static_selectorELNS0_4arch9wavefront6targetE1EEEvT1_.uses_flat_scratch, 0
	.set _ZN7rocprim17ROCPRIM_400000_NS6detail17trampoline_kernelINS0_14default_configENS1_25partition_config_selectorILNS1_17partition_subalgoE5ElNS0_10empty_typeEbEEZZNS1_14partition_implILS5_5ELb0ES3_mN6hipcub16HIPCUB_304000_NS21CountingInputIteratorIllEEPS6_NSA_22TransformInputIteratorIb7NonZeroIsEPslEENS0_5tupleIJPlS6_EEENSJ_IJSD_SD_EEES6_SK_JS6_EEE10hipError_tPvRmT3_T4_T5_T6_T7_T9_mT8_P12ihipStream_tbDpT10_ENKUlT_T0_E_clISt17integral_constantIbLb1EES16_EEDaS11_S12_EUlS11_E_NS1_11comp_targetILNS1_3genE8ELNS1_11target_archE1030ELNS1_3gpuE2ELNS1_3repE0EEENS1_30default_config_static_selectorELNS0_4arch9wavefront6targetE1EEEvT1_.has_dyn_sized_stack, 0
	.set _ZN7rocprim17ROCPRIM_400000_NS6detail17trampoline_kernelINS0_14default_configENS1_25partition_config_selectorILNS1_17partition_subalgoE5ElNS0_10empty_typeEbEEZZNS1_14partition_implILS5_5ELb0ES3_mN6hipcub16HIPCUB_304000_NS21CountingInputIteratorIllEEPS6_NSA_22TransformInputIteratorIb7NonZeroIsEPslEENS0_5tupleIJPlS6_EEENSJ_IJSD_SD_EEES6_SK_JS6_EEE10hipError_tPvRmT3_T4_T5_T6_T7_T9_mT8_P12ihipStream_tbDpT10_ENKUlT_T0_E_clISt17integral_constantIbLb1EES16_EEDaS11_S12_EUlS11_E_NS1_11comp_targetILNS1_3genE8ELNS1_11target_archE1030ELNS1_3gpuE2ELNS1_3repE0EEENS1_30default_config_static_selectorELNS0_4arch9wavefront6targetE1EEEvT1_.has_recursion, 0
	.set _ZN7rocprim17ROCPRIM_400000_NS6detail17trampoline_kernelINS0_14default_configENS1_25partition_config_selectorILNS1_17partition_subalgoE5ElNS0_10empty_typeEbEEZZNS1_14partition_implILS5_5ELb0ES3_mN6hipcub16HIPCUB_304000_NS21CountingInputIteratorIllEEPS6_NSA_22TransformInputIteratorIb7NonZeroIsEPslEENS0_5tupleIJPlS6_EEENSJ_IJSD_SD_EEES6_SK_JS6_EEE10hipError_tPvRmT3_T4_T5_T6_T7_T9_mT8_P12ihipStream_tbDpT10_ENKUlT_T0_E_clISt17integral_constantIbLb1EES16_EEDaS11_S12_EUlS11_E_NS1_11comp_targetILNS1_3genE8ELNS1_11target_archE1030ELNS1_3gpuE2ELNS1_3repE0EEENS1_30default_config_static_selectorELNS0_4arch9wavefront6targetE1EEEvT1_.has_indirect_call, 0
	.section	.AMDGPU.csdata,"",@progbits
; Kernel info:
; codeLenInByte = 0
; TotalNumSgprs: 6
; NumVgprs: 0
; NumAgprs: 0
; TotalNumVgprs: 0
; ScratchSize: 0
; MemoryBound: 0
; FloatMode: 240
; IeeeMode: 1
; LDSByteSize: 0 bytes/workgroup (compile time only)
; SGPRBlocks: 0
; VGPRBlocks: 0
; NumSGPRsForWavesPerEU: 6
; NumVGPRsForWavesPerEU: 1
; AccumOffset: 4
; Occupancy: 8
; WaveLimiterHint : 0
; COMPUTE_PGM_RSRC2:SCRATCH_EN: 0
; COMPUTE_PGM_RSRC2:USER_SGPR: 2
; COMPUTE_PGM_RSRC2:TRAP_HANDLER: 0
; COMPUTE_PGM_RSRC2:TGID_X_EN: 1
; COMPUTE_PGM_RSRC2:TGID_Y_EN: 0
; COMPUTE_PGM_RSRC2:TGID_Z_EN: 0
; COMPUTE_PGM_RSRC2:TIDIG_COMP_CNT: 0
; COMPUTE_PGM_RSRC3_GFX90A:ACCUM_OFFSET: 0
; COMPUTE_PGM_RSRC3_GFX90A:TG_SPLIT: 0
	.section	.text._ZN7rocprim17ROCPRIM_400000_NS6detail17trampoline_kernelINS0_14default_configENS1_25partition_config_selectorILNS1_17partition_subalgoE5ElNS0_10empty_typeEbEEZZNS1_14partition_implILS5_5ELb0ES3_mN6hipcub16HIPCUB_304000_NS21CountingInputIteratorIllEEPS6_NSA_22TransformInputIteratorIb7NonZeroIsEPslEENS0_5tupleIJPlS6_EEENSJ_IJSD_SD_EEES6_SK_JS6_EEE10hipError_tPvRmT3_T4_T5_T6_T7_T9_mT8_P12ihipStream_tbDpT10_ENKUlT_T0_E_clISt17integral_constantIbLb1EES15_IbLb0EEEEDaS11_S12_EUlS11_E_NS1_11comp_targetILNS1_3genE0ELNS1_11target_archE4294967295ELNS1_3gpuE0ELNS1_3repE0EEENS1_30default_config_static_selectorELNS0_4arch9wavefront6targetE1EEEvT1_,"axG",@progbits,_ZN7rocprim17ROCPRIM_400000_NS6detail17trampoline_kernelINS0_14default_configENS1_25partition_config_selectorILNS1_17partition_subalgoE5ElNS0_10empty_typeEbEEZZNS1_14partition_implILS5_5ELb0ES3_mN6hipcub16HIPCUB_304000_NS21CountingInputIteratorIllEEPS6_NSA_22TransformInputIteratorIb7NonZeroIsEPslEENS0_5tupleIJPlS6_EEENSJ_IJSD_SD_EEES6_SK_JS6_EEE10hipError_tPvRmT3_T4_T5_T6_T7_T9_mT8_P12ihipStream_tbDpT10_ENKUlT_T0_E_clISt17integral_constantIbLb1EES15_IbLb0EEEEDaS11_S12_EUlS11_E_NS1_11comp_targetILNS1_3genE0ELNS1_11target_archE4294967295ELNS1_3gpuE0ELNS1_3repE0EEENS1_30default_config_static_selectorELNS0_4arch9wavefront6targetE1EEEvT1_,comdat
	.protected	_ZN7rocprim17ROCPRIM_400000_NS6detail17trampoline_kernelINS0_14default_configENS1_25partition_config_selectorILNS1_17partition_subalgoE5ElNS0_10empty_typeEbEEZZNS1_14partition_implILS5_5ELb0ES3_mN6hipcub16HIPCUB_304000_NS21CountingInputIteratorIllEEPS6_NSA_22TransformInputIteratorIb7NonZeroIsEPslEENS0_5tupleIJPlS6_EEENSJ_IJSD_SD_EEES6_SK_JS6_EEE10hipError_tPvRmT3_T4_T5_T6_T7_T9_mT8_P12ihipStream_tbDpT10_ENKUlT_T0_E_clISt17integral_constantIbLb1EES15_IbLb0EEEEDaS11_S12_EUlS11_E_NS1_11comp_targetILNS1_3genE0ELNS1_11target_archE4294967295ELNS1_3gpuE0ELNS1_3repE0EEENS1_30default_config_static_selectorELNS0_4arch9wavefront6targetE1EEEvT1_ ; -- Begin function _ZN7rocprim17ROCPRIM_400000_NS6detail17trampoline_kernelINS0_14default_configENS1_25partition_config_selectorILNS1_17partition_subalgoE5ElNS0_10empty_typeEbEEZZNS1_14partition_implILS5_5ELb0ES3_mN6hipcub16HIPCUB_304000_NS21CountingInputIteratorIllEEPS6_NSA_22TransformInputIteratorIb7NonZeroIsEPslEENS0_5tupleIJPlS6_EEENSJ_IJSD_SD_EEES6_SK_JS6_EEE10hipError_tPvRmT3_T4_T5_T6_T7_T9_mT8_P12ihipStream_tbDpT10_ENKUlT_T0_E_clISt17integral_constantIbLb1EES15_IbLb0EEEEDaS11_S12_EUlS11_E_NS1_11comp_targetILNS1_3genE0ELNS1_11target_archE4294967295ELNS1_3gpuE0ELNS1_3repE0EEENS1_30default_config_static_selectorELNS0_4arch9wavefront6targetE1EEEvT1_
	.globl	_ZN7rocprim17ROCPRIM_400000_NS6detail17trampoline_kernelINS0_14default_configENS1_25partition_config_selectorILNS1_17partition_subalgoE5ElNS0_10empty_typeEbEEZZNS1_14partition_implILS5_5ELb0ES3_mN6hipcub16HIPCUB_304000_NS21CountingInputIteratorIllEEPS6_NSA_22TransformInputIteratorIb7NonZeroIsEPslEENS0_5tupleIJPlS6_EEENSJ_IJSD_SD_EEES6_SK_JS6_EEE10hipError_tPvRmT3_T4_T5_T6_T7_T9_mT8_P12ihipStream_tbDpT10_ENKUlT_T0_E_clISt17integral_constantIbLb1EES15_IbLb0EEEEDaS11_S12_EUlS11_E_NS1_11comp_targetILNS1_3genE0ELNS1_11target_archE4294967295ELNS1_3gpuE0ELNS1_3repE0EEENS1_30default_config_static_selectorELNS0_4arch9wavefront6targetE1EEEvT1_
	.p2align	8
	.type	_ZN7rocprim17ROCPRIM_400000_NS6detail17trampoline_kernelINS0_14default_configENS1_25partition_config_selectorILNS1_17partition_subalgoE5ElNS0_10empty_typeEbEEZZNS1_14partition_implILS5_5ELb0ES3_mN6hipcub16HIPCUB_304000_NS21CountingInputIteratorIllEEPS6_NSA_22TransformInputIteratorIb7NonZeroIsEPslEENS0_5tupleIJPlS6_EEENSJ_IJSD_SD_EEES6_SK_JS6_EEE10hipError_tPvRmT3_T4_T5_T6_T7_T9_mT8_P12ihipStream_tbDpT10_ENKUlT_T0_E_clISt17integral_constantIbLb1EES15_IbLb0EEEEDaS11_S12_EUlS11_E_NS1_11comp_targetILNS1_3genE0ELNS1_11target_archE4294967295ELNS1_3gpuE0ELNS1_3repE0EEENS1_30default_config_static_selectorELNS0_4arch9wavefront6targetE1EEEvT1_,@function
_ZN7rocprim17ROCPRIM_400000_NS6detail17trampoline_kernelINS0_14default_configENS1_25partition_config_selectorILNS1_17partition_subalgoE5ElNS0_10empty_typeEbEEZZNS1_14partition_implILS5_5ELb0ES3_mN6hipcub16HIPCUB_304000_NS21CountingInputIteratorIllEEPS6_NSA_22TransformInputIteratorIb7NonZeroIsEPslEENS0_5tupleIJPlS6_EEENSJ_IJSD_SD_EEES6_SK_JS6_EEE10hipError_tPvRmT3_T4_T5_T6_T7_T9_mT8_P12ihipStream_tbDpT10_ENKUlT_T0_E_clISt17integral_constantIbLb1EES15_IbLb0EEEEDaS11_S12_EUlS11_E_NS1_11comp_targetILNS1_3genE0ELNS1_11target_archE4294967295ELNS1_3gpuE0ELNS1_3repE0EEENS1_30default_config_static_selectorELNS0_4arch9wavefront6targetE1EEEvT1_: ; @_ZN7rocprim17ROCPRIM_400000_NS6detail17trampoline_kernelINS0_14default_configENS1_25partition_config_selectorILNS1_17partition_subalgoE5ElNS0_10empty_typeEbEEZZNS1_14partition_implILS5_5ELb0ES3_mN6hipcub16HIPCUB_304000_NS21CountingInputIteratorIllEEPS6_NSA_22TransformInputIteratorIb7NonZeroIsEPslEENS0_5tupleIJPlS6_EEENSJ_IJSD_SD_EEES6_SK_JS6_EEE10hipError_tPvRmT3_T4_T5_T6_T7_T9_mT8_P12ihipStream_tbDpT10_ENKUlT_T0_E_clISt17integral_constantIbLb1EES15_IbLb0EEEEDaS11_S12_EUlS11_E_NS1_11comp_targetILNS1_3genE0ELNS1_11target_archE4294967295ELNS1_3gpuE0ELNS1_3repE0EEENS1_30default_config_static_selectorELNS0_4arch9wavefront6targetE1EEEvT1_
; %bb.0:
	s_endpgm
	.section	.rodata,"a",@progbits
	.p2align	6, 0x0
	.amdhsa_kernel _ZN7rocprim17ROCPRIM_400000_NS6detail17trampoline_kernelINS0_14default_configENS1_25partition_config_selectorILNS1_17partition_subalgoE5ElNS0_10empty_typeEbEEZZNS1_14partition_implILS5_5ELb0ES3_mN6hipcub16HIPCUB_304000_NS21CountingInputIteratorIllEEPS6_NSA_22TransformInputIteratorIb7NonZeroIsEPslEENS0_5tupleIJPlS6_EEENSJ_IJSD_SD_EEES6_SK_JS6_EEE10hipError_tPvRmT3_T4_T5_T6_T7_T9_mT8_P12ihipStream_tbDpT10_ENKUlT_T0_E_clISt17integral_constantIbLb1EES15_IbLb0EEEEDaS11_S12_EUlS11_E_NS1_11comp_targetILNS1_3genE0ELNS1_11target_archE4294967295ELNS1_3gpuE0ELNS1_3repE0EEENS1_30default_config_static_selectorELNS0_4arch9wavefront6targetE1EEEvT1_
		.amdhsa_group_segment_fixed_size 0
		.amdhsa_private_segment_fixed_size 0
		.amdhsa_kernarg_size 120
		.amdhsa_user_sgpr_count 2
		.amdhsa_user_sgpr_dispatch_ptr 0
		.amdhsa_user_sgpr_queue_ptr 0
		.amdhsa_user_sgpr_kernarg_segment_ptr 1
		.amdhsa_user_sgpr_dispatch_id 0
		.amdhsa_user_sgpr_kernarg_preload_length 0
		.amdhsa_user_sgpr_kernarg_preload_offset 0
		.amdhsa_user_sgpr_private_segment_size 0
		.amdhsa_uses_dynamic_stack 0
		.amdhsa_enable_private_segment 0
		.amdhsa_system_sgpr_workgroup_id_x 1
		.amdhsa_system_sgpr_workgroup_id_y 0
		.amdhsa_system_sgpr_workgroup_id_z 0
		.amdhsa_system_sgpr_workgroup_info 0
		.amdhsa_system_vgpr_workitem_id 0
		.amdhsa_next_free_vgpr 1
		.amdhsa_next_free_sgpr 0
		.amdhsa_accum_offset 4
		.amdhsa_reserve_vcc 0
		.amdhsa_float_round_mode_32 0
		.amdhsa_float_round_mode_16_64 0
		.amdhsa_float_denorm_mode_32 3
		.amdhsa_float_denorm_mode_16_64 3
		.amdhsa_dx10_clamp 1
		.amdhsa_ieee_mode 1
		.amdhsa_fp16_overflow 0
		.amdhsa_tg_split 0
		.amdhsa_exception_fp_ieee_invalid_op 0
		.amdhsa_exception_fp_denorm_src 0
		.amdhsa_exception_fp_ieee_div_zero 0
		.amdhsa_exception_fp_ieee_overflow 0
		.amdhsa_exception_fp_ieee_underflow 0
		.amdhsa_exception_fp_ieee_inexact 0
		.amdhsa_exception_int_div_zero 0
	.end_amdhsa_kernel
	.section	.text._ZN7rocprim17ROCPRIM_400000_NS6detail17trampoline_kernelINS0_14default_configENS1_25partition_config_selectorILNS1_17partition_subalgoE5ElNS0_10empty_typeEbEEZZNS1_14partition_implILS5_5ELb0ES3_mN6hipcub16HIPCUB_304000_NS21CountingInputIteratorIllEEPS6_NSA_22TransformInputIteratorIb7NonZeroIsEPslEENS0_5tupleIJPlS6_EEENSJ_IJSD_SD_EEES6_SK_JS6_EEE10hipError_tPvRmT3_T4_T5_T6_T7_T9_mT8_P12ihipStream_tbDpT10_ENKUlT_T0_E_clISt17integral_constantIbLb1EES15_IbLb0EEEEDaS11_S12_EUlS11_E_NS1_11comp_targetILNS1_3genE0ELNS1_11target_archE4294967295ELNS1_3gpuE0ELNS1_3repE0EEENS1_30default_config_static_selectorELNS0_4arch9wavefront6targetE1EEEvT1_,"axG",@progbits,_ZN7rocprim17ROCPRIM_400000_NS6detail17trampoline_kernelINS0_14default_configENS1_25partition_config_selectorILNS1_17partition_subalgoE5ElNS0_10empty_typeEbEEZZNS1_14partition_implILS5_5ELb0ES3_mN6hipcub16HIPCUB_304000_NS21CountingInputIteratorIllEEPS6_NSA_22TransformInputIteratorIb7NonZeroIsEPslEENS0_5tupleIJPlS6_EEENSJ_IJSD_SD_EEES6_SK_JS6_EEE10hipError_tPvRmT3_T4_T5_T6_T7_T9_mT8_P12ihipStream_tbDpT10_ENKUlT_T0_E_clISt17integral_constantIbLb1EES15_IbLb0EEEEDaS11_S12_EUlS11_E_NS1_11comp_targetILNS1_3genE0ELNS1_11target_archE4294967295ELNS1_3gpuE0ELNS1_3repE0EEENS1_30default_config_static_selectorELNS0_4arch9wavefront6targetE1EEEvT1_,comdat
.Lfunc_end133:
	.size	_ZN7rocprim17ROCPRIM_400000_NS6detail17trampoline_kernelINS0_14default_configENS1_25partition_config_selectorILNS1_17partition_subalgoE5ElNS0_10empty_typeEbEEZZNS1_14partition_implILS5_5ELb0ES3_mN6hipcub16HIPCUB_304000_NS21CountingInputIteratorIllEEPS6_NSA_22TransformInputIteratorIb7NonZeroIsEPslEENS0_5tupleIJPlS6_EEENSJ_IJSD_SD_EEES6_SK_JS6_EEE10hipError_tPvRmT3_T4_T5_T6_T7_T9_mT8_P12ihipStream_tbDpT10_ENKUlT_T0_E_clISt17integral_constantIbLb1EES15_IbLb0EEEEDaS11_S12_EUlS11_E_NS1_11comp_targetILNS1_3genE0ELNS1_11target_archE4294967295ELNS1_3gpuE0ELNS1_3repE0EEENS1_30default_config_static_selectorELNS0_4arch9wavefront6targetE1EEEvT1_, .Lfunc_end133-_ZN7rocprim17ROCPRIM_400000_NS6detail17trampoline_kernelINS0_14default_configENS1_25partition_config_selectorILNS1_17partition_subalgoE5ElNS0_10empty_typeEbEEZZNS1_14partition_implILS5_5ELb0ES3_mN6hipcub16HIPCUB_304000_NS21CountingInputIteratorIllEEPS6_NSA_22TransformInputIteratorIb7NonZeroIsEPslEENS0_5tupleIJPlS6_EEENSJ_IJSD_SD_EEES6_SK_JS6_EEE10hipError_tPvRmT3_T4_T5_T6_T7_T9_mT8_P12ihipStream_tbDpT10_ENKUlT_T0_E_clISt17integral_constantIbLb1EES15_IbLb0EEEEDaS11_S12_EUlS11_E_NS1_11comp_targetILNS1_3genE0ELNS1_11target_archE4294967295ELNS1_3gpuE0ELNS1_3repE0EEENS1_30default_config_static_selectorELNS0_4arch9wavefront6targetE1EEEvT1_
                                        ; -- End function
	.set _ZN7rocprim17ROCPRIM_400000_NS6detail17trampoline_kernelINS0_14default_configENS1_25partition_config_selectorILNS1_17partition_subalgoE5ElNS0_10empty_typeEbEEZZNS1_14partition_implILS5_5ELb0ES3_mN6hipcub16HIPCUB_304000_NS21CountingInputIteratorIllEEPS6_NSA_22TransformInputIteratorIb7NonZeroIsEPslEENS0_5tupleIJPlS6_EEENSJ_IJSD_SD_EEES6_SK_JS6_EEE10hipError_tPvRmT3_T4_T5_T6_T7_T9_mT8_P12ihipStream_tbDpT10_ENKUlT_T0_E_clISt17integral_constantIbLb1EES15_IbLb0EEEEDaS11_S12_EUlS11_E_NS1_11comp_targetILNS1_3genE0ELNS1_11target_archE4294967295ELNS1_3gpuE0ELNS1_3repE0EEENS1_30default_config_static_selectorELNS0_4arch9wavefront6targetE1EEEvT1_.num_vgpr, 0
	.set _ZN7rocprim17ROCPRIM_400000_NS6detail17trampoline_kernelINS0_14default_configENS1_25partition_config_selectorILNS1_17partition_subalgoE5ElNS0_10empty_typeEbEEZZNS1_14partition_implILS5_5ELb0ES3_mN6hipcub16HIPCUB_304000_NS21CountingInputIteratorIllEEPS6_NSA_22TransformInputIteratorIb7NonZeroIsEPslEENS0_5tupleIJPlS6_EEENSJ_IJSD_SD_EEES6_SK_JS6_EEE10hipError_tPvRmT3_T4_T5_T6_T7_T9_mT8_P12ihipStream_tbDpT10_ENKUlT_T0_E_clISt17integral_constantIbLb1EES15_IbLb0EEEEDaS11_S12_EUlS11_E_NS1_11comp_targetILNS1_3genE0ELNS1_11target_archE4294967295ELNS1_3gpuE0ELNS1_3repE0EEENS1_30default_config_static_selectorELNS0_4arch9wavefront6targetE1EEEvT1_.num_agpr, 0
	.set _ZN7rocprim17ROCPRIM_400000_NS6detail17trampoline_kernelINS0_14default_configENS1_25partition_config_selectorILNS1_17partition_subalgoE5ElNS0_10empty_typeEbEEZZNS1_14partition_implILS5_5ELb0ES3_mN6hipcub16HIPCUB_304000_NS21CountingInputIteratorIllEEPS6_NSA_22TransformInputIteratorIb7NonZeroIsEPslEENS0_5tupleIJPlS6_EEENSJ_IJSD_SD_EEES6_SK_JS6_EEE10hipError_tPvRmT3_T4_T5_T6_T7_T9_mT8_P12ihipStream_tbDpT10_ENKUlT_T0_E_clISt17integral_constantIbLb1EES15_IbLb0EEEEDaS11_S12_EUlS11_E_NS1_11comp_targetILNS1_3genE0ELNS1_11target_archE4294967295ELNS1_3gpuE0ELNS1_3repE0EEENS1_30default_config_static_selectorELNS0_4arch9wavefront6targetE1EEEvT1_.numbered_sgpr, 0
	.set _ZN7rocprim17ROCPRIM_400000_NS6detail17trampoline_kernelINS0_14default_configENS1_25partition_config_selectorILNS1_17partition_subalgoE5ElNS0_10empty_typeEbEEZZNS1_14partition_implILS5_5ELb0ES3_mN6hipcub16HIPCUB_304000_NS21CountingInputIteratorIllEEPS6_NSA_22TransformInputIteratorIb7NonZeroIsEPslEENS0_5tupleIJPlS6_EEENSJ_IJSD_SD_EEES6_SK_JS6_EEE10hipError_tPvRmT3_T4_T5_T6_T7_T9_mT8_P12ihipStream_tbDpT10_ENKUlT_T0_E_clISt17integral_constantIbLb1EES15_IbLb0EEEEDaS11_S12_EUlS11_E_NS1_11comp_targetILNS1_3genE0ELNS1_11target_archE4294967295ELNS1_3gpuE0ELNS1_3repE0EEENS1_30default_config_static_selectorELNS0_4arch9wavefront6targetE1EEEvT1_.num_named_barrier, 0
	.set _ZN7rocprim17ROCPRIM_400000_NS6detail17trampoline_kernelINS0_14default_configENS1_25partition_config_selectorILNS1_17partition_subalgoE5ElNS0_10empty_typeEbEEZZNS1_14partition_implILS5_5ELb0ES3_mN6hipcub16HIPCUB_304000_NS21CountingInputIteratorIllEEPS6_NSA_22TransformInputIteratorIb7NonZeroIsEPslEENS0_5tupleIJPlS6_EEENSJ_IJSD_SD_EEES6_SK_JS6_EEE10hipError_tPvRmT3_T4_T5_T6_T7_T9_mT8_P12ihipStream_tbDpT10_ENKUlT_T0_E_clISt17integral_constantIbLb1EES15_IbLb0EEEEDaS11_S12_EUlS11_E_NS1_11comp_targetILNS1_3genE0ELNS1_11target_archE4294967295ELNS1_3gpuE0ELNS1_3repE0EEENS1_30default_config_static_selectorELNS0_4arch9wavefront6targetE1EEEvT1_.private_seg_size, 0
	.set _ZN7rocprim17ROCPRIM_400000_NS6detail17trampoline_kernelINS0_14default_configENS1_25partition_config_selectorILNS1_17partition_subalgoE5ElNS0_10empty_typeEbEEZZNS1_14partition_implILS5_5ELb0ES3_mN6hipcub16HIPCUB_304000_NS21CountingInputIteratorIllEEPS6_NSA_22TransformInputIteratorIb7NonZeroIsEPslEENS0_5tupleIJPlS6_EEENSJ_IJSD_SD_EEES6_SK_JS6_EEE10hipError_tPvRmT3_T4_T5_T6_T7_T9_mT8_P12ihipStream_tbDpT10_ENKUlT_T0_E_clISt17integral_constantIbLb1EES15_IbLb0EEEEDaS11_S12_EUlS11_E_NS1_11comp_targetILNS1_3genE0ELNS1_11target_archE4294967295ELNS1_3gpuE0ELNS1_3repE0EEENS1_30default_config_static_selectorELNS0_4arch9wavefront6targetE1EEEvT1_.uses_vcc, 0
	.set _ZN7rocprim17ROCPRIM_400000_NS6detail17trampoline_kernelINS0_14default_configENS1_25partition_config_selectorILNS1_17partition_subalgoE5ElNS0_10empty_typeEbEEZZNS1_14partition_implILS5_5ELb0ES3_mN6hipcub16HIPCUB_304000_NS21CountingInputIteratorIllEEPS6_NSA_22TransformInputIteratorIb7NonZeroIsEPslEENS0_5tupleIJPlS6_EEENSJ_IJSD_SD_EEES6_SK_JS6_EEE10hipError_tPvRmT3_T4_T5_T6_T7_T9_mT8_P12ihipStream_tbDpT10_ENKUlT_T0_E_clISt17integral_constantIbLb1EES15_IbLb0EEEEDaS11_S12_EUlS11_E_NS1_11comp_targetILNS1_3genE0ELNS1_11target_archE4294967295ELNS1_3gpuE0ELNS1_3repE0EEENS1_30default_config_static_selectorELNS0_4arch9wavefront6targetE1EEEvT1_.uses_flat_scratch, 0
	.set _ZN7rocprim17ROCPRIM_400000_NS6detail17trampoline_kernelINS0_14default_configENS1_25partition_config_selectorILNS1_17partition_subalgoE5ElNS0_10empty_typeEbEEZZNS1_14partition_implILS5_5ELb0ES3_mN6hipcub16HIPCUB_304000_NS21CountingInputIteratorIllEEPS6_NSA_22TransformInputIteratorIb7NonZeroIsEPslEENS0_5tupleIJPlS6_EEENSJ_IJSD_SD_EEES6_SK_JS6_EEE10hipError_tPvRmT3_T4_T5_T6_T7_T9_mT8_P12ihipStream_tbDpT10_ENKUlT_T0_E_clISt17integral_constantIbLb1EES15_IbLb0EEEEDaS11_S12_EUlS11_E_NS1_11comp_targetILNS1_3genE0ELNS1_11target_archE4294967295ELNS1_3gpuE0ELNS1_3repE0EEENS1_30default_config_static_selectorELNS0_4arch9wavefront6targetE1EEEvT1_.has_dyn_sized_stack, 0
	.set _ZN7rocprim17ROCPRIM_400000_NS6detail17trampoline_kernelINS0_14default_configENS1_25partition_config_selectorILNS1_17partition_subalgoE5ElNS0_10empty_typeEbEEZZNS1_14partition_implILS5_5ELb0ES3_mN6hipcub16HIPCUB_304000_NS21CountingInputIteratorIllEEPS6_NSA_22TransformInputIteratorIb7NonZeroIsEPslEENS0_5tupleIJPlS6_EEENSJ_IJSD_SD_EEES6_SK_JS6_EEE10hipError_tPvRmT3_T4_T5_T6_T7_T9_mT8_P12ihipStream_tbDpT10_ENKUlT_T0_E_clISt17integral_constantIbLb1EES15_IbLb0EEEEDaS11_S12_EUlS11_E_NS1_11comp_targetILNS1_3genE0ELNS1_11target_archE4294967295ELNS1_3gpuE0ELNS1_3repE0EEENS1_30default_config_static_selectorELNS0_4arch9wavefront6targetE1EEEvT1_.has_recursion, 0
	.set _ZN7rocprim17ROCPRIM_400000_NS6detail17trampoline_kernelINS0_14default_configENS1_25partition_config_selectorILNS1_17partition_subalgoE5ElNS0_10empty_typeEbEEZZNS1_14partition_implILS5_5ELb0ES3_mN6hipcub16HIPCUB_304000_NS21CountingInputIteratorIllEEPS6_NSA_22TransformInputIteratorIb7NonZeroIsEPslEENS0_5tupleIJPlS6_EEENSJ_IJSD_SD_EEES6_SK_JS6_EEE10hipError_tPvRmT3_T4_T5_T6_T7_T9_mT8_P12ihipStream_tbDpT10_ENKUlT_T0_E_clISt17integral_constantIbLb1EES15_IbLb0EEEEDaS11_S12_EUlS11_E_NS1_11comp_targetILNS1_3genE0ELNS1_11target_archE4294967295ELNS1_3gpuE0ELNS1_3repE0EEENS1_30default_config_static_selectorELNS0_4arch9wavefront6targetE1EEEvT1_.has_indirect_call, 0
	.section	.AMDGPU.csdata,"",@progbits
; Kernel info:
; codeLenInByte = 4
; TotalNumSgprs: 6
; NumVgprs: 0
; NumAgprs: 0
; TotalNumVgprs: 0
; ScratchSize: 0
; MemoryBound: 0
; FloatMode: 240
; IeeeMode: 1
; LDSByteSize: 0 bytes/workgroup (compile time only)
; SGPRBlocks: 0
; VGPRBlocks: 0
; NumSGPRsForWavesPerEU: 6
; NumVGPRsForWavesPerEU: 1
; AccumOffset: 4
; Occupancy: 8
; WaveLimiterHint : 0
; COMPUTE_PGM_RSRC2:SCRATCH_EN: 0
; COMPUTE_PGM_RSRC2:USER_SGPR: 2
; COMPUTE_PGM_RSRC2:TRAP_HANDLER: 0
; COMPUTE_PGM_RSRC2:TGID_X_EN: 1
; COMPUTE_PGM_RSRC2:TGID_Y_EN: 0
; COMPUTE_PGM_RSRC2:TGID_Z_EN: 0
; COMPUTE_PGM_RSRC2:TIDIG_COMP_CNT: 0
; COMPUTE_PGM_RSRC3_GFX90A:ACCUM_OFFSET: 0
; COMPUTE_PGM_RSRC3_GFX90A:TG_SPLIT: 0
	.section	.text._ZN7rocprim17ROCPRIM_400000_NS6detail17trampoline_kernelINS0_14default_configENS1_25partition_config_selectorILNS1_17partition_subalgoE5ElNS0_10empty_typeEbEEZZNS1_14partition_implILS5_5ELb0ES3_mN6hipcub16HIPCUB_304000_NS21CountingInputIteratorIllEEPS6_NSA_22TransformInputIteratorIb7NonZeroIsEPslEENS0_5tupleIJPlS6_EEENSJ_IJSD_SD_EEES6_SK_JS6_EEE10hipError_tPvRmT3_T4_T5_T6_T7_T9_mT8_P12ihipStream_tbDpT10_ENKUlT_T0_E_clISt17integral_constantIbLb1EES15_IbLb0EEEEDaS11_S12_EUlS11_E_NS1_11comp_targetILNS1_3genE5ELNS1_11target_archE942ELNS1_3gpuE9ELNS1_3repE0EEENS1_30default_config_static_selectorELNS0_4arch9wavefront6targetE1EEEvT1_,"axG",@progbits,_ZN7rocprim17ROCPRIM_400000_NS6detail17trampoline_kernelINS0_14default_configENS1_25partition_config_selectorILNS1_17partition_subalgoE5ElNS0_10empty_typeEbEEZZNS1_14partition_implILS5_5ELb0ES3_mN6hipcub16HIPCUB_304000_NS21CountingInputIteratorIllEEPS6_NSA_22TransformInputIteratorIb7NonZeroIsEPslEENS0_5tupleIJPlS6_EEENSJ_IJSD_SD_EEES6_SK_JS6_EEE10hipError_tPvRmT3_T4_T5_T6_T7_T9_mT8_P12ihipStream_tbDpT10_ENKUlT_T0_E_clISt17integral_constantIbLb1EES15_IbLb0EEEEDaS11_S12_EUlS11_E_NS1_11comp_targetILNS1_3genE5ELNS1_11target_archE942ELNS1_3gpuE9ELNS1_3repE0EEENS1_30default_config_static_selectorELNS0_4arch9wavefront6targetE1EEEvT1_,comdat
	.protected	_ZN7rocprim17ROCPRIM_400000_NS6detail17trampoline_kernelINS0_14default_configENS1_25partition_config_selectorILNS1_17partition_subalgoE5ElNS0_10empty_typeEbEEZZNS1_14partition_implILS5_5ELb0ES3_mN6hipcub16HIPCUB_304000_NS21CountingInputIteratorIllEEPS6_NSA_22TransformInputIteratorIb7NonZeroIsEPslEENS0_5tupleIJPlS6_EEENSJ_IJSD_SD_EEES6_SK_JS6_EEE10hipError_tPvRmT3_T4_T5_T6_T7_T9_mT8_P12ihipStream_tbDpT10_ENKUlT_T0_E_clISt17integral_constantIbLb1EES15_IbLb0EEEEDaS11_S12_EUlS11_E_NS1_11comp_targetILNS1_3genE5ELNS1_11target_archE942ELNS1_3gpuE9ELNS1_3repE0EEENS1_30default_config_static_selectorELNS0_4arch9wavefront6targetE1EEEvT1_ ; -- Begin function _ZN7rocprim17ROCPRIM_400000_NS6detail17trampoline_kernelINS0_14default_configENS1_25partition_config_selectorILNS1_17partition_subalgoE5ElNS0_10empty_typeEbEEZZNS1_14partition_implILS5_5ELb0ES3_mN6hipcub16HIPCUB_304000_NS21CountingInputIteratorIllEEPS6_NSA_22TransformInputIteratorIb7NonZeroIsEPslEENS0_5tupleIJPlS6_EEENSJ_IJSD_SD_EEES6_SK_JS6_EEE10hipError_tPvRmT3_T4_T5_T6_T7_T9_mT8_P12ihipStream_tbDpT10_ENKUlT_T0_E_clISt17integral_constantIbLb1EES15_IbLb0EEEEDaS11_S12_EUlS11_E_NS1_11comp_targetILNS1_3genE5ELNS1_11target_archE942ELNS1_3gpuE9ELNS1_3repE0EEENS1_30default_config_static_selectorELNS0_4arch9wavefront6targetE1EEEvT1_
	.globl	_ZN7rocprim17ROCPRIM_400000_NS6detail17trampoline_kernelINS0_14default_configENS1_25partition_config_selectorILNS1_17partition_subalgoE5ElNS0_10empty_typeEbEEZZNS1_14partition_implILS5_5ELb0ES3_mN6hipcub16HIPCUB_304000_NS21CountingInputIteratorIllEEPS6_NSA_22TransformInputIteratorIb7NonZeroIsEPslEENS0_5tupleIJPlS6_EEENSJ_IJSD_SD_EEES6_SK_JS6_EEE10hipError_tPvRmT3_T4_T5_T6_T7_T9_mT8_P12ihipStream_tbDpT10_ENKUlT_T0_E_clISt17integral_constantIbLb1EES15_IbLb0EEEEDaS11_S12_EUlS11_E_NS1_11comp_targetILNS1_3genE5ELNS1_11target_archE942ELNS1_3gpuE9ELNS1_3repE0EEENS1_30default_config_static_selectorELNS0_4arch9wavefront6targetE1EEEvT1_
	.p2align	8
	.type	_ZN7rocprim17ROCPRIM_400000_NS6detail17trampoline_kernelINS0_14default_configENS1_25partition_config_selectorILNS1_17partition_subalgoE5ElNS0_10empty_typeEbEEZZNS1_14partition_implILS5_5ELb0ES3_mN6hipcub16HIPCUB_304000_NS21CountingInputIteratorIllEEPS6_NSA_22TransformInputIteratorIb7NonZeroIsEPslEENS0_5tupleIJPlS6_EEENSJ_IJSD_SD_EEES6_SK_JS6_EEE10hipError_tPvRmT3_T4_T5_T6_T7_T9_mT8_P12ihipStream_tbDpT10_ENKUlT_T0_E_clISt17integral_constantIbLb1EES15_IbLb0EEEEDaS11_S12_EUlS11_E_NS1_11comp_targetILNS1_3genE5ELNS1_11target_archE942ELNS1_3gpuE9ELNS1_3repE0EEENS1_30default_config_static_selectorELNS0_4arch9wavefront6targetE1EEEvT1_,@function
_ZN7rocprim17ROCPRIM_400000_NS6detail17trampoline_kernelINS0_14default_configENS1_25partition_config_selectorILNS1_17partition_subalgoE5ElNS0_10empty_typeEbEEZZNS1_14partition_implILS5_5ELb0ES3_mN6hipcub16HIPCUB_304000_NS21CountingInputIteratorIllEEPS6_NSA_22TransformInputIteratorIb7NonZeroIsEPslEENS0_5tupleIJPlS6_EEENSJ_IJSD_SD_EEES6_SK_JS6_EEE10hipError_tPvRmT3_T4_T5_T6_T7_T9_mT8_P12ihipStream_tbDpT10_ENKUlT_T0_E_clISt17integral_constantIbLb1EES15_IbLb0EEEEDaS11_S12_EUlS11_E_NS1_11comp_targetILNS1_3genE5ELNS1_11target_archE942ELNS1_3gpuE9ELNS1_3repE0EEENS1_30default_config_static_selectorELNS0_4arch9wavefront6targetE1EEEvT1_: ; @_ZN7rocprim17ROCPRIM_400000_NS6detail17trampoline_kernelINS0_14default_configENS1_25partition_config_selectorILNS1_17partition_subalgoE5ElNS0_10empty_typeEbEEZZNS1_14partition_implILS5_5ELb0ES3_mN6hipcub16HIPCUB_304000_NS21CountingInputIteratorIllEEPS6_NSA_22TransformInputIteratorIb7NonZeroIsEPslEENS0_5tupleIJPlS6_EEENSJ_IJSD_SD_EEES6_SK_JS6_EEE10hipError_tPvRmT3_T4_T5_T6_T7_T9_mT8_P12ihipStream_tbDpT10_ENKUlT_T0_E_clISt17integral_constantIbLb1EES15_IbLb0EEEEDaS11_S12_EUlS11_E_NS1_11comp_targetILNS1_3genE5ELNS1_11target_archE942ELNS1_3gpuE9ELNS1_3repE0EEENS1_30default_config_static_selectorELNS0_4arch9wavefront6targetE1EEEvT1_
; %bb.0:
	.section	.rodata,"a",@progbits
	.p2align	6, 0x0
	.amdhsa_kernel _ZN7rocprim17ROCPRIM_400000_NS6detail17trampoline_kernelINS0_14default_configENS1_25partition_config_selectorILNS1_17partition_subalgoE5ElNS0_10empty_typeEbEEZZNS1_14partition_implILS5_5ELb0ES3_mN6hipcub16HIPCUB_304000_NS21CountingInputIteratorIllEEPS6_NSA_22TransformInputIteratorIb7NonZeroIsEPslEENS0_5tupleIJPlS6_EEENSJ_IJSD_SD_EEES6_SK_JS6_EEE10hipError_tPvRmT3_T4_T5_T6_T7_T9_mT8_P12ihipStream_tbDpT10_ENKUlT_T0_E_clISt17integral_constantIbLb1EES15_IbLb0EEEEDaS11_S12_EUlS11_E_NS1_11comp_targetILNS1_3genE5ELNS1_11target_archE942ELNS1_3gpuE9ELNS1_3repE0EEENS1_30default_config_static_selectorELNS0_4arch9wavefront6targetE1EEEvT1_
		.amdhsa_group_segment_fixed_size 0
		.amdhsa_private_segment_fixed_size 0
		.amdhsa_kernarg_size 120
		.amdhsa_user_sgpr_count 2
		.amdhsa_user_sgpr_dispatch_ptr 0
		.amdhsa_user_sgpr_queue_ptr 0
		.amdhsa_user_sgpr_kernarg_segment_ptr 1
		.amdhsa_user_sgpr_dispatch_id 0
		.amdhsa_user_sgpr_kernarg_preload_length 0
		.amdhsa_user_sgpr_kernarg_preload_offset 0
		.amdhsa_user_sgpr_private_segment_size 0
		.amdhsa_uses_dynamic_stack 0
		.amdhsa_enable_private_segment 0
		.amdhsa_system_sgpr_workgroup_id_x 1
		.amdhsa_system_sgpr_workgroup_id_y 0
		.amdhsa_system_sgpr_workgroup_id_z 0
		.amdhsa_system_sgpr_workgroup_info 0
		.amdhsa_system_vgpr_workitem_id 0
		.amdhsa_next_free_vgpr 1
		.amdhsa_next_free_sgpr 0
		.amdhsa_accum_offset 4
		.amdhsa_reserve_vcc 0
		.amdhsa_float_round_mode_32 0
		.amdhsa_float_round_mode_16_64 0
		.amdhsa_float_denorm_mode_32 3
		.amdhsa_float_denorm_mode_16_64 3
		.amdhsa_dx10_clamp 1
		.amdhsa_ieee_mode 1
		.amdhsa_fp16_overflow 0
		.amdhsa_tg_split 0
		.amdhsa_exception_fp_ieee_invalid_op 0
		.amdhsa_exception_fp_denorm_src 0
		.amdhsa_exception_fp_ieee_div_zero 0
		.amdhsa_exception_fp_ieee_overflow 0
		.amdhsa_exception_fp_ieee_underflow 0
		.amdhsa_exception_fp_ieee_inexact 0
		.amdhsa_exception_int_div_zero 0
	.end_amdhsa_kernel
	.section	.text._ZN7rocprim17ROCPRIM_400000_NS6detail17trampoline_kernelINS0_14default_configENS1_25partition_config_selectorILNS1_17partition_subalgoE5ElNS0_10empty_typeEbEEZZNS1_14partition_implILS5_5ELb0ES3_mN6hipcub16HIPCUB_304000_NS21CountingInputIteratorIllEEPS6_NSA_22TransformInputIteratorIb7NonZeroIsEPslEENS0_5tupleIJPlS6_EEENSJ_IJSD_SD_EEES6_SK_JS6_EEE10hipError_tPvRmT3_T4_T5_T6_T7_T9_mT8_P12ihipStream_tbDpT10_ENKUlT_T0_E_clISt17integral_constantIbLb1EES15_IbLb0EEEEDaS11_S12_EUlS11_E_NS1_11comp_targetILNS1_3genE5ELNS1_11target_archE942ELNS1_3gpuE9ELNS1_3repE0EEENS1_30default_config_static_selectorELNS0_4arch9wavefront6targetE1EEEvT1_,"axG",@progbits,_ZN7rocprim17ROCPRIM_400000_NS6detail17trampoline_kernelINS0_14default_configENS1_25partition_config_selectorILNS1_17partition_subalgoE5ElNS0_10empty_typeEbEEZZNS1_14partition_implILS5_5ELb0ES3_mN6hipcub16HIPCUB_304000_NS21CountingInputIteratorIllEEPS6_NSA_22TransformInputIteratorIb7NonZeroIsEPslEENS0_5tupleIJPlS6_EEENSJ_IJSD_SD_EEES6_SK_JS6_EEE10hipError_tPvRmT3_T4_T5_T6_T7_T9_mT8_P12ihipStream_tbDpT10_ENKUlT_T0_E_clISt17integral_constantIbLb1EES15_IbLb0EEEEDaS11_S12_EUlS11_E_NS1_11comp_targetILNS1_3genE5ELNS1_11target_archE942ELNS1_3gpuE9ELNS1_3repE0EEENS1_30default_config_static_selectorELNS0_4arch9wavefront6targetE1EEEvT1_,comdat
.Lfunc_end134:
	.size	_ZN7rocprim17ROCPRIM_400000_NS6detail17trampoline_kernelINS0_14default_configENS1_25partition_config_selectorILNS1_17partition_subalgoE5ElNS0_10empty_typeEbEEZZNS1_14partition_implILS5_5ELb0ES3_mN6hipcub16HIPCUB_304000_NS21CountingInputIteratorIllEEPS6_NSA_22TransformInputIteratorIb7NonZeroIsEPslEENS0_5tupleIJPlS6_EEENSJ_IJSD_SD_EEES6_SK_JS6_EEE10hipError_tPvRmT3_T4_T5_T6_T7_T9_mT8_P12ihipStream_tbDpT10_ENKUlT_T0_E_clISt17integral_constantIbLb1EES15_IbLb0EEEEDaS11_S12_EUlS11_E_NS1_11comp_targetILNS1_3genE5ELNS1_11target_archE942ELNS1_3gpuE9ELNS1_3repE0EEENS1_30default_config_static_selectorELNS0_4arch9wavefront6targetE1EEEvT1_, .Lfunc_end134-_ZN7rocprim17ROCPRIM_400000_NS6detail17trampoline_kernelINS0_14default_configENS1_25partition_config_selectorILNS1_17partition_subalgoE5ElNS0_10empty_typeEbEEZZNS1_14partition_implILS5_5ELb0ES3_mN6hipcub16HIPCUB_304000_NS21CountingInputIteratorIllEEPS6_NSA_22TransformInputIteratorIb7NonZeroIsEPslEENS0_5tupleIJPlS6_EEENSJ_IJSD_SD_EEES6_SK_JS6_EEE10hipError_tPvRmT3_T4_T5_T6_T7_T9_mT8_P12ihipStream_tbDpT10_ENKUlT_T0_E_clISt17integral_constantIbLb1EES15_IbLb0EEEEDaS11_S12_EUlS11_E_NS1_11comp_targetILNS1_3genE5ELNS1_11target_archE942ELNS1_3gpuE9ELNS1_3repE0EEENS1_30default_config_static_selectorELNS0_4arch9wavefront6targetE1EEEvT1_
                                        ; -- End function
	.set _ZN7rocprim17ROCPRIM_400000_NS6detail17trampoline_kernelINS0_14default_configENS1_25partition_config_selectorILNS1_17partition_subalgoE5ElNS0_10empty_typeEbEEZZNS1_14partition_implILS5_5ELb0ES3_mN6hipcub16HIPCUB_304000_NS21CountingInputIteratorIllEEPS6_NSA_22TransformInputIteratorIb7NonZeroIsEPslEENS0_5tupleIJPlS6_EEENSJ_IJSD_SD_EEES6_SK_JS6_EEE10hipError_tPvRmT3_T4_T5_T6_T7_T9_mT8_P12ihipStream_tbDpT10_ENKUlT_T0_E_clISt17integral_constantIbLb1EES15_IbLb0EEEEDaS11_S12_EUlS11_E_NS1_11comp_targetILNS1_3genE5ELNS1_11target_archE942ELNS1_3gpuE9ELNS1_3repE0EEENS1_30default_config_static_selectorELNS0_4arch9wavefront6targetE1EEEvT1_.num_vgpr, 0
	.set _ZN7rocprim17ROCPRIM_400000_NS6detail17trampoline_kernelINS0_14default_configENS1_25partition_config_selectorILNS1_17partition_subalgoE5ElNS0_10empty_typeEbEEZZNS1_14partition_implILS5_5ELb0ES3_mN6hipcub16HIPCUB_304000_NS21CountingInputIteratorIllEEPS6_NSA_22TransformInputIteratorIb7NonZeroIsEPslEENS0_5tupleIJPlS6_EEENSJ_IJSD_SD_EEES6_SK_JS6_EEE10hipError_tPvRmT3_T4_T5_T6_T7_T9_mT8_P12ihipStream_tbDpT10_ENKUlT_T0_E_clISt17integral_constantIbLb1EES15_IbLb0EEEEDaS11_S12_EUlS11_E_NS1_11comp_targetILNS1_3genE5ELNS1_11target_archE942ELNS1_3gpuE9ELNS1_3repE0EEENS1_30default_config_static_selectorELNS0_4arch9wavefront6targetE1EEEvT1_.num_agpr, 0
	.set _ZN7rocprim17ROCPRIM_400000_NS6detail17trampoline_kernelINS0_14default_configENS1_25partition_config_selectorILNS1_17partition_subalgoE5ElNS0_10empty_typeEbEEZZNS1_14partition_implILS5_5ELb0ES3_mN6hipcub16HIPCUB_304000_NS21CountingInputIteratorIllEEPS6_NSA_22TransformInputIteratorIb7NonZeroIsEPslEENS0_5tupleIJPlS6_EEENSJ_IJSD_SD_EEES6_SK_JS6_EEE10hipError_tPvRmT3_T4_T5_T6_T7_T9_mT8_P12ihipStream_tbDpT10_ENKUlT_T0_E_clISt17integral_constantIbLb1EES15_IbLb0EEEEDaS11_S12_EUlS11_E_NS1_11comp_targetILNS1_3genE5ELNS1_11target_archE942ELNS1_3gpuE9ELNS1_3repE0EEENS1_30default_config_static_selectorELNS0_4arch9wavefront6targetE1EEEvT1_.numbered_sgpr, 0
	.set _ZN7rocprim17ROCPRIM_400000_NS6detail17trampoline_kernelINS0_14default_configENS1_25partition_config_selectorILNS1_17partition_subalgoE5ElNS0_10empty_typeEbEEZZNS1_14partition_implILS5_5ELb0ES3_mN6hipcub16HIPCUB_304000_NS21CountingInputIteratorIllEEPS6_NSA_22TransformInputIteratorIb7NonZeroIsEPslEENS0_5tupleIJPlS6_EEENSJ_IJSD_SD_EEES6_SK_JS6_EEE10hipError_tPvRmT3_T4_T5_T6_T7_T9_mT8_P12ihipStream_tbDpT10_ENKUlT_T0_E_clISt17integral_constantIbLb1EES15_IbLb0EEEEDaS11_S12_EUlS11_E_NS1_11comp_targetILNS1_3genE5ELNS1_11target_archE942ELNS1_3gpuE9ELNS1_3repE0EEENS1_30default_config_static_selectorELNS0_4arch9wavefront6targetE1EEEvT1_.num_named_barrier, 0
	.set _ZN7rocprim17ROCPRIM_400000_NS6detail17trampoline_kernelINS0_14default_configENS1_25partition_config_selectorILNS1_17partition_subalgoE5ElNS0_10empty_typeEbEEZZNS1_14partition_implILS5_5ELb0ES3_mN6hipcub16HIPCUB_304000_NS21CountingInputIteratorIllEEPS6_NSA_22TransformInputIteratorIb7NonZeroIsEPslEENS0_5tupleIJPlS6_EEENSJ_IJSD_SD_EEES6_SK_JS6_EEE10hipError_tPvRmT3_T4_T5_T6_T7_T9_mT8_P12ihipStream_tbDpT10_ENKUlT_T0_E_clISt17integral_constantIbLb1EES15_IbLb0EEEEDaS11_S12_EUlS11_E_NS1_11comp_targetILNS1_3genE5ELNS1_11target_archE942ELNS1_3gpuE9ELNS1_3repE0EEENS1_30default_config_static_selectorELNS0_4arch9wavefront6targetE1EEEvT1_.private_seg_size, 0
	.set _ZN7rocprim17ROCPRIM_400000_NS6detail17trampoline_kernelINS0_14default_configENS1_25partition_config_selectorILNS1_17partition_subalgoE5ElNS0_10empty_typeEbEEZZNS1_14partition_implILS5_5ELb0ES3_mN6hipcub16HIPCUB_304000_NS21CountingInputIteratorIllEEPS6_NSA_22TransformInputIteratorIb7NonZeroIsEPslEENS0_5tupleIJPlS6_EEENSJ_IJSD_SD_EEES6_SK_JS6_EEE10hipError_tPvRmT3_T4_T5_T6_T7_T9_mT8_P12ihipStream_tbDpT10_ENKUlT_T0_E_clISt17integral_constantIbLb1EES15_IbLb0EEEEDaS11_S12_EUlS11_E_NS1_11comp_targetILNS1_3genE5ELNS1_11target_archE942ELNS1_3gpuE9ELNS1_3repE0EEENS1_30default_config_static_selectorELNS0_4arch9wavefront6targetE1EEEvT1_.uses_vcc, 0
	.set _ZN7rocprim17ROCPRIM_400000_NS6detail17trampoline_kernelINS0_14default_configENS1_25partition_config_selectorILNS1_17partition_subalgoE5ElNS0_10empty_typeEbEEZZNS1_14partition_implILS5_5ELb0ES3_mN6hipcub16HIPCUB_304000_NS21CountingInputIteratorIllEEPS6_NSA_22TransformInputIteratorIb7NonZeroIsEPslEENS0_5tupleIJPlS6_EEENSJ_IJSD_SD_EEES6_SK_JS6_EEE10hipError_tPvRmT3_T4_T5_T6_T7_T9_mT8_P12ihipStream_tbDpT10_ENKUlT_T0_E_clISt17integral_constantIbLb1EES15_IbLb0EEEEDaS11_S12_EUlS11_E_NS1_11comp_targetILNS1_3genE5ELNS1_11target_archE942ELNS1_3gpuE9ELNS1_3repE0EEENS1_30default_config_static_selectorELNS0_4arch9wavefront6targetE1EEEvT1_.uses_flat_scratch, 0
	.set _ZN7rocprim17ROCPRIM_400000_NS6detail17trampoline_kernelINS0_14default_configENS1_25partition_config_selectorILNS1_17partition_subalgoE5ElNS0_10empty_typeEbEEZZNS1_14partition_implILS5_5ELb0ES3_mN6hipcub16HIPCUB_304000_NS21CountingInputIteratorIllEEPS6_NSA_22TransformInputIteratorIb7NonZeroIsEPslEENS0_5tupleIJPlS6_EEENSJ_IJSD_SD_EEES6_SK_JS6_EEE10hipError_tPvRmT3_T4_T5_T6_T7_T9_mT8_P12ihipStream_tbDpT10_ENKUlT_T0_E_clISt17integral_constantIbLb1EES15_IbLb0EEEEDaS11_S12_EUlS11_E_NS1_11comp_targetILNS1_3genE5ELNS1_11target_archE942ELNS1_3gpuE9ELNS1_3repE0EEENS1_30default_config_static_selectorELNS0_4arch9wavefront6targetE1EEEvT1_.has_dyn_sized_stack, 0
	.set _ZN7rocprim17ROCPRIM_400000_NS6detail17trampoline_kernelINS0_14default_configENS1_25partition_config_selectorILNS1_17partition_subalgoE5ElNS0_10empty_typeEbEEZZNS1_14partition_implILS5_5ELb0ES3_mN6hipcub16HIPCUB_304000_NS21CountingInputIteratorIllEEPS6_NSA_22TransformInputIteratorIb7NonZeroIsEPslEENS0_5tupleIJPlS6_EEENSJ_IJSD_SD_EEES6_SK_JS6_EEE10hipError_tPvRmT3_T4_T5_T6_T7_T9_mT8_P12ihipStream_tbDpT10_ENKUlT_T0_E_clISt17integral_constantIbLb1EES15_IbLb0EEEEDaS11_S12_EUlS11_E_NS1_11comp_targetILNS1_3genE5ELNS1_11target_archE942ELNS1_3gpuE9ELNS1_3repE0EEENS1_30default_config_static_selectorELNS0_4arch9wavefront6targetE1EEEvT1_.has_recursion, 0
	.set _ZN7rocprim17ROCPRIM_400000_NS6detail17trampoline_kernelINS0_14default_configENS1_25partition_config_selectorILNS1_17partition_subalgoE5ElNS0_10empty_typeEbEEZZNS1_14partition_implILS5_5ELb0ES3_mN6hipcub16HIPCUB_304000_NS21CountingInputIteratorIllEEPS6_NSA_22TransformInputIteratorIb7NonZeroIsEPslEENS0_5tupleIJPlS6_EEENSJ_IJSD_SD_EEES6_SK_JS6_EEE10hipError_tPvRmT3_T4_T5_T6_T7_T9_mT8_P12ihipStream_tbDpT10_ENKUlT_T0_E_clISt17integral_constantIbLb1EES15_IbLb0EEEEDaS11_S12_EUlS11_E_NS1_11comp_targetILNS1_3genE5ELNS1_11target_archE942ELNS1_3gpuE9ELNS1_3repE0EEENS1_30default_config_static_selectorELNS0_4arch9wavefront6targetE1EEEvT1_.has_indirect_call, 0
	.section	.AMDGPU.csdata,"",@progbits
; Kernel info:
; codeLenInByte = 0
; TotalNumSgprs: 6
; NumVgprs: 0
; NumAgprs: 0
; TotalNumVgprs: 0
; ScratchSize: 0
; MemoryBound: 0
; FloatMode: 240
; IeeeMode: 1
; LDSByteSize: 0 bytes/workgroup (compile time only)
; SGPRBlocks: 0
; VGPRBlocks: 0
; NumSGPRsForWavesPerEU: 6
; NumVGPRsForWavesPerEU: 1
; AccumOffset: 4
; Occupancy: 8
; WaveLimiterHint : 0
; COMPUTE_PGM_RSRC2:SCRATCH_EN: 0
; COMPUTE_PGM_RSRC2:USER_SGPR: 2
; COMPUTE_PGM_RSRC2:TRAP_HANDLER: 0
; COMPUTE_PGM_RSRC2:TGID_X_EN: 1
; COMPUTE_PGM_RSRC2:TGID_Y_EN: 0
; COMPUTE_PGM_RSRC2:TGID_Z_EN: 0
; COMPUTE_PGM_RSRC2:TIDIG_COMP_CNT: 0
; COMPUTE_PGM_RSRC3_GFX90A:ACCUM_OFFSET: 0
; COMPUTE_PGM_RSRC3_GFX90A:TG_SPLIT: 0
	.section	.text._ZN7rocprim17ROCPRIM_400000_NS6detail17trampoline_kernelINS0_14default_configENS1_25partition_config_selectorILNS1_17partition_subalgoE5ElNS0_10empty_typeEbEEZZNS1_14partition_implILS5_5ELb0ES3_mN6hipcub16HIPCUB_304000_NS21CountingInputIteratorIllEEPS6_NSA_22TransformInputIteratorIb7NonZeroIsEPslEENS0_5tupleIJPlS6_EEENSJ_IJSD_SD_EEES6_SK_JS6_EEE10hipError_tPvRmT3_T4_T5_T6_T7_T9_mT8_P12ihipStream_tbDpT10_ENKUlT_T0_E_clISt17integral_constantIbLb1EES15_IbLb0EEEEDaS11_S12_EUlS11_E_NS1_11comp_targetILNS1_3genE4ELNS1_11target_archE910ELNS1_3gpuE8ELNS1_3repE0EEENS1_30default_config_static_selectorELNS0_4arch9wavefront6targetE1EEEvT1_,"axG",@progbits,_ZN7rocprim17ROCPRIM_400000_NS6detail17trampoline_kernelINS0_14default_configENS1_25partition_config_selectorILNS1_17partition_subalgoE5ElNS0_10empty_typeEbEEZZNS1_14partition_implILS5_5ELb0ES3_mN6hipcub16HIPCUB_304000_NS21CountingInputIteratorIllEEPS6_NSA_22TransformInputIteratorIb7NonZeroIsEPslEENS0_5tupleIJPlS6_EEENSJ_IJSD_SD_EEES6_SK_JS6_EEE10hipError_tPvRmT3_T4_T5_T6_T7_T9_mT8_P12ihipStream_tbDpT10_ENKUlT_T0_E_clISt17integral_constantIbLb1EES15_IbLb0EEEEDaS11_S12_EUlS11_E_NS1_11comp_targetILNS1_3genE4ELNS1_11target_archE910ELNS1_3gpuE8ELNS1_3repE0EEENS1_30default_config_static_selectorELNS0_4arch9wavefront6targetE1EEEvT1_,comdat
	.protected	_ZN7rocprim17ROCPRIM_400000_NS6detail17trampoline_kernelINS0_14default_configENS1_25partition_config_selectorILNS1_17partition_subalgoE5ElNS0_10empty_typeEbEEZZNS1_14partition_implILS5_5ELb0ES3_mN6hipcub16HIPCUB_304000_NS21CountingInputIteratorIllEEPS6_NSA_22TransformInputIteratorIb7NonZeroIsEPslEENS0_5tupleIJPlS6_EEENSJ_IJSD_SD_EEES6_SK_JS6_EEE10hipError_tPvRmT3_T4_T5_T6_T7_T9_mT8_P12ihipStream_tbDpT10_ENKUlT_T0_E_clISt17integral_constantIbLb1EES15_IbLb0EEEEDaS11_S12_EUlS11_E_NS1_11comp_targetILNS1_3genE4ELNS1_11target_archE910ELNS1_3gpuE8ELNS1_3repE0EEENS1_30default_config_static_selectorELNS0_4arch9wavefront6targetE1EEEvT1_ ; -- Begin function _ZN7rocprim17ROCPRIM_400000_NS6detail17trampoline_kernelINS0_14default_configENS1_25partition_config_selectorILNS1_17partition_subalgoE5ElNS0_10empty_typeEbEEZZNS1_14partition_implILS5_5ELb0ES3_mN6hipcub16HIPCUB_304000_NS21CountingInputIteratorIllEEPS6_NSA_22TransformInputIteratorIb7NonZeroIsEPslEENS0_5tupleIJPlS6_EEENSJ_IJSD_SD_EEES6_SK_JS6_EEE10hipError_tPvRmT3_T4_T5_T6_T7_T9_mT8_P12ihipStream_tbDpT10_ENKUlT_T0_E_clISt17integral_constantIbLb1EES15_IbLb0EEEEDaS11_S12_EUlS11_E_NS1_11comp_targetILNS1_3genE4ELNS1_11target_archE910ELNS1_3gpuE8ELNS1_3repE0EEENS1_30default_config_static_selectorELNS0_4arch9wavefront6targetE1EEEvT1_
	.globl	_ZN7rocprim17ROCPRIM_400000_NS6detail17trampoline_kernelINS0_14default_configENS1_25partition_config_selectorILNS1_17partition_subalgoE5ElNS0_10empty_typeEbEEZZNS1_14partition_implILS5_5ELb0ES3_mN6hipcub16HIPCUB_304000_NS21CountingInputIteratorIllEEPS6_NSA_22TransformInputIteratorIb7NonZeroIsEPslEENS0_5tupleIJPlS6_EEENSJ_IJSD_SD_EEES6_SK_JS6_EEE10hipError_tPvRmT3_T4_T5_T6_T7_T9_mT8_P12ihipStream_tbDpT10_ENKUlT_T0_E_clISt17integral_constantIbLb1EES15_IbLb0EEEEDaS11_S12_EUlS11_E_NS1_11comp_targetILNS1_3genE4ELNS1_11target_archE910ELNS1_3gpuE8ELNS1_3repE0EEENS1_30default_config_static_selectorELNS0_4arch9wavefront6targetE1EEEvT1_
	.p2align	8
	.type	_ZN7rocprim17ROCPRIM_400000_NS6detail17trampoline_kernelINS0_14default_configENS1_25partition_config_selectorILNS1_17partition_subalgoE5ElNS0_10empty_typeEbEEZZNS1_14partition_implILS5_5ELb0ES3_mN6hipcub16HIPCUB_304000_NS21CountingInputIteratorIllEEPS6_NSA_22TransformInputIteratorIb7NonZeroIsEPslEENS0_5tupleIJPlS6_EEENSJ_IJSD_SD_EEES6_SK_JS6_EEE10hipError_tPvRmT3_T4_T5_T6_T7_T9_mT8_P12ihipStream_tbDpT10_ENKUlT_T0_E_clISt17integral_constantIbLb1EES15_IbLb0EEEEDaS11_S12_EUlS11_E_NS1_11comp_targetILNS1_3genE4ELNS1_11target_archE910ELNS1_3gpuE8ELNS1_3repE0EEENS1_30default_config_static_selectorELNS0_4arch9wavefront6targetE1EEEvT1_,@function
_ZN7rocprim17ROCPRIM_400000_NS6detail17trampoline_kernelINS0_14default_configENS1_25partition_config_selectorILNS1_17partition_subalgoE5ElNS0_10empty_typeEbEEZZNS1_14partition_implILS5_5ELb0ES3_mN6hipcub16HIPCUB_304000_NS21CountingInputIteratorIllEEPS6_NSA_22TransformInputIteratorIb7NonZeroIsEPslEENS0_5tupleIJPlS6_EEENSJ_IJSD_SD_EEES6_SK_JS6_EEE10hipError_tPvRmT3_T4_T5_T6_T7_T9_mT8_P12ihipStream_tbDpT10_ENKUlT_T0_E_clISt17integral_constantIbLb1EES15_IbLb0EEEEDaS11_S12_EUlS11_E_NS1_11comp_targetILNS1_3genE4ELNS1_11target_archE910ELNS1_3gpuE8ELNS1_3repE0EEENS1_30default_config_static_selectorELNS0_4arch9wavefront6targetE1EEEvT1_: ; @_ZN7rocprim17ROCPRIM_400000_NS6detail17trampoline_kernelINS0_14default_configENS1_25partition_config_selectorILNS1_17partition_subalgoE5ElNS0_10empty_typeEbEEZZNS1_14partition_implILS5_5ELb0ES3_mN6hipcub16HIPCUB_304000_NS21CountingInputIteratorIllEEPS6_NSA_22TransformInputIteratorIb7NonZeroIsEPslEENS0_5tupleIJPlS6_EEENSJ_IJSD_SD_EEES6_SK_JS6_EEE10hipError_tPvRmT3_T4_T5_T6_T7_T9_mT8_P12ihipStream_tbDpT10_ENKUlT_T0_E_clISt17integral_constantIbLb1EES15_IbLb0EEEEDaS11_S12_EUlS11_E_NS1_11comp_targetILNS1_3genE4ELNS1_11target_archE910ELNS1_3gpuE8ELNS1_3repE0EEENS1_30default_config_static_selectorELNS0_4arch9wavefront6targetE1EEEvT1_
; %bb.0:
	.section	.rodata,"a",@progbits
	.p2align	6, 0x0
	.amdhsa_kernel _ZN7rocprim17ROCPRIM_400000_NS6detail17trampoline_kernelINS0_14default_configENS1_25partition_config_selectorILNS1_17partition_subalgoE5ElNS0_10empty_typeEbEEZZNS1_14partition_implILS5_5ELb0ES3_mN6hipcub16HIPCUB_304000_NS21CountingInputIteratorIllEEPS6_NSA_22TransformInputIteratorIb7NonZeroIsEPslEENS0_5tupleIJPlS6_EEENSJ_IJSD_SD_EEES6_SK_JS6_EEE10hipError_tPvRmT3_T4_T5_T6_T7_T9_mT8_P12ihipStream_tbDpT10_ENKUlT_T0_E_clISt17integral_constantIbLb1EES15_IbLb0EEEEDaS11_S12_EUlS11_E_NS1_11comp_targetILNS1_3genE4ELNS1_11target_archE910ELNS1_3gpuE8ELNS1_3repE0EEENS1_30default_config_static_selectorELNS0_4arch9wavefront6targetE1EEEvT1_
		.amdhsa_group_segment_fixed_size 0
		.amdhsa_private_segment_fixed_size 0
		.amdhsa_kernarg_size 120
		.amdhsa_user_sgpr_count 2
		.amdhsa_user_sgpr_dispatch_ptr 0
		.amdhsa_user_sgpr_queue_ptr 0
		.amdhsa_user_sgpr_kernarg_segment_ptr 1
		.amdhsa_user_sgpr_dispatch_id 0
		.amdhsa_user_sgpr_kernarg_preload_length 0
		.amdhsa_user_sgpr_kernarg_preload_offset 0
		.amdhsa_user_sgpr_private_segment_size 0
		.amdhsa_uses_dynamic_stack 0
		.amdhsa_enable_private_segment 0
		.amdhsa_system_sgpr_workgroup_id_x 1
		.amdhsa_system_sgpr_workgroup_id_y 0
		.amdhsa_system_sgpr_workgroup_id_z 0
		.amdhsa_system_sgpr_workgroup_info 0
		.amdhsa_system_vgpr_workitem_id 0
		.amdhsa_next_free_vgpr 1
		.amdhsa_next_free_sgpr 0
		.amdhsa_accum_offset 4
		.amdhsa_reserve_vcc 0
		.amdhsa_float_round_mode_32 0
		.amdhsa_float_round_mode_16_64 0
		.amdhsa_float_denorm_mode_32 3
		.amdhsa_float_denorm_mode_16_64 3
		.amdhsa_dx10_clamp 1
		.amdhsa_ieee_mode 1
		.amdhsa_fp16_overflow 0
		.amdhsa_tg_split 0
		.amdhsa_exception_fp_ieee_invalid_op 0
		.amdhsa_exception_fp_denorm_src 0
		.amdhsa_exception_fp_ieee_div_zero 0
		.amdhsa_exception_fp_ieee_overflow 0
		.amdhsa_exception_fp_ieee_underflow 0
		.amdhsa_exception_fp_ieee_inexact 0
		.amdhsa_exception_int_div_zero 0
	.end_amdhsa_kernel
	.section	.text._ZN7rocprim17ROCPRIM_400000_NS6detail17trampoline_kernelINS0_14default_configENS1_25partition_config_selectorILNS1_17partition_subalgoE5ElNS0_10empty_typeEbEEZZNS1_14partition_implILS5_5ELb0ES3_mN6hipcub16HIPCUB_304000_NS21CountingInputIteratorIllEEPS6_NSA_22TransformInputIteratorIb7NonZeroIsEPslEENS0_5tupleIJPlS6_EEENSJ_IJSD_SD_EEES6_SK_JS6_EEE10hipError_tPvRmT3_T4_T5_T6_T7_T9_mT8_P12ihipStream_tbDpT10_ENKUlT_T0_E_clISt17integral_constantIbLb1EES15_IbLb0EEEEDaS11_S12_EUlS11_E_NS1_11comp_targetILNS1_3genE4ELNS1_11target_archE910ELNS1_3gpuE8ELNS1_3repE0EEENS1_30default_config_static_selectorELNS0_4arch9wavefront6targetE1EEEvT1_,"axG",@progbits,_ZN7rocprim17ROCPRIM_400000_NS6detail17trampoline_kernelINS0_14default_configENS1_25partition_config_selectorILNS1_17partition_subalgoE5ElNS0_10empty_typeEbEEZZNS1_14partition_implILS5_5ELb0ES3_mN6hipcub16HIPCUB_304000_NS21CountingInputIteratorIllEEPS6_NSA_22TransformInputIteratorIb7NonZeroIsEPslEENS0_5tupleIJPlS6_EEENSJ_IJSD_SD_EEES6_SK_JS6_EEE10hipError_tPvRmT3_T4_T5_T6_T7_T9_mT8_P12ihipStream_tbDpT10_ENKUlT_T0_E_clISt17integral_constantIbLb1EES15_IbLb0EEEEDaS11_S12_EUlS11_E_NS1_11comp_targetILNS1_3genE4ELNS1_11target_archE910ELNS1_3gpuE8ELNS1_3repE0EEENS1_30default_config_static_selectorELNS0_4arch9wavefront6targetE1EEEvT1_,comdat
.Lfunc_end135:
	.size	_ZN7rocprim17ROCPRIM_400000_NS6detail17trampoline_kernelINS0_14default_configENS1_25partition_config_selectorILNS1_17partition_subalgoE5ElNS0_10empty_typeEbEEZZNS1_14partition_implILS5_5ELb0ES3_mN6hipcub16HIPCUB_304000_NS21CountingInputIteratorIllEEPS6_NSA_22TransformInputIteratorIb7NonZeroIsEPslEENS0_5tupleIJPlS6_EEENSJ_IJSD_SD_EEES6_SK_JS6_EEE10hipError_tPvRmT3_T4_T5_T6_T7_T9_mT8_P12ihipStream_tbDpT10_ENKUlT_T0_E_clISt17integral_constantIbLb1EES15_IbLb0EEEEDaS11_S12_EUlS11_E_NS1_11comp_targetILNS1_3genE4ELNS1_11target_archE910ELNS1_3gpuE8ELNS1_3repE0EEENS1_30default_config_static_selectorELNS0_4arch9wavefront6targetE1EEEvT1_, .Lfunc_end135-_ZN7rocprim17ROCPRIM_400000_NS6detail17trampoline_kernelINS0_14default_configENS1_25partition_config_selectorILNS1_17partition_subalgoE5ElNS0_10empty_typeEbEEZZNS1_14partition_implILS5_5ELb0ES3_mN6hipcub16HIPCUB_304000_NS21CountingInputIteratorIllEEPS6_NSA_22TransformInputIteratorIb7NonZeroIsEPslEENS0_5tupleIJPlS6_EEENSJ_IJSD_SD_EEES6_SK_JS6_EEE10hipError_tPvRmT3_T4_T5_T6_T7_T9_mT8_P12ihipStream_tbDpT10_ENKUlT_T0_E_clISt17integral_constantIbLb1EES15_IbLb0EEEEDaS11_S12_EUlS11_E_NS1_11comp_targetILNS1_3genE4ELNS1_11target_archE910ELNS1_3gpuE8ELNS1_3repE0EEENS1_30default_config_static_selectorELNS0_4arch9wavefront6targetE1EEEvT1_
                                        ; -- End function
	.set _ZN7rocprim17ROCPRIM_400000_NS6detail17trampoline_kernelINS0_14default_configENS1_25partition_config_selectorILNS1_17partition_subalgoE5ElNS0_10empty_typeEbEEZZNS1_14partition_implILS5_5ELb0ES3_mN6hipcub16HIPCUB_304000_NS21CountingInputIteratorIllEEPS6_NSA_22TransformInputIteratorIb7NonZeroIsEPslEENS0_5tupleIJPlS6_EEENSJ_IJSD_SD_EEES6_SK_JS6_EEE10hipError_tPvRmT3_T4_T5_T6_T7_T9_mT8_P12ihipStream_tbDpT10_ENKUlT_T0_E_clISt17integral_constantIbLb1EES15_IbLb0EEEEDaS11_S12_EUlS11_E_NS1_11comp_targetILNS1_3genE4ELNS1_11target_archE910ELNS1_3gpuE8ELNS1_3repE0EEENS1_30default_config_static_selectorELNS0_4arch9wavefront6targetE1EEEvT1_.num_vgpr, 0
	.set _ZN7rocprim17ROCPRIM_400000_NS6detail17trampoline_kernelINS0_14default_configENS1_25partition_config_selectorILNS1_17partition_subalgoE5ElNS0_10empty_typeEbEEZZNS1_14partition_implILS5_5ELb0ES3_mN6hipcub16HIPCUB_304000_NS21CountingInputIteratorIllEEPS6_NSA_22TransformInputIteratorIb7NonZeroIsEPslEENS0_5tupleIJPlS6_EEENSJ_IJSD_SD_EEES6_SK_JS6_EEE10hipError_tPvRmT3_T4_T5_T6_T7_T9_mT8_P12ihipStream_tbDpT10_ENKUlT_T0_E_clISt17integral_constantIbLb1EES15_IbLb0EEEEDaS11_S12_EUlS11_E_NS1_11comp_targetILNS1_3genE4ELNS1_11target_archE910ELNS1_3gpuE8ELNS1_3repE0EEENS1_30default_config_static_selectorELNS0_4arch9wavefront6targetE1EEEvT1_.num_agpr, 0
	.set _ZN7rocprim17ROCPRIM_400000_NS6detail17trampoline_kernelINS0_14default_configENS1_25partition_config_selectorILNS1_17partition_subalgoE5ElNS0_10empty_typeEbEEZZNS1_14partition_implILS5_5ELb0ES3_mN6hipcub16HIPCUB_304000_NS21CountingInputIteratorIllEEPS6_NSA_22TransformInputIteratorIb7NonZeroIsEPslEENS0_5tupleIJPlS6_EEENSJ_IJSD_SD_EEES6_SK_JS6_EEE10hipError_tPvRmT3_T4_T5_T6_T7_T9_mT8_P12ihipStream_tbDpT10_ENKUlT_T0_E_clISt17integral_constantIbLb1EES15_IbLb0EEEEDaS11_S12_EUlS11_E_NS1_11comp_targetILNS1_3genE4ELNS1_11target_archE910ELNS1_3gpuE8ELNS1_3repE0EEENS1_30default_config_static_selectorELNS0_4arch9wavefront6targetE1EEEvT1_.numbered_sgpr, 0
	.set _ZN7rocprim17ROCPRIM_400000_NS6detail17trampoline_kernelINS0_14default_configENS1_25partition_config_selectorILNS1_17partition_subalgoE5ElNS0_10empty_typeEbEEZZNS1_14partition_implILS5_5ELb0ES3_mN6hipcub16HIPCUB_304000_NS21CountingInputIteratorIllEEPS6_NSA_22TransformInputIteratorIb7NonZeroIsEPslEENS0_5tupleIJPlS6_EEENSJ_IJSD_SD_EEES6_SK_JS6_EEE10hipError_tPvRmT3_T4_T5_T6_T7_T9_mT8_P12ihipStream_tbDpT10_ENKUlT_T0_E_clISt17integral_constantIbLb1EES15_IbLb0EEEEDaS11_S12_EUlS11_E_NS1_11comp_targetILNS1_3genE4ELNS1_11target_archE910ELNS1_3gpuE8ELNS1_3repE0EEENS1_30default_config_static_selectorELNS0_4arch9wavefront6targetE1EEEvT1_.num_named_barrier, 0
	.set _ZN7rocprim17ROCPRIM_400000_NS6detail17trampoline_kernelINS0_14default_configENS1_25partition_config_selectorILNS1_17partition_subalgoE5ElNS0_10empty_typeEbEEZZNS1_14partition_implILS5_5ELb0ES3_mN6hipcub16HIPCUB_304000_NS21CountingInputIteratorIllEEPS6_NSA_22TransformInputIteratorIb7NonZeroIsEPslEENS0_5tupleIJPlS6_EEENSJ_IJSD_SD_EEES6_SK_JS6_EEE10hipError_tPvRmT3_T4_T5_T6_T7_T9_mT8_P12ihipStream_tbDpT10_ENKUlT_T0_E_clISt17integral_constantIbLb1EES15_IbLb0EEEEDaS11_S12_EUlS11_E_NS1_11comp_targetILNS1_3genE4ELNS1_11target_archE910ELNS1_3gpuE8ELNS1_3repE0EEENS1_30default_config_static_selectorELNS0_4arch9wavefront6targetE1EEEvT1_.private_seg_size, 0
	.set _ZN7rocprim17ROCPRIM_400000_NS6detail17trampoline_kernelINS0_14default_configENS1_25partition_config_selectorILNS1_17partition_subalgoE5ElNS0_10empty_typeEbEEZZNS1_14partition_implILS5_5ELb0ES3_mN6hipcub16HIPCUB_304000_NS21CountingInputIteratorIllEEPS6_NSA_22TransformInputIteratorIb7NonZeroIsEPslEENS0_5tupleIJPlS6_EEENSJ_IJSD_SD_EEES6_SK_JS6_EEE10hipError_tPvRmT3_T4_T5_T6_T7_T9_mT8_P12ihipStream_tbDpT10_ENKUlT_T0_E_clISt17integral_constantIbLb1EES15_IbLb0EEEEDaS11_S12_EUlS11_E_NS1_11comp_targetILNS1_3genE4ELNS1_11target_archE910ELNS1_3gpuE8ELNS1_3repE0EEENS1_30default_config_static_selectorELNS0_4arch9wavefront6targetE1EEEvT1_.uses_vcc, 0
	.set _ZN7rocprim17ROCPRIM_400000_NS6detail17trampoline_kernelINS0_14default_configENS1_25partition_config_selectorILNS1_17partition_subalgoE5ElNS0_10empty_typeEbEEZZNS1_14partition_implILS5_5ELb0ES3_mN6hipcub16HIPCUB_304000_NS21CountingInputIteratorIllEEPS6_NSA_22TransformInputIteratorIb7NonZeroIsEPslEENS0_5tupleIJPlS6_EEENSJ_IJSD_SD_EEES6_SK_JS6_EEE10hipError_tPvRmT3_T4_T5_T6_T7_T9_mT8_P12ihipStream_tbDpT10_ENKUlT_T0_E_clISt17integral_constantIbLb1EES15_IbLb0EEEEDaS11_S12_EUlS11_E_NS1_11comp_targetILNS1_3genE4ELNS1_11target_archE910ELNS1_3gpuE8ELNS1_3repE0EEENS1_30default_config_static_selectorELNS0_4arch9wavefront6targetE1EEEvT1_.uses_flat_scratch, 0
	.set _ZN7rocprim17ROCPRIM_400000_NS6detail17trampoline_kernelINS0_14default_configENS1_25partition_config_selectorILNS1_17partition_subalgoE5ElNS0_10empty_typeEbEEZZNS1_14partition_implILS5_5ELb0ES3_mN6hipcub16HIPCUB_304000_NS21CountingInputIteratorIllEEPS6_NSA_22TransformInputIteratorIb7NonZeroIsEPslEENS0_5tupleIJPlS6_EEENSJ_IJSD_SD_EEES6_SK_JS6_EEE10hipError_tPvRmT3_T4_T5_T6_T7_T9_mT8_P12ihipStream_tbDpT10_ENKUlT_T0_E_clISt17integral_constantIbLb1EES15_IbLb0EEEEDaS11_S12_EUlS11_E_NS1_11comp_targetILNS1_3genE4ELNS1_11target_archE910ELNS1_3gpuE8ELNS1_3repE0EEENS1_30default_config_static_selectorELNS0_4arch9wavefront6targetE1EEEvT1_.has_dyn_sized_stack, 0
	.set _ZN7rocprim17ROCPRIM_400000_NS6detail17trampoline_kernelINS0_14default_configENS1_25partition_config_selectorILNS1_17partition_subalgoE5ElNS0_10empty_typeEbEEZZNS1_14partition_implILS5_5ELb0ES3_mN6hipcub16HIPCUB_304000_NS21CountingInputIteratorIllEEPS6_NSA_22TransformInputIteratorIb7NonZeroIsEPslEENS0_5tupleIJPlS6_EEENSJ_IJSD_SD_EEES6_SK_JS6_EEE10hipError_tPvRmT3_T4_T5_T6_T7_T9_mT8_P12ihipStream_tbDpT10_ENKUlT_T0_E_clISt17integral_constantIbLb1EES15_IbLb0EEEEDaS11_S12_EUlS11_E_NS1_11comp_targetILNS1_3genE4ELNS1_11target_archE910ELNS1_3gpuE8ELNS1_3repE0EEENS1_30default_config_static_selectorELNS0_4arch9wavefront6targetE1EEEvT1_.has_recursion, 0
	.set _ZN7rocprim17ROCPRIM_400000_NS6detail17trampoline_kernelINS0_14default_configENS1_25partition_config_selectorILNS1_17partition_subalgoE5ElNS0_10empty_typeEbEEZZNS1_14partition_implILS5_5ELb0ES3_mN6hipcub16HIPCUB_304000_NS21CountingInputIteratorIllEEPS6_NSA_22TransformInputIteratorIb7NonZeroIsEPslEENS0_5tupleIJPlS6_EEENSJ_IJSD_SD_EEES6_SK_JS6_EEE10hipError_tPvRmT3_T4_T5_T6_T7_T9_mT8_P12ihipStream_tbDpT10_ENKUlT_T0_E_clISt17integral_constantIbLb1EES15_IbLb0EEEEDaS11_S12_EUlS11_E_NS1_11comp_targetILNS1_3genE4ELNS1_11target_archE910ELNS1_3gpuE8ELNS1_3repE0EEENS1_30default_config_static_selectorELNS0_4arch9wavefront6targetE1EEEvT1_.has_indirect_call, 0
	.section	.AMDGPU.csdata,"",@progbits
; Kernel info:
; codeLenInByte = 0
; TotalNumSgprs: 6
; NumVgprs: 0
; NumAgprs: 0
; TotalNumVgprs: 0
; ScratchSize: 0
; MemoryBound: 0
; FloatMode: 240
; IeeeMode: 1
; LDSByteSize: 0 bytes/workgroup (compile time only)
; SGPRBlocks: 0
; VGPRBlocks: 0
; NumSGPRsForWavesPerEU: 6
; NumVGPRsForWavesPerEU: 1
; AccumOffset: 4
; Occupancy: 8
; WaveLimiterHint : 0
; COMPUTE_PGM_RSRC2:SCRATCH_EN: 0
; COMPUTE_PGM_RSRC2:USER_SGPR: 2
; COMPUTE_PGM_RSRC2:TRAP_HANDLER: 0
; COMPUTE_PGM_RSRC2:TGID_X_EN: 1
; COMPUTE_PGM_RSRC2:TGID_Y_EN: 0
; COMPUTE_PGM_RSRC2:TGID_Z_EN: 0
; COMPUTE_PGM_RSRC2:TIDIG_COMP_CNT: 0
; COMPUTE_PGM_RSRC3_GFX90A:ACCUM_OFFSET: 0
; COMPUTE_PGM_RSRC3_GFX90A:TG_SPLIT: 0
	.section	.text._ZN7rocprim17ROCPRIM_400000_NS6detail17trampoline_kernelINS0_14default_configENS1_25partition_config_selectorILNS1_17partition_subalgoE5ElNS0_10empty_typeEbEEZZNS1_14partition_implILS5_5ELb0ES3_mN6hipcub16HIPCUB_304000_NS21CountingInputIteratorIllEEPS6_NSA_22TransformInputIteratorIb7NonZeroIsEPslEENS0_5tupleIJPlS6_EEENSJ_IJSD_SD_EEES6_SK_JS6_EEE10hipError_tPvRmT3_T4_T5_T6_T7_T9_mT8_P12ihipStream_tbDpT10_ENKUlT_T0_E_clISt17integral_constantIbLb1EES15_IbLb0EEEEDaS11_S12_EUlS11_E_NS1_11comp_targetILNS1_3genE3ELNS1_11target_archE908ELNS1_3gpuE7ELNS1_3repE0EEENS1_30default_config_static_selectorELNS0_4arch9wavefront6targetE1EEEvT1_,"axG",@progbits,_ZN7rocprim17ROCPRIM_400000_NS6detail17trampoline_kernelINS0_14default_configENS1_25partition_config_selectorILNS1_17partition_subalgoE5ElNS0_10empty_typeEbEEZZNS1_14partition_implILS5_5ELb0ES3_mN6hipcub16HIPCUB_304000_NS21CountingInputIteratorIllEEPS6_NSA_22TransformInputIteratorIb7NonZeroIsEPslEENS0_5tupleIJPlS6_EEENSJ_IJSD_SD_EEES6_SK_JS6_EEE10hipError_tPvRmT3_T4_T5_T6_T7_T9_mT8_P12ihipStream_tbDpT10_ENKUlT_T0_E_clISt17integral_constantIbLb1EES15_IbLb0EEEEDaS11_S12_EUlS11_E_NS1_11comp_targetILNS1_3genE3ELNS1_11target_archE908ELNS1_3gpuE7ELNS1_3repE0EEENS1_30default_config_static_selectorELNS0_4arch9wavefront6targetE1EEEvT1_,comdat
	.protected	_ZN7rocprim17ROCPRIM_400000_NS6detail17trampoline_kernelINS0_14default_configENS1_25partition_config_selectorILNS1_17partition_subalgoE5ElNS0_10empty_typeEbEEZZNS1_14partition_implILS5_5ELb0ES3_mN6hipcub16HIPCUB_304000_NS21CountingInputIteratorIllEEPS6_NSA_22TransformInputIteratorIb7NonZeroIsEPslEENS0_5tupleIJPlS6_EEENSJ_IJSD_SD_EEES6_SK_JS6_EEE10hipError_tPvRmT3_T4_T5_T6_T7_T9_mT8_P12ihipStream_tbDpT10_ENKUlT_T0_E_clISt17integral_constantIbLb1EES15_IbLb0EEEEDaS11_S12_EUlS11_E_NS1_11comp_targetILNS1_3genE3ELNS1_11target_archE908ELNS1_3gpuE7ELNS1_3repE0EEENS1_30default_config_static_selectorELNS0_4arch9wavefront6targetE1EEEvT1_ ; -- Begin function _ZN7rocprim17ROCPRIM_400000_NS6detail17trampoline_kernelINS0_14default_configENS1_25partition_config_selectorILNS1_17partition_subalgoE5ElNS0_10empty_typeEbEEZZNS1_14partition_implILS5_5ELb0ES3_mN6hipcub16HIPCUB_304000_NS21CountingInputIteratorIllEEPS6_NSA_22TransformInputIteratorIb7NonZeroIsEPslEENS0_5tupleIJPlS6_EEENSJ_IJSD_SD_EEES6_SK_JS6_EEE10hipError_tPvRmT3_T4_T5_T6_T7_T9_mT8_P12ihipStream_tbDpT10_ENKUlT_T0_E_clISt17integral_constantIbLb1EES15_IbLb0EEEEDaS11_S12_EUlS11_E_NS1_11comp_targetILNS1_3genE3ELNS1_11target_archE908ELNS1_3gpuE7ELNS1_3repE0EEENS1_30default_config_static_selectorELNS0_4arch9wavefront6targetE1EEEvT1_
	.globl	_ZN7rocprim17ROCPRIM_400000_NS6detail17trampoline_kernelINS0_14default_configENS1_25partition_config_selectorILNS1_17partition_subalgoE5ElNS0_10empty_typeEbEEZZNS1_14partition_implILS5_5ELb0ES3_mN6hipcub16HIPCUB_304000_NS21CountingInputIteratorIllEEPS6_NSA_22TransformInputIteratorIb7NonZeroIsEPslEENS0_5tupleIJPlS6_EEENSJ_IJSD_SD_EEES6_SK_JS6_EEE10hipError_tPvRmT3_T4_T5_T6_T7_T9_mT8_P12ihipStream_tbDpT10_ENKUlT_T0_E_clISt17integral_constantIbLb1EES15_IbLb0EEEEDaS11_S12_EUlS11_E_NS1_11comp_targetILNS1_3genE3ELNS1_11target_archE908ELNS1_3gpuE7ELNS1_3repE0EEENS1_30default_config_static_selectorELNS0_4arch9wavefront6targetE1EEEvT1_
	.p2align	8
	.type	_ZN7rocprim17ROCPRIM_400000_NS6detail17trampoline_kernelINS0_14default_configENS1_25partition_config_selectorILNS1_17partition_subalgoE5ElNS0_10empty_typeEbEEZZNS1_14partition_implILS5_5ELb0ES3_mN6hipcub16HIPCUB_304000_NS21CountingInputIteratorIllEEPS6_NSA_22TransformInputIteratorIb7NonZeroIsEPslEENS0_5tupleIJPlS6_EEENSJ_IJSD_SD_EEES6_SK_JS6_EEE10hipError_tPvRmT3_T4_T5_T6_T7_T9_mT8_P12ihipStream_tbDpT10_ENKUlT_T0_E_clISt17integral_constantIbLb1EES15_IbLb0EEEEDaS11_S12_EUlS11_E_NS1_11comp_targetILNS1_3genE3ELNS1_11target_archE908ELNS1_3gpuE7ELNS1_3repE0EEENS1_30default_config_static_selectorELNS0_4arch9wavefront6targetE1EEEvT1_,@function
_ZN7rocprim17ROCPRIM_400000_NS6detail17trampoline_kernelINS0_14default_configENS1_25partition_config_selectorILNS1_17partition_subalgoE5ElNS0_10empty_typeEbEEZZNS1_14partition_implILS5_5ELb0ES3_mN6hipcub16HIPCUB_304000_NS21CountingInputIteratorIllEEPS6_NSA_22TransformInputIteratorIb7NonZeroIsEPslEENS0_5tupleIJPlS6_EEENSJ_IJSD_SD_EEES6_SK_JS6_EEE10hipError_tPvRmT3_T4_T5_T6_T7_T9_mT8_P12ihipStream_tbDpT10_ENKUlT_T0_E_clISt17integral_constantIbLb1EES15_IbLb0EEEEDaS11_S12_EUlS11_E_NS1_11comp_targetILNS1_3genE3ELNS1_11target_archE908ELNS1_3gpuE7ELNS1_3repE0EEENS1_30default_config_static_selectorELNS0_4arch9wavefront6targetE1EEEvT1_: ; @_ZN7rocprim17ROCPRIM_400000_NS6detail17trampoline_kernelINS0_14default_configENS1_25partition_config_selectorILNS1_17partition_subalgoE5ElNS0_10empty_typeEbEEZZNS1_14partition_implILS5_5ELb0ES3_mN6hipcub16HIPCUB_304000_NS21CountingInputIteratorIllEEPS6_NSA_22TransformInputIteratorIb7NonZeroIsEPslEENS0_5tupleIJPlS6_EEENSJ_IJSD_SD_EEES6_SK_JS6_EEE10hipError_tPvRmT3_T4_T5_T6_T7_T9_mT8_P12ihipStream_tbDpT10_ENKUlT_T0_E_clISt17integral_constantIbLb1EES15_IbLb0EEEEDaS11_S12_EUlS11_E_NS1_11comp_targetILNS1_3genE3ELNS1_11target_archE908ELNS1_3gpuE7ELNS1_3repE0EEENS1_30default_config_static_selectorELNS0_4arch9wavefront6targetE1EEEvT1_
; %bb.0:
	.section	.rodata,"a",@progbits
	.p2align	6, 0x0
	.amdhsa_kernel _ZN7rocprim17ROCPRIM_400000_NS6detail17trampoline_kernelINS0_14default_configENS1_25partition_config_selectorILNS1_17partition_subalgoE5ElNS0_10empty_typeEbEEZZNS1_14partition_implILS5_5ELb0ES3_mN6hipcub16HIPCUB_304000_NS21CountingInputIteratorIllEEPS6_NSA_22TransformInputIteratorIb7NonZeroIsEPslEENS0_5tupleIJPlS6_EEENSJ_IJSD_SD_EEES6_SK_JS6_EEE10hipError_tPvRmT3_T4_T5_T6_T7_T9_mT8_P12ihipStream_tbDpT10_ENKUlT_T0_E_clISt17integral_constantIbLb1EES15_IbLb0EEEEDaS11_S12_EUlS11_E_NS1_11comp_targetILNS1_3genE3ELNS1_11target_archE908ELNS1_3gpuE7ELNS1_3repE0EEENS1_30default_config_static_selectorELNS0_4arch9wavefront6targetE1EEEvT1_
		.amdhsa_group_segment_fixed_size 0
		.amdhsa_private_segment_fixed_size 0
		.amdhsa_kernarg_size 120
		.amdhsa_user_sgpr_count 2
		.amdhsa_user_sgpr_dispatch_ptr 0
		.amdhsa_user_sgpr_queue_ptr 0
		.amdhsa_user_sgpr_kernarg_segment_ptr 1
		.amdhsa_user_sgpr_dispatch_id 0
		.amdhsa_user_sgpr_kernarg_preload_length 0
		.amdhsa_user_sgpr_kernarg_preload_offset 0
		.amdhsa_user_sgpr_private_segment_size 0
		.amdhsa_uses_dynamic_stack 0
		.amdhsa_enable_private_segment 0
		.amdhsa_system_sgpr_workgroup_id_x 1
		.amdhsa_system_sgpr_workgroup_id_y 0
		.amdhsa_system_sgpr_workgroup_id_z 0
		.amdhsa_system_sgpr_workgroup_info 0
		.amdhsa_system_vgpr_workitem_id 0
		.amdhsa_next_free_vgpr 1
		.amdhsa_next_free_sgpr 0
		.amdhsa_accum_offset 4
		.amdhsa_reserve_vcc 0
		.amdhsa_float_round_mode_32 0
		.amdhsa_float_round_mode_16_64 0
		.amdhsa_float_denorm_mode_32 3
		.amdhsa_float_denorm_mode_16_64 3
		.amdhsa_dx10_clamp 1
		.amdhsa_ieee_mode 1
		.amdhsa_fp16_overflow 0
		.amdhsa_tg_split 0
		.amdhsa_exception_fp_ieee_invalid_op 0
		.amdhsa_exception_fp_denorm_src 0
		.amdhsa_exception_fp_ieee_div_zero 0
		.amdhsa_exception_fp_ieee_overflow 0
		.amdhsa_exception_fp_ieee_underflow 0
		.amdhsa_exception_fp_ieee_inexact 0
		.amdhsa_exception_int_div_zero 0
	.end_amdhsa_kernel
	.section	.text._ZN7rocprim17ROCPRIM_400000_NS6detail17trampoline_kernelINS0_14default_configENS1_25partition_config_selectorILNS1_17partition_subalgoE5ElNS0_10empty_typeEbEEZZNS1_14partition_implILS5_5ELb0ES3_mN6hipcub16HIPCUB_304000_NS21CountingInputIteratorIllEEPS6_NSA_22TransformInputIteratorIb7NonZeroIsEPslEENS0_5tupleIJPlS6_EEENSJ_IJSD_SD_EEES6_SK_JS6_EEE10hipError_tPvRmT3_T4_T5_T6_T7_T9_mT8_P12ihipStream_tbDpT10_ENKUlT_T0_E_clISt17integral_constantIbLb1EES15_IbLb0EEEEDaS11_S12_EUlS11_E_NS1_11comp_targetILNS1_3genE3ELNS1_11target_archE908ELNS1_3gpuE7ELNS1_3repE0EEENS1_30default_config_static_selectorELNS0_4arch9wavefront6targetE1EEEvT1_,"axG",@progbits,_ZN7rocprim17ROCPRIM_400000_NS6detail17trampoline_kernelINS0_14default_configENS1_25partition_config_selectorILNS1_17partition_subalgoE5ElNS0_10empty_typeEbEEZZNS1_14partition_implILS5_5ELb0ES3_mN6hipcub16HIPCUB_304000_NS21CountingInputIteratorIllEEPS6_NSA_22TransformInputIteratorIb7NonZeroIsEPslEENS0_5tupleIJPlS6_EEENSJ_IJSD_SD_EEES6_SK_JS6_EEE10hipError_tPvRmT3_T4_T5_T6_T7_T9_mT8_P12ihipStream_tbDpT10_ENKUlT_T0_E_clISt17integral_constantIbLb1EES15_IbLb0EEEEDaS11_S12_EUlS11_E_NS1_11comp_targetILNS1_3genE3ELNS1_11target_archE908ELNS1_3gpuE7ELNS1_3repE0EEENS1_30default_config_static_selectorELNS0_4arch9wavefront6targetE1EEEvT1_,comdat
.Lfunc_end136:
	.size	_ZN7rocprim17ROCPRIM_400000_NS6detail17trampoline_kernelINS0_14default_configENS1_25partition_config_selectorILNS1_17partition_subalgoE5ElNS0_10empty_typeEbEEZZNS1_14partition_implILS5_5ELb0ES3_mN6hipcub16HIPCUB_304000_NS21CountingInputIteratorIllEEPS6_NSA_22TransformInputIteratorIb7NonZeroIsEPslEENS0_5tupleIJPlS6_EEENSJ_IJSD_SD_EEES6_SK_JS6_EEE10hipError_tPvRmT3_T4_T5_T6_T7_T9_mT8_P12ihipStream_tbDpT10_ENKUlT_T0_E_clISt17integral_constantIbLb1EES15_IbLb0EEEEDaS11_S12_EUlS11_E_NS1_11comp_targetILNS1_3genE3ELNS1_11target_archE908ELNS1_3gpuE7ELNS1_3repE0EEENS1_30default_config_static_selectorELNS0_4arch9wavefront6targetE1EEEvT1_, .Lfunc_end136-_ZN7rocprim17ROCPRIM_400000_NS6detail17trampoline_kernelINS0_14default_configENS1_25partition_config_selectorILNS1_17partition_subalgoE5ElNS0_10empty_typeEbEEZZNS1_14partition_implILS5_5ELb0ES3_mN6hipcub16HIPCUB_304000_NS21CountingInputIteratorIllEEPS6_NSA_22TransformInputIteratorIb7NonZeroIsEPslEENS0_5tupleIJPlS6_EEENSJ_IJSD_SD_EEES6_SK_JS6_EEE10hipError_tPvRmT3_T4_T5_T6_T7_T9_mT8_P12ihipStream_tbDpT10_ENKUlT_T0_E_clISt17integral_constantIbLb1EES15_IbLb0EEEEDaS11_S12_EUlS11_E_NS1_11comp_targetILNS1_3genE3ELNS1_11target_archE908ELNS1_3gpuE7ELNS1_3repE0EEENS1_30default_config_static_selectorELNS0_4arch9wavefront6targetE1EEEvT1_
                                        ; -- End function
	.set _ZN7rocprim17ROCPRIM_400000_NS6detail17trampoline_kernelINS0_14default_configENS1_25partition_config_selectorILNS1_17partition_subalgoE5ElNS0_10empty_typeEbEEZZNS1_14partition_implILS5_5ELb0ES3_mN6hipcub16HIPCUB_304000_NS21CountingInputIteratorIllEEPS6_NSA_22TransformInputIteratorIb7NonZeroIsEPslEENS0_5tupleIJPlS6_EEENSJ_IJSD_SD_EEES6_SK_JS6_EEE10hipError_tPvRmT3_T4_T5_T6_T7_T9_mT8_P12ihipStream_tbDpT10_ENKUlT_T0_E_clISt17integral_constantIbLb1EES15_IbLb0EEEEDaS11_S12_EUlS11_E_NS1_11comp_targetILNS1_3genE3ELNS1_11target_archE908ELNS1_3gpuE7ELNS1_3repE0EEENS1_30default_config_static_selectorELNS0_4arch9wavefront6targetE1EEEvT1_.num_vgpr, 0
	.set _ZN7rocprim17ROCPRIM_400000_NS6detail17trampoline_kernelINS0_14default_configENS1_25partition_config_selectorILNS1_17partition_subalgoE5ElNS0_10empty_typeEbEEZZNS1_14partition_implILS5_5ELb0ES3_mN6hipcub16HIPCUB_304000_NS21CountingInputIteratorIllEEPS6_NSA_22TransformInputIteratorIb7NonZeroIsEPslEENS0_5tupleIJPlS6_EEENSJ_IJSD_SD_EEES6_SK_JS6_EEE10hipError_tPvRmT3_T4_T5_T6_T7_T9_mT8_P12ihipStream_tbDpT10_ENKUlT_T0_E_clISt17integral_constantIbLb1EES15_IbLb0EEEEDaS11_S12_EUlS11_E_NS1_11comp_targetILNS1_3genE3ELNS1_11target_archE908ELNS1_3gpuE7ELNS1_3repE0EEENS1_30default_config_static_selectorELNS0_4arch9wavefront6targetE1EEEvT1_.num_agpr, 0
	.set _ZN7rocprim17ROCPRIM_400000_NS6detail17trampoline_kernelINS0_14default_configENS1_25partition_config_selectorILNS1_17partition_subalgoE5ElNS0_10empty_typeEbEEZZNS1_14partition_implILS5_5ELb0ES3_mN6hipcub16HIPCUB_304000_NS21CountingInputIteratorIllEEPS6_NSA_22TransformInputIteratorIb7NonZeroIsEPslEENS0_5tupleIJPlS6_EEENSJ_IJSD_SD_EEES6_SK_JS6_EEE10hipError_tPvRmT3_T4_T5_T6_T7_T9_mT8_P12ihipStream_tbDpT10_ENKUlT_T0_E_clISt17integral_constantIbLb1EES15_IbLb0EEEEDaS11_S12_EUlS11_E_NS1_11comp_targetILNS1_3genE3ELNS1_11target_archE908ELNS1_3gpuE7ELNS1_3repE0EEENS1_30default_config_static_selectorELNS0_4arch9wavefront6targetE1EEEvT1_.numbered_sgpr, 0
	.set _ZN7rocprim17ROCPRIM_400000_NS6detail17trampoline_kernelINS0_14default_configENS1_25partition_config_selectorILNS1_17partition_subalgoE5ElNS0_10empty_typeEbEEZZNS1_14partition_implILS5_5ELb0ES3_mN6hipcub16HIPCUB_304000_NS21CountingInputIteratorIllEEPS6_NSA_22TransformInputIteratorIb7NonZeroIsEPslEENS0_5tupleIJPlS6_EEENSJ_IJSD_SD_EEES6_SK_JS6_EEE10hipError_tPvRmT3_T4_T5_T6_T7_T9_mT8_P12ihipStream_tbDpT10_ENKUlT_T0_E_clISt17integral_constantIbLb1EES15_IbLb0EEEEDaS11_S12_EUlS11_E_NS1_11comp_targetILNS1_3genE3ELNS1_11target_archE908ELNS1_3gpuE7ELNS1_3repE0EEENS1_30default_config_static_selectorELNS0_4arch9wavefront6targetE1EEEvT1_.num_named_barrier, 0
	.set _ZN7rocprim17ROCPRIM_400000_NS6detail17trampoline_kernelINS0_14default_configENS1_25partition_config_selectorILNS1_17partition_subalgoE5ElNS0_10empty_typeEbEEZZNS1_14partition_implILS5_5ELb0ES3_mN6hipcub16HIPCUB_304000_NS21CountingInputIteratorIllEEPS6_NSA_22TransformInputIteratorIb7NonZeroIsEPslEENS0_5tupleIJPlS6_EEENSJ_IJSD_SD_EEES6_SK_JS6_EEE10hipError_tPvRmT3_T4_T5_T6_T7_T9_mT8_P12ihipStream_tbDpT10_ENKUlT_T0_E_clISt17integral_constantIbLb1EES15_IbLb0EEEEDaS11_S12_EUlS11_E_NS1_11comp_targetILNS1_3genE3ELNS1_11target_archE908ELNS1_3gpuE7ELNS1_3repE0EEENS1_30default_config_static_selectorELNS0_4arch9wavefront6targetE1EEEvT1_.private_seg_size, 0
	.set _ZN7rocprim17ROCPRIM_400000_NS6detail17trampoline_kernelINS0_14default_configENS1_25partition_config_selectorILNS1_17partition_subalgoE5ElNS0_10empty_typeEbEEZZNS1_14partition_implILS5_5ELb0ES3_mN6hipcub16HIPCUB_304000_NS21CountingInputIteratorIllEEPS6_NSA_22TransformInputIteratorIb7NonZeroIsEPslEENS0_5tupleIJPlS6_EEENSJ_IJSD_SD_EEES6_SK_JS6_EEE10hipError_tPvRmT3_T4_T5_T6_T7_T9_mT8_P12ihipStream_tbDpT10_ENKUlT_T0_E_clISt17integral_constantIbLb1EES15_IbLb0EEEEDaS11_S12_EUlS11_E_NS1_11comp_targetILNS1_3genE3ELNS1_11target_archE908ELNS1_3gpuE7ELNS1_3repE0EEENS1_30default_config_static_selectorELNS0_4arch9wavefront6targetE1EEEvT1_.uses_vcc, 0
	.set _ZN7rocprim17ROCPRIM_400000_NS6detail17trampoline_kernelINS0_14default_configENS1_25partition_config_selectorILNS1_17partition_subalgoE5ElNS0_10empty_typeEbEEZZNS1_14partition_implILS5_5ELb0ES3_mN6hipcub16HIPCUB_304000_NS21CountingInputIteratorIllEEPS6_NSA_22TransformInputIteratorIb7NonZeroIsEPslEENS0_5tupleIJPlS6_EEENSJ_IJSD_SD_EEES6_SK_JS6_EEE10hipError_tPvRmT3_T4_T5_T6_T7_T9_mT8_P12ihipStream_tbDpT10_ENKUlT_T0_E_clISt17integral_constantIbLb1EES15_IbLb0EEEEDaS11_S12_EUlS11_E_NS1_11comp_targetILNS1_3genE3ELNS1_11target_archE908ELNS1_3gpuE7ELNS1_3repE0EEENS1_30default_config_static_selectorELNS0_4arch9wavefront6targetE1EEEvT1_.uses_flat_scratch, 0
	.set _ZN7rocprim17ROCPRIM_400000_NS6detail17trampoline_kernelINS0_14default_configENS1_25partition_config_selectorILNS1_17partition_subalgoE5ElNS0_10empty_typeEbEEZZNS1_14partition_implILS5_5ELb0ES3_mN6hipcub16HIPCUB_304000_NS21CountingInputIteratorIllEEPS6_NSA_22TransformInputIteratorIb7NonZeroIsEPslEENS0_5tupleIJPlS6_EEENSJ_IJSD_SD_EEES6_SK_JS6_EEE10hipError_tPvRmT3_T4_T5_T6_T7_T9_mT8_P12ihipStream_tbDpT10_ENKUlT_T0_E_clISt17integral_constantIbLb1EES15_IbLb0EEEEDaS11_S12_EUlS11_E_NS1_11comp_targetILNS1_3genE3ELNS1_11target_archE908ELNS1_3gpuE7ELNS1_3repE0EEENS1_30default_config_static_selectorELNS0_4arch9wavefront6targetE1EEEvT1_.has_dyn_sized_stack, 0
	.set _ZN7rocprim17ROCPRIM_400000_NS6detail17trampoline_kernelINS0_14default_configENS1_25partition_config_selectorILNS1_17partition_subalgoE5ElNS0_10empty_typeEbEEZZNS1_14partition_implILS5_5ELb0ES3_mN6hipcub16HIPCUB_304000_NS21CountingInputIteratorIllEEPS6_NSA_22TransformInputIteratorIb7NonZeroIsEPslEENS0_5tupleIJPlS6_EEENSJ_IJSD_SD_EEES6_SK_JS6_EEE10hipError_tPvRmT3_T4_T5_T6_T7_T9_mT8_P12ihipStream_tbDpT10_ENKUlT_T0_E_clISt17integral_constantIbLb1EES15_IbLb0EEEEDaS11_S12_EUlS11_E_NS1_11comp_targetILNS1_3genE3ELNS1_11target_archE908ELNS1_3gpuE7ELNS1_3repE0EEENS1_30default_config_static_selectorELNS0_4arch9wavefront6targetE1EEEvT1_.has_recursion, 0
	.set _ZN7rocprim17ROCPRIM_400000_NS6detail17trampoline_kernelINS0_14default_configENS1_25partition_config_selectorILNS1_17partition_subalgoE5ElNS0_10empty_typeEbEEZZNS1_14partition_implILS5_5ELb0ES3_mN6hipcub16HIPCUB_304000_NS21CountingInputIteratorIllEEPS6_NSA_22TransformInputIteratorIb7NonZeroIsEPslEENS0_5tupleIJPlS6_EEENSJ_IJSD_SD_EEES6_SK_JS6_EEE10hipError_tPvRmT3_T4_T5_T6_T7_T9_mT8_P12ihipStream_tbDpT10_ENKUlT_T0_E_clISt17integral_constantIbLb1EES15_IbLb0EEEEDaS11_S12_EUlS11_E_NS1_11comp_targetILNS1_3genE3ELNS1_11target_archE908ELNS1_3gpuE7ELNS1_3repE0EEENS1_30default_config_static_selectorELNS0_4arch9wavefront6targetE1EEEvT1_.has_indirect_call, 0
	.section	.AMDGPU.csdata,"",@progbits
; Kernel info:
; codeLenInByte = 0
; TotalNumSgprs: 6
; NumVgprs: 0
; NumAgprs: 0
; TotalNumVgprs: 0
; ScratchSize: 0
; MemoryBound: 0
; FloatMode: 240
; IeeeMode: 1
; LDSByteSize: 0 bytes/workgroup (compile time only)
; SGPRBlocks: 0
; VGPRBlocks: 0
; NumSGPRsForWavesPerEU: 6
; NumVGPRsForWavesPerEU: 1
; AccumOffset: 4
; Occupancy: 8
; WaveLimiterHint : 0
; COMPUTE_PGM_RSRC2:SCRATCH_EN: 0
; COMPUTE_PGM_RSRC2:USER_SGPR: 2
; COMPUTE_PGM_RSRC2:TRAP_HANDLER: 0
; COMPUTE_PGM_RSRC2:TGID_X_EN: 1
; COMPUTE_PGM_RSRC2:TGID_Y_EN: 0
; COMPUTE_PGM_RSRC2:TGID_Z_EN: 0
; COMPUTE_PGM_RSRC2:TIDIG_COMP_CNT: 0
; COMPUTE_PGM_RSRC3_GFX90A:ACCUM_OFFSET: 0
; COMPUTE_PGM_RSRC3_GFX90A:TG_SPLIT: 0
	.section	.text._ZN7rocprim17ROCPRIM_400000_NS6detail17trampoline_kernelINS0_14default_configENS1_25partition_config_selectorILNS1_17partition_subalgoE5ElNS0_10empty_typeEbEEZZNS1_14partition_implILS5_5ELb0ES3_mN6hipcub16HIPCUB_304000_NS21CountingInputIteratorIllEEPS6_NSA_22TransformInputIteratorIb7NonZeroIsEPslEENS0_5tupleIJPlS6_EEENSJ_IJSD_SD_EEES6_SK_JS6_EEE10hipError_tPvRmT3_T4_T5_T6_T7_T9_mT8_P12ihipStream_tbDpT10_ENKUlT_T0_E_clISt17integral_constantIbLb1EES15_IbLb0EEEEDaS11_S12_EUlS11_E_NS1_11comp_targetILNS1_3genE2ELNS1_11target_archE906ELNS1_3gpuE6ELNS1_3repE0EEENS1_30default_config_static_selectorELNS0_4arch9wavefront6targetE1EEEvT1_,"axG",@progbits,_ZN7rocprim17ROCPRIM_400000_NS6detail17trampoline_kernelINS0_14default_configENS1_25partition_config_selectorILNS1_17partition_subalgoE5ElNS0_10empty_typeEbEEZZNS1_14partition_implILS5_5ELb0ES3_mN6hipcub16HIPCUB_304000_NS21CountingInputIteratorIllEEPS6_NSA_22TransformInputIteratorIb7NonZeroIsEPslEENS0_5tupleIJPlS6_EEENSJ_IJSD_SD_EEES6_SK_JS6_EEE10hipError_tPvRmT3_T4_T5_T6_T7_T9_mT8_P12ihipStream_tbDpT10_ENKUlT_T0_E_clISt17integral_constantIbLb1EES15_IbLb0EEEEDaS11_S12_EUlS11_E_NS1_11comp_targetILNS1_3genE2ELNS1_11target_archE906ELNS1_3gpuE6ELNS1_3repE0EEENS1_30default_config_static_selectorELNS0_4arch9wavefront6targetE1EEEvT1_,comdat
	.protected	_ZN7rocprim17ROCPRIM_400000_NS6detail17trampoline_kernelINS0_14default_configENS1_25partition_config_selectorILNS1_17partition_subalgoE5ElNS0_10empty_typeEbEEZZNS1_14partition_implILS5_5ELb0ES3_mN6hipcub16HIPCUB_304000_NS21CountingInputIteratorIllEEPS6_NSA_22TransformInputIteratorIb7NonZeroIsEPslEENS0_5tupleIJPlS6_EEENSJ_IJSD_SD_EEES6_SK_JS6_EEE10hipError_tPvRmT3_T4_T5_T6_T7_T9_mT8_P12ihipStream_tbDpT10_ENKUlT_T0_E_clISt17integral_constantIbLb1EES15_IbLb0EEEEDaS11_S12_EUlS11_E_NS1_11comp_targetILNS1_3genE2ELNS1_11target_archE906ELNS1_3gpuE6ELNS1_3repE0EEENS1_30default_config_static_selectorELNS0_4arch9wavefront6targetE1EEEvT1_ ; -- Begin function _ZN7rocprim17ROCPRIM_400000_NS6detail17trampoline_kernelINS0_14default_configENS1_25partition_config_selectorILNS1_17partition_subalgoE5ElNS0_10empty_typeEbEEZZNS1_14partition_implILS5_5ELb0ES3_mN6hipcub16HIPCUB_304000_NS21CountingInputIteratorIllEEPS6_NSA_22TransformInputIteratorIb7NonZeroIsEPslEENS0_5tupleIJPlS6_EEENSJ_IJSD_SD_EEES6_SK_JS6_EEE10hipError_tPvRmT3_T4_T5_T6_T7_T9_mT8_P12ihipStream_tbDpT10_ENKUlT_T0_E_clISt17integral_constantIbLb1EES15_IbLb0EEEEDaS11_S12_EUlS11_E_NS1_11comp_targetILNS1_3genE2ELNS1_11target_archE906ELNS1_3gpuE6ELNS1_3repE0EEENS1_30default_config_static_selectorELNS0_4arch9wavefront6targetE1EEEvT1_
	.globl	_ZN7rocprim17ROCPRIM_400000_NS6detail17trampoline_kernelINS0_14default_configENS1_25partition_config_selectorILNS1_17partition_subalgoE5ElNS0_10empty_typeEbEEZZNS1_14partition_implILS5_5ELb0ES3_mN6hipcub16HIPCUB_304000_NS21CountingInputIteratorIllEEPS6_NSA_22TransformInputIteratorIb7NonZeroIsEPslEENS0_5tupleIJPlS6_EEENSJ_IJSD_SD_EEES6_SK_JS6_EEE10hipError_tPvRmT3_T4_T5_T6_T7_T9_mT8_P12ihipStream_tbDpT10_ENKUlT_T0_E_clISt17integral_constantIbLb1EES15_IbLb0EEEEDaS11_S12_EUlS11_E_NS1_11comp_targetILNS1_3genE2ELNS1_11target_archE906ELNS1_3gpuE6ELNS1_3repE0EEENS1_30default_config_static_selectorELNS0_4arch9wavefront6targetE1EEEvT1_
	.p2align	8
	.type	_ZN7rocprim17ROCPRIM_400000_NS6detail17trampoline_kernelINS0_14default_configENS1_25partition_config_selectorILNS1_17partition_subalgoE5ElNS0_10empty_typeEbEEZZNS1_14partition_implILS5_5ELb0ES3_mN6hipcub16HIPCUB_304000_NS21CountingInputIteratorIllEEPS6_NSA_22TransformInputIteratorIb7NonZeroIsEPslEENS0_5tupleIJPlS6_EEENSJ_IJSD_SD_EEES6_SK_JS6_EEE10hipError_tPvRmT3_T4_T5_T6_T7_T9_mT8_P12ihipStream_tbDpT10_ENKUlT_T0_E_clISt17integral_constantIbLb1EES15_IbLb0EEEEDaS11_S12_EUlS11_E_NS1_11comp_targetILNS1_3genE2ELNS1_11target_archE906ELNS1_3gpuE6ELNS1_3repE0EEENS1_30default_config_static_selectorELNS0_4arch9wavefront6targetE1EEEvT1_,@function
_ZN7rocprim17ROCPRIM_400000_NS6detail17trampoline_kernelINS0_14default_configENS1_25partition_config_selectorILNS1_17partition_subalgoE5ElNS0_10empty_typeEbEEZZNS1_14partition_implILS5_5ELb0ES3_mN6hipcub16HIPCUB_304000_NS21CountingInputIteratorIllEEPS6_NSA_22TransformInputIteratorIb7NonZeroIsEPslEENS0_5tupleIJPlS6_EEENSJ_IJSD_SD_EEES6_SK_JS6_EEE10hipError_tPvRmT3_T4_T5_T6_T7_T9_mT8_P12ihipStream_tbDpT10_ENKUlT_T0_E_clISt17integral_constantIbLb1EES15_IbLb0EEEEDaS11_S12_EUlS11_E_NS1_11comp_targetILNS1_3genE2ELNS1_11target_archE906ELNS1_3gpuE6ELNS1_3repE0EEENS1_30default_config_static_selectorELNS0_4arch9wavefront6targetE1EEEvT1_: ; @_ZN7rocprim17ROCPRIM_400000_NS6detail17trampoline_kernelINS0_14default_configENS1_25partition_config_selectorILNS1_17partition_subalgoE5ElNS0_10empty_typeEbEEZZNS1_14partition_implILS5_5ELb0ES3_mN6hipcub16HIPCUB_304000_NS21CountingInputIteratorIllEEPS6_NSA_22TransformInputIteratorIb7NonZeroIsEPslEENS0_5tupleIJPlS6_EEENSJ_IJSD_SD_EEES6_SK_JS6_EEE10hipError_tPvRmT3_T4_T5_T6_T7_T9_mT8_P12ihipStream_tbDpT10_ENKUlT_T0_E_clISt17integral_constantIbLb1EES15_IbLb0EEEEDaS11_S12_EUlS11_E_NS1_11comp_targetILNS1_3genE2ELNS1_11target_archE906ELNS1_3gpuE6ELNS1_3repE0EEENS1_30default_config_static_selectorELNS0_4arch9wavefront6targetE1EEEvT1_
; %bb.0:
	.section	.rodata,"a",@progbits
	.p2align	6, 0x0
	.amdhsa_kernel _ZN7rocprim17ROCPRIM_400000_NS6detail17trampoline_kernelINS0_14default_configENS1_25partition_config_selectorILNS1_17partition_subalgoE5ElNS0_10empty_typeEbEEZZNS1_14partition_implILS5_5ELb0ES3_mN6hipcub16HIPCUB_304000_NS21CountingInputIteratorIllEEPS6_NSA_22TransformInputIteratorIb7NonZeroIsEPslEENS0_5tupleIJPlS6_EEENSJ_IJSD_SD_EEES6_SK_JS6_EEE10hipError_tPvRmT3_T4_T5_T6_T7_T9_mT8_P12ihipStream_tbDpT10_ENKUlT_T0_E_clISt17integral_constantIbLb1EES15_IbLb0EEEEDaS11_S12_EUlS11_E_NS1_11comp_targetILNS1_3genE2ELNS1_11target_archE906ELNS1_3gpuE6ELNS1_3repE0EEENS1_30default_config_static_selectorELNS0_4arch9wavefront6targetE1EEEvT1_
		.amdhsa_group_segment_fixed_size 0
		.amdhsa_private_segment_fixed_size 0
		.amdhsa_kernarg_size 120
		.amdhsa_user_sgpr_count 2
		.amdhsa_user_sgpr_dispatch_ptr 0
		.amdhsa_user_sgpr_queue_ptr 0
		.amdhsa_user_sgpr_kernarg_segment_ptr 1
		.amdhsa_user_sgpr_dispatch_id 0
		.amdhsa_user_sgpr_kernarg_preload_length 0
		.amdhsa_user_sgpr_kernarg_preload_offset 0
		.amdhsa_user_sgpr_private_segment_size 0
		.amdhsa_uses_dynamic_stack 0
		.amdhsa_enable_private_segment 0
		.amdhsa_system_sgpr_workgroup_id_x 1
		.amdhsa_system_sgpr_workgroup_id_y 0
		.amdhsa_system_sgpr_workgroup_id_z 0
		.amdhsa_system_sgpr_workgroup_info 0
		.amdhsa_system_vgpr_workitem_id 0
		.amdhsa_next_free_vgpr 1
		.amdhsa_next_free_sgpr 0
		.amdhsa_accum_offset 4
		.amdhsa_reserve_vcc 0
		.amdhsa_float_round_mode_32 0
		.amdhsa_float_round_mode_16_64 0
		.amdhsa_float_denorm_mode_32 3
		.amdhsa_float_denorm_mode_16_64 3
		.amdhsa_dx10_clamp 1
		.amdhsa_ieee_mode 1
		.amdhsa_fp16_overflow 0
		.amdhsa_tg_split 0
		.amdhsa_exception_fp_ieee_invalid_op 0
		.amdhsa_exception_fp_denorm_src 0
		.amdhsa_exception_fp_ieee_div_zero 0
		.amdhsa_exception_fp_ieee_overflow 0
		.amdhsa_exception_fp_ieee_underflow 0
		.amdhsa_exception_fp_ieee_inexact 0
		.amdhsa_exception_int_div_zero 0
	.end_amdhsa_kernel
	.section	.text._ZN7rocprim17ROCPRIM_400000_NS6detail17trampoline_kernelINS0_14default_configENS1_25partition_config_selectorILNS1_17partition_subalgoE5ElNS0_10empty_typeEbEEZZNS1_14partition_implILS5_5ELb0ES3_mN6hipcub16HIPCUB_304000_NS21CountingInputIteratorIllEEPS6_NSA_22TransformInputIteratorIb7NonZeroIsEPslEENS0_5tupleIJPlS6_EEENSJ_IJSD_SD_EEES6_SK_JS6_EEE10hipError_tPvRmT3_T4_T5_T6_T7_T9_mT8_P12ihipStream_tbDpT10_ENKUlT_T0_E_clISt17integral_constantIbLb1EES15_IbLb0EEEEDaS11_S12_EUlS11_E_NS1_11comp_targetILNS1_3genE2ELNS1_11target_archE906ELNS1_3gpuE6ELNS1_3repE0EEENS1_30default_config_static_selectorELNS0_4arch9wavefront6targetE1EEEvT1_,"axG",@progbits,_ZN7rocprim17ROCPRIM_400000_NS6detail17trampoline_kernelINS0_14default_configENS1_25partition_config_selectorILNS1_17partition_subalgoE5ElNS0_10empty_typeEbEEZZNS1_14partition_implILS5_5ELb0ES3_mN6hipcub16HIPCUB_304000_NS21CountingInputIteratorIllEEPS6_NSA_22TransformInputIteratorIb7NonZeroIsEPslEENS0_5tupleIJPlS6_EEENSJ_IJSD_SD_EEES6_SK_JS6_EEE10hipError_tPvRmT3_T4_T5_T6_T7_T9_mT8_P12ihipStream_tbDpT10_ENKUlT_T0_E_clISt17integral_constantIbLb1EES15_IbLb0EEEEDaS11_S12_EUlS11_E_NS1_11comp_targetILNS1_3genE2ELNS1_11target_archE906ELNS1_3gpuE6ELNS1_3repE0EEENS1_30default_config_static_selectorELNS0_4arch9wavefront6targetE1EEEvT1_,comdat
.Lfunc_end137:
	.size	_ZN7rocprim17ROCPRIM_400000_NS6detail17trampoline_kernelINS0_14default_configENS1_25partition_config_selectorILNS1_17partition_subalgoE5ElNS0_10empty_typeEbEEZZNS1_14partition_implILS5_5ELb0ES3_mN6hipcub16HIPCUB_304000_NS21CountingInputIteratorIllEEPS6_NSA_22TransformInputIteratorIb7NonZeroIsEPslEENS0_5tupleIJPlS6_EEENSJ_IJSD_SD_EEES6_SK_JS6_EEE10hipError_tPvRmT3_T4_T5_T6_T7_T9_mT8_P12ihipStream_tbDpT10_ENKUlT_T0_E_clISt17integral_constantIbLb1EES15_IbLb0EEEEDaS11_S12_EUlS11_E_NS1_11comp_targetILNS1_3genE2ELNS1_11target_archE906ELNS1_3gpuE6ELNS1_3repE0EEENS1_30default_config_static_selectorELNS0_4arch9wavefront6targetE1EEEvT1_, .Lfunc_end137-_ZN7rocprim17ROCPRIM_400000_NS6detail17trampoline_kernelINS0_14default_configENS1_25partition_config_selectorILNS1_17partition_subalgoE5ElNS0_10empty_typeEbEEZZNS1_14partition_implILS5_5ELb0ES3_mN6hipcub16HIPCUB_304000_NS21CountingInputIteratorIllEEPS6_NSA_22TransformInputIteratorIb7NonZeroIsEPslEENS0_5tupleIJPlS6_EEENSJ_IJSD_SD_EEES6_SK_JS6_EEE10hipError_tPvRmT3_T4_T5_T6_T7_T9_mT8_P12ihipStream_tbDpT10_ENKUlT_T0_E_clISt17integral_constantIbLb1EES15_IbLb0EEEEDaS11_S12_EUlS11_E_NS1_11comp_targetILNS1_3genE2ELNS1_11target_archE906ELNS1_3gpuE6ELNS1_3repE0EEENS1_30default_config_static_selectorELNS0_4arch9wavefront6targetE1EEEvT1_
                                        ; -- End function
	.set _ZN7rocprim17ROCPRIM_400000_NS6detail17trampoline_kernelINS0_14default_configENS1_25partition_config_selectorILNS1_17partition_subalgoE5ElNS0_10empty_typeEbEEZZNS1_14partition_implILS5_5ELb0ES3_mN6hipcub16HIPCUB_304000_NS21CountingInputIteratorIllEEPS6_NSA_22TransformInputIteratorIb7NonZeroIsEPslEENS0_5tupleIJPlS6_EEENSJ_IJSD_SD_EEES6_SK_JS6_EEE10hipError_tPvRmT3_T4_T5_T6_T7_T9_mT8_P12ihipStream_tbDpT10_ENKUlT_T0_E_clISt17integral_constantIbLb1EES15_IbLb0EEEEDaS11_S12_EUlS11_E_NS1_11comp_targetILNS1_3genE2ELNS1_11target_archE906ELNS1_3gpuE6ELNS1_3repE0EEENS1_30default_config_static_selectorELNS0_4arch9wavefront6targetE1EEEvT1_.num_vgpr, 0
	.set _ZN7rocprim17ROCPRIM_400000_NS6detail17trampoline_kernelINS0_14default_configENS1_25partition_config_selectorILNS1_17partition_subalgoE5ElNS0_10empty_typeEbEEZZNS1_14partition_implILS5_5ELb0ES3_mN6hipcub16HIPCUB_304000_NS21CountingInputIteratorIllEEPS6_NSA_22TransformInputIteratorIb7NonZeroIsEPslEENS0_5tupleIJPlS6_EEENSJ_IJSD_SD_EEES6_SK_JS6_EEE10hipError_tPvRmT3_T4_T5_T6_T7_T9_mT8_P12ihipStream_tbDpT10_ENKUlT_T0_E_clISt17integral_constantIbLb1EES15_IbLb0EEEEDaS11_S12_EUlS11_E_NS1_11comp_targetILNS1_3genE2ELNS1_11target_archE906ELNS1_3gpuE6ELNS1_3repE0EEENS1_30default_config_static_selectorELNS0_4arch9wavefront6targetE1EEEvT1_.num_agpr, 0
	.set _ZN7rocprim17ROCPRIM_400000_NS6detail17trampoline_kernelINS0_14default_configENS1_25partition_config_selectorILNS1_17partition_subalgoE5ElNS0_10empty_typeEbEEZZNS1_14partition_implILS5_5ELb0ES3_mN6hipcub16HIPCUB_304000_NS21CountingInputIteratorIllEEPS6_NSA_22TransformInputIteratorIb7NonZeroIsEPslEENS0_5tupleIJPlS6_EEENSJ_IJSD_SD_EEES6_SK_JS6_EEE10hipError_tPvRmT3_T4_T5_T6_T7_T9_mT8_P12ihipStream_tbDpT10_ENKUlT_T0_E_clISt17integral_constantIbLb1EES15_IbLb0EEEEDaS11_S12_EUlS11_E_NS1_11comp_targetILNS1_3genE2ELNS1_11target_archE906ELNS1_3gpuE6ELNS1_3repE0EEENS1_30default_config_static_selectorELNS0_4arch9wavefront6targetE1EEEvT1_.numbered_sgpr, 0
	.set _ZN7rocprim17ROCPRIM_400000_NS6detail17trampoline_kernelINS0_14default_configENS1_25partition_config_selectorILNS1_17partition_subalgoE5ElNS0_10empty_typeEbEEZZNS1_14partition_implILS5_5ELb0ES3_mN6hipcub16HIPCUB_304000_NS21CountingInputIteratorIllEEPS6_NSA_22TransformInputIteratorIb7NonZeroIsEPslEENS0_5tupleIJPlS6_EEENSJ_IJSD_SD_EEES6_SK_JS6_EEE10hipError_tPvRmT3_T4_T5_T6_T7_T9_mT8_P12ihipStream_tbDpT10_ENKUlT_T0_E_clISt17integral_constantIbLb1EES15_IbLb0EEEEDaS11_S12_EUlS11_E_NS1_11comp_targetILNS1_3genE2ELNS1_11target_archE906ELNS1_3gpuE6ELNS1_3repE0EEENS1_30default_config_static_selectorELNS0_4arch9wavefront6targetE1EEEvT1_.num_named_barrier, 0
	.set _ZN7rocprim17ROCPRIM_400000_NS6detail17trampoline_kernelINS0_14default_configENS1_25partition_config_selectorILNS1_17partition_subalgoE5ElNS0_10empty_typeEbEEZZNS1_14partition_implILS5_5ELb0ES3_mN6hipcub16HIPCUB_304000_NS21CountingInputIteratorIllEEPS6_NSA_22TransformInputIteratorIb7NonZeroIsEPslEENS0_5tupleIJPlS6_EEENSJ_IJSD_SD_EEES6_SK_JS6_EEE10hipError_tPvRmT3_T4_T5_T6_T7_T9_mT8_P12ihipStream_tbDpT10_ENKUlT_T0_E_clISt17integral_constantIbLb1EES15_IbLb0EEEEDaS11_S12_EUlS11_E_NS1_11comp_targetILNS1_3genE2ELNS1_11target_archE906ELNS1_3gpuE6ELNS1_3repE0EEENS1_30default_config_static_selectorELNS0_4arch9wavefront6targetE1EEEvT1_.private_seg_size, 0
	.set _ZN7rocprim17ROCPRIM_400000_NS6detail17trampoline_kernelINS0_14default_configENS1_25partition_config_selectorILNS1_17partition_subalgoE5ElNS0_10empty_typeEbEEZZNS1_14partition_implILS5_5ELb0ES3_mN6hipcub16HIPCUB_304000_NS21CountingInputIteratorIllEEPS6_NSA_22TransformInputIteratorIb7NonZeroIsEPslEENS0_5tupleIJPlS6_EEENSJ_IJSD_SD_EEES6_SK_JS6_EEE10hipError_tPvRmT3_T4_T5_T6_T7_T9_mT8_P12ihipStream_tbDpT10_ENKUlT_T0_E_clISt17integral_constantIbLb1EES15_IbLb0EEEEDaS11_S12_EUlS11_E_NS1_11comp_targetILNS1_3genE2ELNS1_11target_archE906ELNS1_3gpuE6ELNS1_3repE0EEENS1_30default_config_static_selectorELNS0_4arch9wavefront6targetE1EEEvT1_.uses_vcc, 0
	.set _ZN7rocprim17ROCPRIM_400000_NS6detail17trampoline_kernelINS0_14default_configENS1_25partition_config_selectorILNS1_17partition_subalgoE5ElNS0_10empty_typeEbEEZZNS1_14partition_implILS5_5ELb0ES3_mN6hipcub16HIPCUB_304000_NS21CountingInputIteratorIllEEPS6_NSA_22TransformInputIteratorIb7NonZeroIsEPslEENS0_5tupleIJPlS6_EEENSJ_IJSD_SD_EEES6_SK_JS6_EEE10hipError_tPvRmT3_T4_T5_T6_T7_T9_mT8_P12ihipStream_tbDpT10_ENKUlT_T0_E_clISt17integral_constantIbLb1EES15_IbLb0EEEEDaS11_S12_EUlS11_E_NS1_11comp_targetILNS1_3genE2ELNS1_11target_archE906ELNS1_3gpuE6ELNS1_3repE0EEENS1_30default_config_static_selectorELNS0_4arch9wavefront6targetE1EEEvT1_.uses_flat_scratch, 0
	.set _ZN7rocprim17ROCPRIM_400000_NS6detail17trampoline_kernelINS0_14default_configENS1_25partition_config_selectorILNS1_17partition_subalgoE5ElNS0_10empty_typeEbEEZZNS1_14partition_implILS5_5ELb0ES3_mN6hipcub16HIPCUB_304000_NS21CountingInputIteratorIllEEPS6_NSA_22TransformInputIteratorIb7NonZeroIsEPslEENS0_5tupleIJPlS6_EEENSJ_IJSD_SD_EEES6_SK_JS6_EEE10hipError_tPvRmT3_T4_T5_T6_T7_T9_mT8_P12ihipStream_tbDpT10_ENKUlT_T0_E_clISt17integral_constantIbLb1EES15_IbLb0EEEEDaS11_S12_EUlS11_E_NS1_11comp_targetILNS1_3genE2ELNS1_11target_archE906ELNS1_3gpuE6ELNS1_3repE0EEENS1_30default_config_static_selectorELNS0_4arch9wavefront6targetE1EEEvT1_.has_dyn_sized_stack, 0
	.set _ZN7rocprim17ROCPRIM_400000_NS6detail17trampoline_kernelINS0_14default_configENS1_25partition_config_selectorILNS1_17partition_subalgoE5ElNS0_10empty_typeEbEEZZNS1_14partition_implILS5_5ELb0ES3_mN6hipcub16HIPCUB_304000_NS21CountingInputIteratorIllEEPS6_NSA_22TransformInputIteratorIb7NonZeroIsEPslEENS0_5tupleIJPlS6_EEENSJ_IJSD_SD_EEES6_SK_JS6_EEE10hipError_tPvRmT3_T4_T5_T6_T7_T9_mT8_P12ihipStream_tbDpT10_ENKUlT_T0_E_clISt17integral_constantIbLb1EES15_IbLb0EEEEDaS11_S12_EUlS11_E_NS1_11comp_targetILNS1_3genE2ELNS1_11target_archE906ELNS1_3gpuE6ELNS1_3repE0EEENS1_30default_config_static_selectorELNS0_4arch9wavefront6targetE1EEEvT1_.has_recursion, 0
	.set _ZN7rocprim17ROCPRIM_400000_NS6detail17trampoline_kernelINS0_14default_configENS1_25partition_config_selectorILNS1_17partition_subalgoE5ElNS0_10empty_typeEbEEZZNS1_14partition_implILS5_5ELb0ES3_mN6hipcub16HIPCUB_304000_NS21CountingInputIteratorIllEEPS6_NSA_22TransformInputIteratorIb7NonZeroIsEPslEENS0_5tupleIJPlS6_EEENSJ_IJSD_SD_EEES6_SK_JS6_EEE10hipError_tPvRmT3_T4_T5_T6_T7_T9_mT8_P12ihipStream_tbDpT10_ENKUlT_T0_E_clISt17integral_constantIbLb1EES15_IbLb0EEEEDaS11_S12_EUlS11_E_NS1_11comp_targetILNS1_3genE2ELNS1_11target_archE906ELNS1_3gpuE6ELNS1_3repE0EEENS1_30default_config_static_selectorELNS0_4arch9wavefront6targetE1EEEvT1_.has_indirect_call, 0
	.section	.AMDGPU.csdata,"",@progbits
; Kernel info:
; codeLenInByte = 0
; TotalNumSgprs: 6
; NumVgprs: 0
; NumAgprs: 0
; TotalNumVgprs: 0
; ScratchSize: 0
; MemoryBound: 0
; FloatMode: 240
; IeeeMode: 1
; LDSByteSize: 0 bytes/workgroup (compile time only)
; SGPRBlocks: 0
; VGPRBlocks: 0
; NumSGPRsForWavesPerEU: 6
; NumVGPRsForWavesPerEU: 1
; AccumOffset: 4
; Occupancy: 8
; WaveLimiterHint : 0
; COMPUTE_PGM_RSRC2:SCRATCH_EN: 0
; COMPUTE_PGM_RSRC2:USER_SGPR: 2
; COMPUTE_PGM_RSRC2:TRAP_HANDLER: 0
; COMPUTE_PGM_RSRC2:TGID_X_EN: 1
; COMPUTE_PGM_RSRC2:TGID_Y_EN: 0
; COMPUTE_PGM_RSRC2:TGID_Z_EN: 0
; COMPUTE_PGM_RSRC2:TIDIG_COMP_CNT: 0
; COMPUTE_PGM_RSRC3_GFX90A:ACCUM_OFFSET: 0
; COMPUTE_PGM_RSRC3_GFX90A:TG_SPLIT: 0
	.section	.text._ZN7rocprim17ROCPRIM_400000_NS6detail17trampoline_kernelINS0_14default_configENS1_25partition_config_selectorILNS1_17partition_subalgoE5ElNS0_10empty_typeEbEEZZNS1_14partition_implILS5_5ELb0ES3_mN6hipcub16HIPCUB_304000_NS21CountingInputIteratorIllEEPS6_NSA_22TransformInputIteratorIb7NonZeroIsEPslEENS0_5tupleIJPlS6_EEENSJ_IJSD_SD_EEES6_SK_JS6_EEE10hipError_tPvRmT3_T4_T5_T6_T7_T9_mT8_P12ihipStream_tbDpT10_ENKUlT_T0_E_clISt17integral_constantIbLb1EES15_IbLb0EEEEDaS11_S12_EUlS11_E_NS1_11comp_targetILNS1_3genE10ELNS1_11target_archE1200ELNS1_3gpuE4ELNS1_3repE0EEENS1_30default_config_static_selectorELNS0_4arch9wavefront6targetE1EEEvT1_,"axG",@progbits,_ZN7rocprim17ROCPRIM_400000_NS6detail17trampoline_kernelINS0_14default_configENS1_25partition_config_selectorILNS1_17partition_subalgoE5ElNS0_10empty_typeEbEEZZNS1_14partition_implILS5_5ELb0ES3_mN6hipcub16HIPCUB_304000_NS21CountingInputIteratorIllEEPS6_NSA_22TransformInputIteratorIb7NonZeroIsEPslEENS0_5tupleIJPlS6_EEENSJ_IJSD_SD_EEES6_SK_JS6_EEE10hipError_tPvRmT3_T4_T5_T6_T7_T9_mT8_P12ihipStream_tbDpT10_ENKUlT_T0_E_clISt17integral_constantIbLb1EES15_IbLb0EEEEDaS11_S12_EUlS11_E_NS1_11comp_targetILNS1_3genE10ELNS1_11target_archE1200ELNS1_3gpuE4ELNS1_3repE0EEENS1_30default_config_static_selectorELNS0_4arch9wavefront6targetE1EEEvT1_,comdat
	.protected	_ZN7rocprim17ROCPRIM_400000_NS6detail17trampoline_kernelINS0_14default_configENS1_25partition_config_selectorILNS1_17partition_subalgoE5ElNS0_10empty_typeEbEEZZNS1_14partition_implILS5_5ELb0ES3_mN6hipcub16HIPCUB_304000_NS21CountingInputIteratorIllEEPS6_NSA_22TransformInputIteratorIb7NonZeroIsEPslEENS0_5tupleIJPlS6_EEENSJ_IJSD_SD_EEES6_SK_JS6_EEE10hipError_tPvRmT3_T4_T5_T6_T7_T9_mT8_P12ihipStream_tbDpT10_ENKUlT_T0_E_clISt17integral_constantIbLb1EES15_IbLb0EEEEDaS11_S12_EUlS11_E_NS1_11comp_targetILNS1_3genE10ELNS1_11target_archE1200ELNS1_3gpuE4ELNS1_3repE0EEENS1_30default_config_static_selectorELNS0_4arch9wavefront6targetE1EEEvT1_ ; -- Begin function _ZN7rocprim17ROCPRIM_400000_NS6detail17trampoline_kernelINS0_14default_configENS1_25partition_config_selectorILNS1_17partition_subalgoE5ElNS0_10empty_typeEbEEZZNS1_14partition_implILS5_5ELb0ES3_mN6hipcub16HIPCUB_304000_NS21CountingInputIteratorIllEEPS6_NSA_22TransformInputIteratorIb7NonZeroIsEPslEENS0_5tupleIJPlS6_EEENSJ_IJSD_SD_EEES6_SK_JS6_EEE10hipError_tPvRmT3_T4_T5_T6_T7_T9_mT8_P12ihipStream_tbDpT10_ENKUlT_T0_E_clISt17integral_constantIbLb1EES15_IbLb0EEEEDaS11_S12_EUlS11_E_NS1_11comp_targetILNS1_3genE10ELNS1_11target_archE1200ELNS1_3gpuE4ELNS1_3repE0EEENS1_30default_config_static_selectorELNS0_4arch9wavefront6targetE1EEEvT1_
	.globl	_ZN7rocprim17ROCPRIM_400000_NS6detail17trampoline_kernelINS0_14default_configENS1_25partition_config_selectorILNS1_17partition_subalgoE5ElNS0_10empty_typeEbEEZZNS1_14partition_implILS5_5ELb0ES3_mN6hipcub16HIPCUB_304000_NS21CountingInputIteratorIllEEPS6_NSA_22TransformInputIteratorIb7NonZeroIsEPslEENS0_5tupleIJPlS6_EEENSJ_IJSD_SD_EEES6_SK_JS6_EEE10hipError_tPvRmT3_T4_T5_T6_T7_T9_mT8_P12ihipStream_tbDpT10_ENKUlT_T0_E_clISt17integral_constantIbLb1EES15_IbLb0EEEEDaS11_S12_EUlS11_E_NS1_11comp_targetILNS1_3genE10ELNS1_11target_archE1200ELNS1_3gpuE4ELNS1_3repE0EEENS1_30default_config_static_selectorELNS0_4arch9wavefront6targetE1EEEvT1_
	.p2align	8
	.type	_ZN7rocprim17ROCPRIM_400000_NS6detail17trampoline_kernelINS0_14default_configENS1_25partition_config_selectorILNS1_17partition_subalgoE5ElNS0_10empty_typeEbEEZZNS1_14partition_implILS5_5ELb0ES3_mN6hipcub16HIPCUB_304000_NS21CountingInputIteratorIllEEPS6_NSA_22TransformInputIteratorIb7NonZeroIsEPslEENS0_5tupleIJPlS6_EEENSJ_IJSD_SD_EEES6_SK_JS6_EEE10hipError_tPvRmT3_T4_T5_T6_T7_T9_mT8_P12ihipStream_tbDpT10_ENKUlT_T0_E_clISt17integral_constantIbLb1EES15_IbLb0EEEEDaS11_S12_EUlS11_E_NS1_11comp_targetILNS1_3genE10ELNS1_11target_archE1200ELNS1_3gpuE4ELNS1_3repE0EEENS1_30default_config_static_selectorELNS0_4arch9wavefront6targetE1EEEvT1_,@function
_ZN7rocprim17ROCPRIM_400000_NS6detail17trampoline_kernelINS0_14default_configENS1_25partition_config_selectorILNS1_17partition_subalgoE5ElNS0_10empty_typeEbEEZZNS1_14partition_implILS5_5ELb0ES3_mN6hipcub16HIPCUB_304000_NS21CountingInputIteratorIllEEPS6_NSA_22TransformInputIteratorIb7NonZeroIsEPslEENS0_5tupleIJPlS6_EEENSJ_IJSD_SD_EEES6_SK_JS6_EEE10hipError_tPvRmT3_T4_T5_T6_T7_T9_mT8_P12ihipStream_tbDpT10_ENKUlT_T0_E_clISt17integral_constantIbLb1EES15_IbLb0EEEEDaS11_S12_EUlS11_E_NS1_11comp_targetILNS1_3genE10ELNS1_11target_archE1200ELNS1_3gpuE4ELNS1_3repE0EEENS1_30default_config_static_selectorELNS0_4arch9wavefront6targetE1EEEvT1_: ; @_ZN7rocprim17ROCPRIM_400000_NS6detail17trampoline_kernelINS0_14default_configENS1_25partition_config_selectorILNS1_17partition_subalgoE5ElNS0_10empty_typeEbEEZZNS1_14partition_implILS5_5ELb0ES3_mN6hipcub16HIPCUB_304000_NS21CountingInputIteratorIllEEPS6_NSA_22TransformInputIteratorIb7NonZeroIsEPslEENS0_5tupleIJPlS6_EEENSJ_IJSD_SD_EEES6_SK_JS6_EEE10hipError_tPvRmT3_T4_T5_T6_T7_T9_mT8_P12ihipStream_tbDpT10_ENKUlT_T0_E_clISt17integral_constantIbLb1EES15_IbLb0EEEEDaS11_S12_EUlS11_E_NS1_11comp_targetILNS1_3genE10ELNS1_11target_archE1200ELNS1_3gpuE4ELNS1_3repE0EEENS1_30default_config_static_selectorELNS0_4arch9wavefront6targetE1EEEvT1_
; %bb.0:
	.section	.rodata,"a",@progbits
	.p2align	6, 0x0
	.amdhsa_kernel _ZN7rocprim17ROCPRIM_400000_NS6detail17trampoline_kernelINS0_14default_configENS1_25partition_config_selectorILNS1_17partition_subalgoE5ElNS0_10empty_typeEbEEZZNS1_14partition_implILS5_5ELb0ES3_mN6hipcub16HIPCUB_304000_NS21CountingInputIteratorIllEEPS6_NSA_22TransformInputIteratorIb7NonZeroIsEPslEENS0_5tupleIJPlS6_EEENSJ_IJSD_SD_EEES6_SK_JS6_EEE10hipError_tPvRmT3_T4_T5_T6_T7_T9_mT8_P12ihipStream_tbDpT10_ENKUlT_T0_E_clISt17integral_constantIbLb1EES15_IbLb0EEEEDaS11_S12_EUlS11_E_NS1_11comp_targetILNS1_3genE10ELNS1_11target_archE1200ELNS1_3gpuE4ELNS1_3repE0EEENS1_30default_config_static_selectorELNS0_4arch9wavefront6targetE1EEEvT1_
		.amdhsa_group_segment_fixed_size 0
		.amdhsa_private_segment_fixed_size 0
		.amdhsa_kernarg_size 120
		.amdhsa_user_sgpr_count 2
		.amdhsa_user_sgpr_dispatch_ptr 0
		.amdhsa_user_sgpr_queue_ptr 0
		.amdhsa_user_sgpr_kernarg_segment_ptr 1
		.amdhsa_user_sgpr_dispatch_id 0
		.amdhsa_user_sgpr_kernarg_preload_length 0
		.amdhsa_user_sgpr_kernarg_preload_offset 0
		.amdhsa_user_sgpr_private_segment_size 0
		.amdhsa_uses_dynamic_stack 0
		.amdhsa_enable_private_segment 0
		.amdhsa_system_sgpr_workgroup_id_x 1
		.amdhsa_system_sgpr_workgroup_id_y 0
		.amdhsa_system_sgpr_workgroup_id_z 0
		.amdhsa_system_sgpr_workgroup_info 0
		.amdhsa_system_vgpr_workitem_id 0
		.amdhsa_next_free_vgpr 1
		.amdhsa_next_free_sgpr 0
		.amdhsa_accum_offset 4
		.amdhsa_reserve_vcc 0
		.amdhsa_float_round_mode_32 0
		.amdhsa_float_round_mode_16_64 0
		.amdhsa_float_denorm_mode_32 3
		.amdhsa_float_denorm_mode_16_64 3
		.amdhsa_dx10_clamp 1
		.amdhsa_ieee_mode 1
		.amdhsa_fp16_overflow 0
		.amdhsa_tg_split 0
		.amdhsa_exception_fp_ieee_invalid_op 0
		.amdhsa_exception_fp_denorm_src 0
		.amdhsa_exception_fp_ieee_div_zero 0
		.amdhsa_exception_fp_ieee_overflow 0
		.amdhsa_exception_fp_ieee_underflow 0
		.amdhsa_exception_fp_ieee_inexact 0
		.amdhsa_exception_int_div_zero 0
	.end_amdhsa_kernel
	.section	.text._ZN7rocprim17ROCPRIM_400000_NS6detail17trampoline_kernelINS0_14default_configENS1_25partition_config_selectorILNS1_17partition_subalgoE5ElNS0_10empty_typeEbEEZZNS1_14partition_implILS5_5ELb0ES3_mN6hipcub16HIPCUB_304000_NS21CountingInputIteratorIllEEPS6_NSA_22TransformInputIteratorIb7NonZeroIsEPslEENS0_5tupleIJPlS6_EEENSJ_IJSD_SD_EEES6_SK_JS6_EEE10hipError_tPvRmT3_T4_T5_T6_T7_T9_mT8_P12ihipStream_tbDpT10_ENKUlT_T0_E_clISt17integral_constantIbLb1EES15_IbLb0EEEEDaS11_S12_EUlS11_E_NS1_11comp_targetILNS1_3genE10ELNS1_11target_archE1200ELNS1_3gpuE4ELNS1_3repE0EEENS1_30default_config_static_selectorELNS0_4arch9wavefront6targetE1EEEvT1_,"axG",@progbits,_ZN7rocprim17ROCPRIM_400000_NS6detail17trampoline_kernelINS0_14default_configENS1_25partition_config_selectorILNS1_17partition_subalgoE5ElNS0_10empty_typeEbEEZZNS1_14partition_implILS5_5ELb0ES3_mN6hipcub16HIPCUB_304000_NS21CountingInputIteratorIllEEPS6_NSA_22TransformInputIteratorIb7NonZeroIsEPslEENS0_5tupleIJPlS6_EEENSJ_IJSD_SD_EEES6_SK_JS6_EEE10hipError_tPvRmT3_T4_T5_T6_T7_T9_mT8_P12ihipStream_tbDpT10_ENKUlT_T0_E_clISt17integral_constantIbLb1EES15_IbLb0EEEEDaS11_S12_EUlS11_E_NS1_11comp_targetILNS1_3genE10ELNS1_11target_archE1200ELNS1_3gpuE4ELNS1_3repE0EEENS1_30default_config_static_selectorELNS0_4arch9wavefront6targetE1EEEvT1_,comdat
.Lfunc_end138:
	.size	_ZN7rocprim17ROCPRIM_400000_NS6detail17trampoline_kernelINS0_14default_configENS1_25partition_config_selectorILNS1_17partition_subalgoE5ElNS0_10empty_typeEbEEZZNS1_14partition_implILS5_5ELb0ES3_mN6hipcub16HIPCUB_304000_NS21CountingInputIteratorIllEEPS6_NSA_22TransformInputIteratorIb7NonZeroIsEPslEENS0_5tupleIJPlS6_EEENSJ_IJSD_SD_EEES6_SK_JS6_EEE10hipError_tPvRmT3_T4_T5_T6_T7_T9_mT8_P12ihipStream_tbDpT10_ENKUlT_T0_E_clISt17integral_constantIbLb1EES15_IbLb0EEEEDaS11_S12_EUlS11_E_NS1_11comp_targetILNS1_3genE10ELNS1_11target_archE1200ELNS1_3gpuE4ELNS1_3repE0EEENS1_30default_config_static_selectorELNS0_4arch9wavefront6targetE1EEEvT1_, .Lfunc_end138-_ZN7rocprim17ROCPRIM_400000_NS6detail17trampoline_kernelINS0_14default_configENS1_25partition_config_selectorILNS1_17partition_subalgoE5ElNS0_10empty_typeEbEEZZNS1_14partition_implILS5_5ELb0ES3_mN6hipcub16HIPCUB_304000_NS21CountingInputIteratorIllEEPS6_NSA_22TransformInputIteratorIb7NonZeroIsEPslEENS0_5tupleIJPlS6_EEENSJ_IJSD_SD_EEES6_SK_JS6_EEE10hipError_tPvRmT3_T4_T5_T6_T7_T9_mT8_P12ihipStream_tbDpT10_ENKUlT_T0_E_clISt17integral_constantIbLb1EES15_IbLb0EEEEDaS11_S12_EUlS11_E_NS1_11comp_targetILNS1_3genE10ELNS1_11target_archE1200ELNS1_3gpuE4ELNS1_3repE0EEENS1_30default_config_static_selectorELNS0_4arch9wavefront6targetE1EEEvT1_
                                        ; -- End function
	.set _ZN7rocprim17ROCPRIM_400000_NS6detail17trampoline_kernelINS0_14default_configENS1_25partition_config_selectorILNS1_17partition_subalgoE5ElNS0_10empty_typeEbEEZZNS1_14partition_implILS5_5ELb0ES3_mN6hipcub16HIPCUB_304000_NS21CountingInputIteratorIllEEPS6_NSA_22TransformInputIteratorIb7NonZeroIsEPslEENS0_5tupleIJPlS6_EEENSJ_IJSD_SD_EEES6_SK_JS6_EEE10hipError_tPvRmT3_T4_T5_T6_T7_T9_mT8_P12ihipStream_tbDpT10_ENKUlT_T0_E_clISt17integral_constantIbLb1EES15_IbLb0EEEEDaS11_S12_EUlS11_E_NS1_11comp_targetILNS1_3genE10ELNS1_11target_archE1200ELNS1_3gpuE4ELNS1_3repE0EEENS1_30default_config_static_selectorELNS0_4arch9wavefront6targetE1EEEvT1_.num_vgpr, 0
	.set _ZN7rocprim17ROCPRIM_400000_NS6detail17trampoline_kernelINS0_14default_configENS1_25partition_config_selectorILNS1_17partition_subalgoE5ElNS0_10empty_typeEbEEZZNS1_14partition_implILS5_5ELb0ES3_mN6hipcub16HIPCUB_304000_NS21CountingInputIteratorIllEEPS6_NSA_22TransformInputIteratorIb7NonZeroIsEPslEENS0_5tupleIJPlS6_EEENSJ_IJSD_SD_EEES6_SK_JS6_EEE10hipError_tPvRmT3_T4_T5_T6_T7_T9_mT8_P12ihipStream_tbDpT10_ENKUlT_T0_E_clISt17integral_constantIbLb1EES15_IbLb0EEEEDaS11_S12_EUlS11_E_NS1_11comp_targetILNS1_3genE10ELNS1_11target_archE1200ELNS1_3gpuE4ELNS1_3repE0EEENS1_30default_config_static_selectorELNS0_4arch9wavefront6targetE1EEEvT1_.num_agpr, 0
	.set _ZN7rocprim17ROCPRIM_400000_NS6detail17trampoline_kernelINS0_14default_configENS1_25partition_config_selectorILNS1_17partition_subalgoE5ElNS0_10empty_typeEbEEZZNS1_14partition_implILS5_5ELb0ES3_mN6hipcub16HIPCUB_304000_NS21CountingInputIteratorIllEEPS6_NSA_22TransformInputIteratorIb7NonZeroIsEPslEENS0_5tupleIJPlS6_EEENSJ_IJSD_SD_EEES6_SK_JS6_EEE10hipError_tPvRmT3_T4_T5_T6_T7_T9_mT8_P12ihipStream_tbDpT10_ENKUlT_T0_E_clISt17integral_constantIbLb1EES15_IbLb0EEEEDaS11_S12_EUlS11_E_NS1_11comp_targetILNS1_3genE10ELNS1_11target_archE1200ELNS1_3gpuE4ELNS1_3repE0EEENS1_30default_config_static_selectorELNS0_4arch9wavefront6targetE1EEEvT1_.numbered_sgpr, 0
	.set _ZN7rocprim17ROCPRIM_400000_NS6detail17trampoline_kernelINS0_14default_configENS1_25partition_config_selectorILNS1_17partition_subalgoE5ElNS0_10empty_typeEbEEZZNS1_14partition_implILS5_5ELb0ES3_mN6hipcub16HIPCUB_304000_NS21CountingInputIteratorIllEEPS6_NSA_22TransformInputIteratorIb7NonZeroIsEPslEENS0_5tupleIJPlS6_EEENSJ_IJSD_SD_EEES6_SK_JS6_EEE10hipError_tPvRmT3_T4_T5_T6_T7_T9_mT8_P12ihipStream_tbDpT10_ENKUlT_T0_E_clISt17integral_constantIbLb1EES15_IbLb0EEEEDaS11_S12_EUlS11_E_NS1_11comp_targetILNS1_3genE10ELNS1_11target_archE1200ELNS1_3gpuE4ELNS1_3repE0EEENS1_30default_config_static_selectorELNS0_4arch9wavefront6targetE1EEEvT1_.num_named_barrier, 0
	.set _ZN7rocprim17ROCPRIM_400000_NS6detail17trampoline_kernelINS0_14default_configENS1_25partition_config_selectorILNS1_17partition_subalgoE5ElNS0_10empty_typeEbEEZZNS1_14partition_implILS5_5ELb0ES3_mN6hipcub16HIPCUB_304000_NS21CountingInputIteratorIllEEPS6_NSA_22TransformInputIteratorIb7NonZeroIsEPslEENS0_5tupleIJPlS6_EEENSJ_IJSD_SD_EEES6_SK_JS6_EEE10hipError_tPvRmT3_T4_T5_T6_T7_T9_mT8_P12ihipStream_tbDpT10_ENKUlT_T0_E_clISt17integral_constantIbLb1EES15_IbLb0EEEEDaS11_S12_EUlS11_E_NS1_11comp_targetILNS1_3genE10ELNS1_11target_archE1200ELNS1_3gpuE4ELNS1_3repE0EEENS1_30default_config_static_selectorELNS0_4arch9wavefront6targetE1EEEvT1_.private_seg_size, 0
	.set _ZN7rocprim17ROCPRIM_400000_NS6detail17trampoline_kernelINS0_14default_configENS1_25partition_config_selectorILNS1_17partition_subalgoE5ElNS0_10empty_typeEbEEZZNS1_14partition_implILS5_5ELb0ES3_mN6hipcub16HIPCUB_304000_NS21CountingInputIteratorIllEEPS6_NSA_22TransformInputIteratorIb7NonZeroIsEPslEENS0_5tupleIJPlS6_EEENSJ_IJSD_SD_EEES6_SK_JS6_EEE10hipError_tPvRmT3_T4_T5_T6_T7_T9_mT8_P12ihipStream_tbDpT10_ENKUlT_T0_E_clISt17integral_constantIbLb1EES15_IbLb0EEEEDaS11_S12_EUlS11_E_NS1_11comp_targetILNS1_3genE10ELNS1_11target_archE1200ELNS1_3gpuE4ELNS1_3repE0EEENS1_30default_config_static_selectorELNS0_4arch9wavefront6targetE1EEEvT1_.uses_vcc, 0
	.set _ZN7rocprim17ROCPRIM_400000_NS6detail17trampoline_kernelINS0_14default_configENS1_25partition_config_selectorILNS1_17partition_subalgoE5ElNS0_10empty_typeEbEEZZNS1_14partition_implILS5_5ELb0ES3_mN6hipcub16HIPCUB_304000_NS21CountingInputIteratorIllEEPS6_NSA_22TransformInputIteratorIb7NonZeroIsEPslEENS0_5tupleIJPlS6_EEENSJ_IJSD_SD_EEES6_SK_JS6_EEE10hipError_tPvRmT3_T4_T5_T6_T7_T9_mT8_P12ihipStream_tbDpT10_ENKUlT_T0_E_clISt17integral_constantIbLb1EES15_IbLb0EEEEDaS11_S12_EUlS11_E_NS1_11comp_targetILNS1_3genE10ELNS1_11target_archE1200ELNS1_3gpuE4ELNS1_3repE0EEENS1_30default_config_static_selectorELNS0_4arch9wavefront6targetE1EEEvT1_.uses_flat_scratch, 0
	.set _ZN7rocprim17ROCPRIM_400000_NS6detail17trampoline_kernelINS0_14default_configENS1_25partition_config_selectorILNS1_17partition_subalgoE5ElNS0_10empty_typeEbEEZZNS1_14partition_implILS5_5ELb0ES3_mN6hipcub16HIPCUB_304000_NS21CountingInputIteratorIllEEPS6_NSA_22TransformInputIteratorIb7NonZeroIsEPslEENS0_5tupleIJPlS6_EEENSJ_IJSD_SD_EEES6_SK_JS6_EEE10hipError_tPvRmT3_T4_T5_T6_T7_T9_mT8_P12ihipStream_tbDpT10_ENKUlT_T0_E_clISt17integral_constantIbLb1EES15_IbLb0EEEEDaS11_S12_EUlS11_E_NS1_11comp_targetILNS1_3genE10ELNS1_11target_archE1200ELNS1_3gpuE4ELNS1_3repE0EEENS1_30default_config_static_selectorELNS0_4arch9wavefront6targetE1EEEvT1_.has_dyn_sized_stack, 0
	.set _ZN7rocprim17ROCPRIM_400000_NS6detail17trampoline_kernelINS0_14default_configENS1_25partition_config_selectorILNS1_17partition_subalgoE5ElNS0_10empty_typeEbEEZZNS1_14partition_implILS5_5ELb0ES3_mN6hipcub16HIPCUB_304000_NS21CountingInputIteratorIllEEPS6_NSA_22TransformInputIteratorIb7NonZeroIsEPslEENS0_5tupleIJPlS6_EEENSJ_IJSD_SD_EEES6_SK_JS6_EEE10hipError_tPvRmT3_T4_T5_T6_T7_T9_mT8_P12ihipStream_tbDpT10_ENKUlT_T0_E_clISt17integral_constantIbLb1EES15_IbLb0EEEEDaS11_S12_EUlS11_E_NS1_11comp_targetILNS1_3genE10ELNS1_11target_archE1200ELNS1_3gpuE4ELNS1_3repE0EEENS1_30default_config_static_selectorELNS0_4arch9wavefront6targetE1EEEvT1_.has_recursion, 0
	.set _ZN7rocprim17ROCPRIM_400000_NS6detail17trampoline_kernelINS0_14default_configENS1_25partition_config_selectorILNS1_17partition_subalgoE5ElNS0_10empty_typeEbEEZZNS1_14partition_implILS5_5ELb0ES3_mN6hipcub16HIPCUB_304000_NS21CountingInputIteratorIllEEPS6_NSA_22TransformInputIteratorIb7NonZeroIsEPslEENS0_5tupleIJPlS6_EEENSJ_IJSD_SD_EEES6_SK_JS6_EEE10hipError_tPvRmT3_T4_T5_T6_T7_T9_mT8_P12ihipStream_tbDpT10_ENKUlT_T0_E_clISt17integral_constantIbLb1EES15_IbLb0EEEEDaS11_S12_EUlS11_E_NS1_11comp_targetILNS1_3genE10ELNS1_11target_archE1200ELNS1_3gpuE4ELNS1_3repE0EEENS1_30default_config_static_selectorELNS0_4arch9wavefront6targetE1EEEvT1_.has_indirect_call, 0
	.section	.AMDGPU.csdata,"",@progbits
; Kernel info:
; codeLenInByte = 0
; TotalNumSgprs: 6
; NumVgprs: 0
; NumAgprs: 0
; TotalNumVgprs: 0
; ScratchSize: 0
; MemoryBound: 0
; FloatMode: 240
; IeeeMode: 1
; LDSByteSize: 0 bytes/workgroup (compile time only)
; SGPRBlocks: 0
; VGPRBlocks: 0
; NumSGPRsForWavesPerEU: 6
; NumVGPRsForWavesPerEU: 1
; AccumOffset: 4
; Occupancy: 8
; WaveLimiterHint : 0
; COMPUTE_PGM_RSRC2:SCRATCH_EN: 0
; COMPUTE_PGM_RSRC2:USER_SGPR: 2
; COMPUTE_PGM_RSRC2:TRAP_HANDLER: 0
; COMPUTE_PGM_RSRC2:TGID_X_EN: 1
; COMPUTE_PGM_RSRC2:TGID_Y_EN: 0
; COMPUTE_PGM_RSRC2:TGID_Z_EN: 0
; COMPUTE_PGM_RSRC2:TIDIG_COMP_CNT: 0
; COMPUTE_PGM_RSRC3_GFX90A:ACCUM_OFFSET: 0
; COMPUTE_PGM_RSRC3_GFX90A:TG_SPLIT: 0
	.section	.text._ZN7rocprim17ROCPRIM_400000_NS6detail17trampoline_kernelINS0_14default_configENS1_25partition_config_selectorILNS1_17partition_subalgoE5ElNS0_10empty_typeEbEEZZNS1_14partition_implILS5_5ELb0ES3_mN6hipcub16HIPCUB_304000_NS21CountingInputIteratorIllEEPS6_NSA_22TransformInputIteratorIb7NonZeroIsEPslEENS0_5tupleIJPlS6_EEENSJ_IJSD_SD_EEES6_SK_JS6_EEE10hipError_tPvRmT3_T4_T5_T6_T7_T9_mT8_P12ihipStream_tbDpT10_ENKUlT_T0_E_clISt17integral_constantIbLb1EES15_IbLb0EEEEDaS11_S12_EUlS11_E_NS1_11comp_targetILNS1_3genE9ELNS1_11target_archE1100ELNS1_3gpuE3ELNS1_3repE0EEENS1_30default_config_static_selectorELNS0_4arch9wavefront6targetE1EEEvT1_,"axG",@progbits,_ZN7rocprim17ROCPRIM_400000_NS6detail17trampoline_kernelINS0_14default_configENS1_25partition_config_selectorILNS1_17partition_subalgoE5ElNS0_10empty_typeEbEEZZNS1_14partition_implILS5_5ELb0ES3_mN6hipcub16HIPCUB_304000_NS21CountingInputIteratorIllEEPS6_NSA_22TransformInputIteratorIb7NonZeroIsEPslEENS0_5tupleIJPlS6_EEENSJ_IJSD_SD_EEES6_SK_JS6_EEE10hipError_tPvRmT3_T4_T5_T6_T7_T9_mT8_P12ihipStream_tbDpT10_ENKUlT_T0_E_clISt17integral_constantIbLb1EES15_IbLb0EEEEDaS11_S12_EUlS11_E_NS1_11comp_targetILNS1_3genE9ELNS1_11target_archE1100ELNS1_3gpuE3ELNS1_3repE0EEENS1_30default_config_static_selectorELNS0_4arch9wavefront6targetE1EEEvT1_,comdat
	.protected	_ZN7rocprim17ROCPRIM_400000_NS6detail17trampoline_kernelINS0_14default_configENS1_25partition_config_selectorILNS1_17partition_subalgoE5ElNS0_10empty_typeEbEEZZNS1_14partition_implILS5_5ELb0ES3_mN6hipcub16HIPCUB_304000_NS21CountingInputIteratorIllEEPS6_NSA_22TransformInputIteratorIb7NonZeroIsEPslEENS0_5tupleIJPlS6_EEENSJ_IJSD_SD_EEES6_SK_JS6_EEE10hipError_tPvRmT3_T4_T5_T6_T7_T9_mT8_P12ihipStream_tbDpT10_ENKUlT_T0_E_clISt17integral_constantIbLb1EES15_IbLb0EEEEDaS11_S12_EUlS11_E_NS1_11comp_targetILNS1_3genE9ELNS1_11target_archE1100ELNS1_3gpuE3ELNS1_3repE0EEENS1_30default_config_static_selectorELNS0_4arch9wavefront6targetE1EEEvT1_ ; -- Begin function _ZN7rocprim17ROCPRIM_400000_NS6detail17trampoline_kernelINS0_14default_configENS1_25partition_config_selectorILNS1_17partition_subalgoE5ElNS0_10empty_typeEbEEZZNS1_14partition_implILS5_5ELb0ES3_mN6hipcub16HIPCUB_304000_NS21CountingInputIteratorIllEEPS6_NSA_22TransformInputIteratorIb7NonZeroIsEPslEENS0_5tupleIJPlS6_EEENSJ_IJSD_SD_EEES6_SK_JS6_EEE10hipError_tPvRmT3_T4_T5_T6_T7_T9_mT8_P12ihipStream_tbDpT10_ENKUlT_T0_E_clISt17integral_constantIbLb1EES15_IbLb0EEEEDaS11_S12_EUlS11_E_NS1_11comp_targetILNS1_3genE9ELNS1_11target_archE1100ELNS1_3gpuE3ELNS1_3repE0EEENS1_30default_config_static_selectorELNS0_4arch9wavefront6targetE1EEEvT1_
	.globl	_ZN7rocprim17ROCPRIM_400000_NS6detail17trampoline_kernelINS0_14default_configENS1_25partition_config_selectorILNS1_17partition_subalgoE5ElNS0_10empty_typeEbEEZZNS1_14partition_implILS5_5ELb0ES3_mN6hipcub16HIPCUB_304000_NS21CountingInputIteratorIllEEPS6_NSA_22TransformInputIteratorIb7NonZeroIsEPslEENS0_5tupleIJPlS6_EEENSJ_IJSD_SD_EEES6_SK_JS6_EEE10hipError_tPvRmT3_T4_T5_T6_T7_T9_mT8_P12ihipStream_tbDpT10_ENKUlT_T0_E_clISt17integral_constantIbLb1EES15_IbLb0EEEEDaS11_S12_EUlS11_E_NS1_11comp_targetILNS1_3genE9ELNS1_11target_archE1100ELNS1_3gpuE3ELNS1_3repE0EEENS1_30default_config_static_selectorELNS0_4arch9wavefront6targetE1EEEvT1_
	.p2align	8
	.type	_ZN7rocprim17ROCPRIM_400000_NS6detail17trampoline_kernelINS0_14default_configENS1_25partition_config_selectorILNS1_17partition_subalgoE5ElNS0_10empty_typeEbEEZZNS1_14partition_implILS5_5ELb0ES3_mN6hipcub16HIPCUB_304000_NS21CountingInputIteratorIllEEPS6_NSA_22TransformInputIteratorIb7NonZeroIsEPslEENS0_5tupleIJPlS6_EEENSJ_IJSD_SD_EEES6_SK_JS6_EEE10hipError_tPvRmT3_T4_T5_T6_T7_T9_mT8_P12ihipStream_tbDpT10_ENKUlT_T0_E_clISt17integral_constantIbLb1EES15_IbLb0EEEEDaS11_S12_EUlS11_E_NS1_11comp_targetILNS1_3genE9ELNS1_11target_archE1100ELNS1_3gpuE3ELNS1_3repE0EEENS1_30default_config_static_selectorELNS0_4arch9wavefront6targetE1EEEvT1_,@function
_ZN7rocprim17ROCPRIM_400000_NS6detail17trampoline_kernelINS0_14default_configENS1_25partition_config_selectorILNS1_17partition_subalgoE5ElNS0_10empty_typeEbEEZZNS1_14partition_implILS5_5ELb0ES3_mN6hipcub16HIPCUB_304000_NS21CountingInputIteratorIllEEPS6_NSA_22TransformInputIteratorIb7NonZeroIsEPslEENS0_5tupleIJPlS6_EEENSJ_IJSD_SD_EEES6_SK_JS6_EEE10hipError_tPvRmT3_T4_T5_T6_T7_T9_mT8_P12ihipStream_tbDpT10_ENKUlT_T0_E_clISt17integral_constantIbLb1EES15_IbLb0EEEEDaS11_S12_EUlS11_E_NS1_11comp_targetILNS1_3genE9ELNS1_11target_archE1100ELNS1_3gpuE3ELNS1_3repE0EEENS1_30default_config_static_selectorELNS0_4arch9wavefront6targetE1EEEvT1_: ; @_ZN7rocprim17ROCPRIM_400000_NS6detail17trampoline_kernelINS0_14default_configENS1_25partition_config_selectorILNS1_17partition_subalgoE5ElNS0_10empty_typeEbEEZZNS1_14partition_implILS5_5ELb0ES3_mN6hipcub16HIPCUB_304000_NS21CountingInputIteratorIllEEPS6_NSA_22TransformInputIteratorIb7NonZeroIsEPslEENS0_5tupleIJPlS6_EEENSJ_IJSD_SD_EEES6_SK_JS6_EEE10hipError_tPvRmT3_T4_T5_T6_T7_T9_mT8_P12ihipStream_tbDpT10_ENKUlT_T0_E_clISt17integral_constantIbLb1EES15_IbLb0EEEEDaS11_S12_EUlS11_E_NS1_11comp_targetILNS1_3genE9ELNS1_11target_archE1100ELNS1_3gpuE3ELNS1_3repE0EEENS1_30default_config_static_selectorELNS0_4arch9wavefront6targetE1EEEvT1_
; %bb.0:
	.section	.rodata,"a",@progbits
	.p2align	6, 0x0
	.amdhsa_kernel _ZN7rocprim17ROCPRIM_400000_NS6detail17trampoline_kernelINS0_14default_configENS1_25partition_config_selectorILNS1_17partition_subalgoE5ElNS0_10empty_typeEbEEZZNS1_14partition_implILS5_5ELb0ES3_mN6hipcub16HIPCUB_304000_NS21CountingInputIteratorIllEEPS6_NSA_22TransformInputIteratorIb7NonZeroIsEPslEENS0_5tupleIJPlS6_EEENSJ_IJSD_SD_EEES6_SK_JS6_EEE10hipError_tPvRmT3_T4_T5_T6_T7_T9_mT8_P12ihipStream_tbDpT10_ENKUlT_T0_E_clISt17integral_constantIbLb1EES15_IbLb0EEEEDaS11_S12_EUlS11_E_NS1_11comp_targetILNS1_3genE9ELNS1_11target_archE1100ELNS1_3gpuE3ELNS1_3repE0EEENS1_30default_config_static_selectorELNS0_4arch9wavefront6targetE1EEEvT1_
		.amdhsa_group_segment_fixed_size 0
		.amdhsa_private_segment_fixed_size 0
		.amdhsa_kernarg_size 120
		.amdhsa_user_sgpr_count 2
		.amdhsa_user_sgpr_dispatch_ptr 0
		.amdhsa_user_sgpr_queue_ptr 0
		.amdhsa_user_sgpr_kernarg_segment_ptr 1
		.amdhsa_user_sgpr_dispatch_id 0
		.amdhsa_user_sgpr_kernarg_preload_length 0
		.amdhsa_user_sgpr_kernarg_preload_offset 0
		.amdhsa_user_sgpr_private_segment_size 0
		.amdhsa_uses_dynamic_stack 0
		.amdhsa_enable_private_segment 0
		.amdhsa_system_sgpr_workgroup_id_x 1
		.amdhsa_system_sgpr_workgroup_id_y 0
		.amdhsa_system_sgpr_workgroup_id_z 0
		.amdhsa_system_sgpr_workgroup_info 0
		.amdhsa_system_vgpr_workitem_id 0
		.amdhsa_next_free_vgpr 1
		.amdhsa_next_free_sgpr 0
		.amdhsa_accum_offset 4
		.amdhsa_reserve_vcc 0
		.amdhsa_float_round_mode_32 0
		.amdhsa_float_round_mode_16_64 0
		.amdhsa_float_denorm_mode_32 3
		.amdhsa_float_denorm_mode_16_64 3
		.amdhsa_dx10_clamp 1
		.amdhsa_ieee_mode 1
		.amdhsa_fp16_overflow 0
		.amdhsa_tg_split 0
		.amdhsa_exception_fp_ieee_invalid_op 0
		.amdhsa_exception_fp_denorm_src 0
		.amdhsa_exception_fp_ieee_div_zero 0
		.amdhsa_exception_fp_ieee_overflow 0
		.amdhsa_exception_fp_ieee_underflow 0
		.amdhsa_exception_fp_ieee_inexact 0
		.amdhsa_exception_int_div_zero 0
	.end_amdhsa_kernel
	.section	.text._ZN7rocprim17ROCPRIM_400000_NS6detail17trampoline_kernelINS0_14default_configENS1_25partition_config_selectorILNS1_17partition_subalgoE5ElNS0_10empty_typeEbEEZZNS1_14partition_implILS5_5ELb0ES3_mN6hipcub16HIPCUB_304000_NS21CountingInputIteratorIllEEPS6_NSA_22TransformInputIteratorIb7NonZeroIsEPslEENS0_5tupleIJPlS6_EEENSJ_IJSD_SD_EEES6_SK_JS6_EEE10hipError_tPvRmT3_T4_T5_T6_T7_T9_mT8_P12ihipStream_tbDpT10_ENKUlT_T0_E_clISt17integral_constantIbLb1EES15_IbLb0EEEEDaS11_S12_EUlS11_E_NS1_11comp_targetILNS1_3genE9ELNS1_11target_archE1100ELNS1_3gpuE3ELNS1_3repE0EEENS1_30default_config_static_selectorELNS0_4arch9wavefront6targetE1EEEvT1_,"axG",@progbits,_ZN7rocprim17ROCPRIM_400000_NS6detail17trampoline_kernelINS0_14default_configENS1_25partition_config_selectorILNS1_17partition_subalgoE5ElNS0_10empty_typeEbEEZZNS1_14partition_implILS5_5ELb0ES3_mN6hipcub16HIPCUB_304000_NS21CountingInputIteratorIllEEPS6_NSA_22TransformInputIteratorIb7NonZeroIsEPslEENS0_5tupleIJPlS6_EEENSJ_IJSD_SD_EEES6_SK_JS6_EEE10hipError_tPvRmT3_T4_T5_T6_T7_T9_mT8_P12ihipStream_tbDpT10_ENKUlT_T0_E_clISt17integral_constantIbLb1EES15_IbLb0EEEEDaS11_S12_EUlS11_E_NS1_11comp_targetILNS1_3genE9ELNS1_11target_archE1100ELNS1_3gpuE3ELNS1_3repE0EEENS1_30default_config_static_selectorELNS0_4arch9wavefront6targetE1EEEvT1_,comdat
.Lfunc_end139:
	.size	_ZN7rocprim17ROCPRIM_400000_NS6detail17trampoline_kernelINS0_14default_configENS1_25partition_config_selectorILNS1_17partition_subalgoE5ElNS0_10empty_typeEbEEZZNS1_14partition_implILS5_5ELb0ES3_mN6hipcub16HIPCUB_304000_NS21CountingInputIteratorIllEEPS6_NSA_22TransformInputIteratorIb7NonZeroIsEPslEENS0_5tupleIJPlS6_EEENSJ_IJSD_SD_EEES6_SK_JS6_EEE10hipError_tPvRmT3_T4_T5_T6_T7_T9_mT8_P12ihipStream_tbDpT10_ENKUlT_T0_E_clISt17integral_constantIbLb1EES15_IbLb0EEEEDaS11_S12_EUlS11_E_NS1_11comp_targetILNS1_3genE9ELNS1_11target_archE1100ELNS1_3gpuE3ELNS1_3repE0EEENS1_30default_config_static_selectorELNS0_4arch9wavefront6targetE1EEEvT1_, .Lfunc_end139-_ZN7rocprim17ROCPRIM_400000_NS6detail17trampoline_kernelINS0_14default_configENS1_25partition_config_selectorILNS1_17partition_subalgoE5ElNS0_10empty_typeEbEEZZNS1_14partition_implILS5_5ELb0ES3_mN6hipcub16HIPCUB_304000_NS21CountingInputIteratorIllEEPS6_NSA_22TransformInputIteratorIb7NonZeroIsEPslEENS0_5tupleIJPlS6_EEENSJ_IJSD_SD_EEES6_SK_JS6_EEE10hipError_tPvRmT3_T4_T5_T6_T7_T9_mT8_P12ihipStream_tbDpT10_ENKUlT_T0_E_clISt17integral_constantIbLb1EES15_IbLb0EEEEDaS11_S12_EUlS11_E_NS1_11comp_targetILNS1_3genE9ELNS1_11target_archE1100ELNS1_3gpuE3ELNS1_3repE0EEENS1_30default_config_static_selectorELNS0_4arch9wavefront6targetE1EEEvT1_
                                        ; -- End function
	.set _ZN7rocprim17ROCPRIM_400000_NS6detail17trampoline_kernelINS0_14default_configENS1_25partition_config_selectorILNS1_17partition_subalgoE5ElNS0_10empty_typeEbEEZZNS1_14partition_implILS5_5ELb0ES3_mN6hipcub16HIPCUB_304000_NS21CountingInputIteratorIllEEPS6_NSA_22TransformInputIteratorIb7NonZeroIsEPslEENS0_5tupleIJPlS6_EEENSJ_IJSD_SD_EEES6_SK_JS6_EEE10hipError_tPvRmT3_T4_T5_T6_T7_T9_mT8_P12ihipStream_tbDpT10_ENKUlT_T0_E_clISt17integral_constantIbLb1EES15_IbLb0EEEEDaS11_S12_EUlS11_E_NS1_11comp_targetILNS1_3genE9ELNS1_11target_archE1100ELNS1_3gpuE3ELNS1_3repE0EEENS1_30default_config_static_selectorELNS0_4arch9wavefront6targetE1EEEvT1_.num_vgpr, 0
	.set _ZN7rocprim17ROCPRIM_400000_NS6detail17trampoline_kernelINS0_14default_configENS1_25partition_config_selectorILNS1_17partition_subalgoE5ElNS0_10empty_typeEbEEZZNS1_14partition_implILS5_5ELb0ES3_mN6hipcub16HIPCUB_304000_NS21CountingInputIteratorIllEEPS6_NSA_22TransformInputIteratorIb7NonZeroIsEPslEENS0_5tupleIJPlS6_EEENSJ_IJSD_SD_EEES6_SK_JS6_EEE10hipError_tPvRmT3_T4_T5_T6_T7_T9_mT8_P12ihipStream_tbDpT10_ENKUlT_T0_E_clISt17integral_constantIbLb1EES15_IbLb0EEEEDaS11_S12_EUlS11_E_NS1_11comp_targetILNS1_3genE9ELNS1_11target_archE1100ELNS1_3gpuE3ELNS1_3repE0EEENS1_30default_config_static_selectorELNS0_4arch9wavefront6targetE1EEEvT1_.num_agpr, 0
	.set _ZN7rocprim17ROCPRIM_400000_NS6detail17trampoline_kernelINS0_14default_configENS1_25partition_config_selectorILNS1_17partition_subalgoE5ElNS0_10empty_typeEbEEZZNS1_14partition_implILS5_5ELb0ES3_mN6hipcub16HIPCUB_304000_NS21CountingInputIteratorIllEEPS6_NSA_22TransformInputIteratorIb7NonZeroIsEPslEENS0_5tupleIJPlS6_EEENSJ_IJSD_SD_EEES6_SK_JS6_EEE10hipError_tPvRmT3_T4_T5_T6_T7_T9_mT8_P12ihipStream_tbDpT10_ENKUlT_T0_E_clISt17integral_constantIbLb1EES15_IbLb0EEEEDaS11_S12_EUlS11_E_NS1_11comp_targetILNS1_3genE9ELNS1_11target_archE1100ELNS1_3gpuE3ELNS1_3repE0EEENS1_30default_config_static_selectorELNS0_4arch9wavefront6targetE1EEEvT1_.numbered_sgpr, 0
	.set _ZN7rocprim17ROCPRIM_400000_NS6detail17trampoline_kernelINS0_14default_configENS1_25partition_config_selectorILNS1_17partition_subalgoE5ElNS0_10empty_typeEbEEZZNS1_14partition_implILS5_5ELb0ES3_mN6hipcub16HIPCUB_304000_NS21CountingInputIteratorIllEEPS6_NSA_22TransformInputIteratorIb7NonZeroIsEPslEENS0_5tupleIJPlS6_EEENSJ_IJSD_SD_EEES6_SK_JS6_EEE10hipError_tPvRmT3_T4_T5_T6_T7_T9_mT8_P12ihipStream_tbDpT10_ENKUlT_T0_E_clISt17integral_constantIbLb1EES15_IbLb0EEEEDaS11_S12_EUlS11_E_NS1_11comp_targetILNS1_3genE9ELNS1_11target_archE1100ELNS1_3gpuE3ELNS1_3repE0EEENS1_30default_config_static_selectorELNS0_4arch9wavefront6targetE1EEEvT1_.num_named_barrier, 0
	.set _ZN7rocprim17ROCPRIM_400000_NS6detail17trampoline_kernelINS0_14default_configENS1_25partition_config_selectorILNS1_17partition_subalgoE5ElNS0_10empty_typeEbEEZZNS1_14partition_implILS5_5ELb0ES3_mN6hipcub16HIPCUB_304000_NS21CountingInputIteratorIllEEPS6_NSA_22TransformInputIteratorIb7NonZeroIsEPslEENS0_5tupleIJPlS6_EEENSJ_IJSD_SD_EEES6_SK_JS6_EEE10hipError_tPvRmT3_T4_T5_T6_T7_T9_mT8_P12ihipStream_tbDpT10_ENKUlT_T0_E_clISt17integral_constantIbLb1EES15_IbLb0EEEEDaS11_S12_EUlS11_E_NS1_11comp_targetILNS1_3genE9ELNS1_11target_archE1100ELNS1_3gpuE3ELNS1_3repE0EEENS1_30default_config_static_selectorELNS0_4arch9wavefront6targetE1EEEvT1_.private_seg_size, 0
	.set _ZN7rocprim17ROCPRIM_400000_NS6detail17trampoline_kernelINS0_14default_configENS1_25partition_config_selectorILNS1_17partition_subalgoE5ElNS0_10empty_typeEbEEZZNS1_14partition_implILS5_5ELb0ES3_mN6hipcub16HIPCUB_304000_NS21CountingInputIteratorIllEEPS6_NSA_22TransformInputIteratorIb7NonZeroIsEPslEENS0_5tupleIJPlS6_EEENSJ_IJSD_SD_EEES6_SK_JS6_EEE10hipError_tPvRmT3_T4_T5_T6_T7_T9_mT8_P12ihipStream_tbDpT10_ENKUlT_T0_E_clISt17integral_constantIbLb1EES15_IbLb0EEEEDaS11_S12_EUlS11_E_NS1_11comp_targetILNS1_3genE9ELNS1_11target_archE1100ELNS1_3gpuE3ELNS1_3repE0EEENS1_30default_config_static_selectorELNS0_4arch9wavefront6targetE1EEEvT1_.uses_vcc, 0
	.set _ZN7rocprim17ROCPRIM_400000_NS6detail17trampoline_kernelINS0_14default_configENS1_25partition_config_selectorILNS1_17partition_subalgoE5ElNS0_10empty_typeEbEEZZNS1_14partition_implILS5_5ELb0ES3_mN6hipcub16HIPCUB_304000_NS21CountingInputIteratorIllEEPS6_NSA_22TransformInputIteratorIb7NonZeroIsEPslEENS0_5tupleIJPlS6_EEENSJ_IJSD_SD_EEES6_SK_JS6_EEE10hipError_tPvRmT3_T4_T5_T6_T7_T9_mT8_P12ihipStream_tbDpT10_ENKUlT_T0_E_clISt17integral_constantIbLb1EES15_IbLb0EEEEDaS11_S12_EUlS11_E_NS1_11comp_targetILNS1_3genE9ELNS1_11target_archE1100ELNS1_3gpuE3ELNS1_3repE0EEENS1_30default_config_static_selectorELNS0_4arch9wavefront6targetE1EEEvT1_.uses_flat_scratch, 0
	.set _ZN7rocprim17ROCPRIM_400000_NS6detail17trampoline_kernelINS0_14default_configENS1_25partition_config_selectorILNS1_17partition_subalgoE5ElNS0_10empty_typeEbEEZZNS1_14partition_implILS5_5ELb0ES3_mN6hipcub16HIPCUB_304000_NS21CountingInputIteratorIllEEPS6_NSA_22TransformInputIteratorIb7NonZeroIsEPslEENS0_5tupleIJPlS6_EEENSJ_IJSD_SD_EEES6_SK_JS6_EEE10hipError_tPvRmT3_T4_T5_T6_T7_T9_mT8_P12ihipStream_tbDpT10_ENKUlT_T0_E_clISt17integral_constantIbLb1EES15_IbLb0EEEEDaS11_S12_EUlS11_E_NS1_11comp_targetILNS1_3genE9ELNS1_11target_archE1100ELNS1_3gpuE3ELNS1_3repE0EEENS1_30default_config_static_selectorELNS0_4arch9wavefront6targetE1EEEvT1_.has_dyn_sized_stack, 0
	.set _ZN7rocprim17ROCPRIM_400000_NS6detail17trampoline_kernelINS0_14default_configENS1_25partition_config_selectorILNS1_17partition_subalgoE5ElNS0_10empty_typeEbEEZZNS1_14partition_implILS5_5ELb0ES3_mN6hipcub16HIPCUB_304000_NS21CountingInputIteratorIllEEPS6_NSA_22TransformInputIteratorIb7NonZeroIsEPslEENS0_5tupleIJPlS6_EEENSJ_IJSD_SD_EEES6_SK_JS6_EEE10hipError_tPvRmT3_T4_T5_T6_T7_T9_mT8_P12ihipStream_tbDpT10_ENKUlT_T0_E_clISt17integral_constantIbLb1EES15_IbLb0EEEEDaS11_S12_EUlS11_E_NS1_11comp_targetILNS1_3genE9ELNS1_11target_archE1100ELNS1_3gpuE3ELNS1_3repE0EEENS1_30default_config_static_selectorELNS0_4arch9wavefront6targetE1EEEvT1_.has_recursion, 0
	.set _ZN7rocprim17ROCPRIM_400000_NS6detail17trampoline_kernelINS0_14default_configENS1_25partition_config_selectorILNS1_17partition_subalgoE5ElNS0_10empty_typeEbEEZZNS1_14partition_implILS5_5ELb0ES3_mN6hipcub16HIPCUB_304000_NS21CountingInputIteratorIllEEPS6_NSA_22TransformInputIteratorIb7NonZeroIsEPslEENS0_5tupleIJPlS6_EEENSJ_IJSD_SD_EEES6_SK_JS6_EEE10hipError_tPvRmT3_T4_T5_T6_T7_T9_mT8_P12ihipStream_tbDpT10_ENKUlT_T0_E_clISt17integral_constantIbLb1EES15_IbLb0EEEEDaS11_S12_EUlS11_E_NS1_11comp_targetILNS1_3genE9ELNS1_11target_archE1100ELNS1_3gpuE3ELNS1_3repE0EEENS1_30default_config_static_selectorELNS0_4arch9wavefront6targetE1EEEvT1_.has_indirect_call, 0
	.section	.AMDGPU.csdata,"",@progbits
; Kernel info:
; codeLenInByte = 0
; TotalNumSgprs: 6
; NumVgprs: 0
; NumAgprs: 0
; TotalNumVgprs: 0
; ScratchSize: 0
; MemoryBound: 0
; FloatMode: 240
; IeeeMode: 1
; LDSByteSize: 0 bytes/workgroup (compile time only)
; SGPRBlocks: 0
; VGPRBlocks: 0
; NumSGPRsForWavesPerEU: 6
; NumVGPRsForWavesPerEU: 1
; AccumOffset: 4
; Occupancy: 8
; WaveLimiterHint : 0
; COMPUTE_PGM_RSRC2:SCRATCH_EN: 0
; COMPUTE_PGM_RSRC2:USER_SGPR: 2
; COMPUTE_PGM_RSRC2:TRAP_HANDLER: 0
; COMPUTE_PGM_RSRC2:TGID_X_EN: 1
; COMPUTE_PGM_RSRC2:TGID_Y_EN: 0
; COMPUTE_PGM_RSRC2:TGID_Z_EN: 0
; COMPUTE_PGM_RSRC2:TIDIG_COMP_CNT: 0
; COMPUTE_PGM_RSRC3_GFX90A:ACCUM_OFFSET: 0
; COMPUTE_PGM_RSRC3_GFX90A:TG_SPLIT: 0
	.section	.text._ZN7rocprim17ROCPRIM_400000_NS6detail17trampoline_kernelINS0_14default_configENS1_25partition_config_selectorILNS1_17partition_subalgoE5ElNS0_10empty_typeEbEEZZNS1_14partition_implILS5_5ELb0ES3_mN6hipcub16HIPCUB_304000_NS21CountingInputIteratorIllEEPS6_NSA_22TransformInputIteratorIb7NonZeroIsEPslEENS0_5tupleIJPlS6_EEENSJ_IJSD_SD_EEES6_SK_JS6_EEE10hipError_tPvRmT3_T4_T5_T6_T7_T9_mT8_P12ihipStream_tbDpT10_ENKUlT_T0_E_clISt17integral_constantIbLb1EES15_IbLb0EEEEDaS11_S12_EUlS11_E_NS1_11comp_targetILNS1_3genE8ELNS1_11target_archE1030ELNS1_3gpuE2ELNS1_3repE0EEENS1_30default_config_static_selectorELNS0_4arch9wavefront6targetE1EEEvT1_,"axG",@progbits,_ZN7rocprim17ROCPRIM_400000_NS6detail17trampoline_kernelINS0_14default_configENS1_25partition_config_selectorILNS1_17partition_subalgoE5ElNS0_10empty_typeEbEEZZNS1_14partition_implILS5_5ELb0ES3_mN6hipcub16HIPCUB_304000_NS21CountingInputIteratorIllEEPS6_NSA_22TransformInputIteratorIb7NonZeroIsEPslEENS0_5tupleIJPlS6_EEENSJ_IJSD_SD_EEES6_SK_JS6_EEE10hipError_tPvRmT3_T4_T5_T6_T7_T9_mT8_P12ihipStream_tbDpT10_ENKUlT_T0_E_clISt17integral_constantIbLb1EES15_IbLb0EEEEDaS11_S12_EUlS11_E_NS1_11comp_targetILNS1_3genE8ELNS1_11target_archE1030ELNS1_3gpuE2ELNS1_3repE0EEENS1_30default_config_static_selectorELNS0_4arch9wavefront6targetE1EEEvT1_,comdat
	.protected	_ZN7rocprim17ROCPRIM_400000_NS6detail17trampoline_kernelINS0_14default_configENS1_25partition_config_selectorILNS1_17partition_subalgoE5ElNS0_10empty_typeEbEEZZNS1_14partition_implILS5_5ELb0ES3_mN6hipcub16HIPCUB_304000_NS21CountingInputIteratorIllEEPS6_NSA_22TransformInputIteratorIb7NonZeroIsEPslEENS0_5tupleIJPlS6_EEENSJ_IJSD_SD_EEES6_SK_JS6_EEE10hipError_tPvRmT3_T4_T5_T6_T7_T9_mT8_P12ihipStream_tbDpT10_ENKUlT_T0_E_clISt17integral_constantIbLb1EES15_IbLb0EEEEDaS11_S12_EUlS11_E_NS1_11comp_targetILNS1_3genE8ELNS1_11target_archE1030ELNS1_3gpuE2ELNS1_3repE0EEENS1_30default_config_static_selectorELNS0_4arch9wavefront6targetE1EEEvT1_ ; -- Begin function _ZN7rocprim17ROCPRIM_400000_NS6detail17trampoline_kernelINS0_14default_configENS1_25partition_config_selectorILNS1_17partition_subalgoE5ElNS0_10empty_typeEbEEZZNS1_14partition_implILS5_5ELb0ES3_mN6hipcub16HIPCUB_304000_NS21CountingInputIteratorIllEEPS6_NSA_22TransformInputIteratorIb7NonZeroIsEPslEENS0_5tupleIJPlS6_EEENSJ_IJSD_SD_EEES6_SK_JS6_EEE10hipError_tPvRmT3_T4_T5_T6_T7_T9_mT8_P12ihipStream_tbDpT10_ENKUlT_T0_E_clISt17integral_constantIbLb1EES15_IbLb0EEEEDaS11_S12_EUlS11_E_NS1_11comp_targetILNS1_3genE8ELNS1_11target_archE1030ELNS1_3gpuE2ELNS1_3repE0EEENS1_30default_config_static_selectorELNS0_4arch9wavefront6targetE1EEEvT1_
	.globl	_ZN7rocprim17ROCPRIM_400000_NS6detail17trampoline_kernelINS0_14default_configENS1_25partition_config_selectorILNS1_17partition_subalgoE5ElNS0_10empty_typeEbEEZZNS1_14partition_implILS5_5ELb0ES3_mN6hipcub16HIPCUB_304000_NS21CountingInputIteratorIllEEPS6_NSA_22TransformInputIteratorIb7NonZeroIsEPslEENS0_5tupleIJPlS6_EEENSJ_IJSD_SD_EEES6_SK_JS6_EEE10hipError_tPvRmT3_T4_T5_T6_T7_T9_mT8_P12ihipStream_tbDpT10_ENKUlT_T0_E_clISt17integral_constantIbLb1EES15_IbLb0EEEEDaS11_S12_EUlS11_E_NS1_11comp_targetILNS1_3genE8ELNS1_11target_archE1030ELNS1_3gpuE2ELNS1_3repE0EEENS1_30default_config_static_selectorELNS0_4arch9wavefront6targetE1EEEvT1_
	.p2align	8
	.type	_ZN7rocprim17ROCPRIM_400000_NS6detail17trampoline_kernelINS0_14default_configENS1_25partition_config_selectorILNS1_17partition_subalgoE5ElNS0_10empty_typeEbEEZZNS1_14partition_implILS5_5ELb0ES3_mN6hipcub16HIPCUB_304000_NS21CountingInputIteratorIllEEPS6_NSA_22TransformInputIteratorIb7NonZeroIsEPslEENS0_5tupleIJPlS6_EEENSJ_IJSD_SD_EEES6_SK_JS6_EEE10hipError_tPvRmT3_T4_T5_T6_T7_T9_mT8_P12ihipStream_tbDpT10_ENKUlT_T0_E_clISt17integral_constantIbLb1EES15_IbLb0EEEEDaS11_S12_EUlS11_E_NS1_11comp_targetILNS1_3genE8ELNS1_11target_archE1030ELNS1_3gpuE2ELNS1_3repE0EEENS1_30default_config_static_selectorELNS0_4arch9wavefront6targetE1EEEvT1_,@function
_ZN7rocprim17ROCPRIM_400000_NS6detail17trampoline_kernelINS0_14default_configENS1_25partition_config_selectorILNS1_17partition_subalgoE5ElNS0_10empty_typeEbEEZZNS1_14partition_implILS5_5ELb0ES3_mN6hipcub16HIPCUB_304000_NS21CountingInputIteratorIllEEPS6_NSA_22TransformInputIteratorIb7NonZeroIsEPslEENS0_5tupleIJPlS6_EEENSJ_IJSD_SD_EEES6_SK_JS6_EEE10hipError_tPvRmT3_T4_T5_T6_T7_T9_mT8_P12ihipStream_tbDpT10_ENKUlT_T0_E_clISt17integral_constantIbLb1EES15_IbLb0EEEEDaS11_S12_EUlS11_E_NS1_11comp_targetILNS1_3genE8ELNS1_11target_archE1030ELNS1_3gpuE2ELNS1_3repE0EEENS1_30default_config_static_selectorELNS0_4arch9wavefront6targetE1EEEvT1_: ; @_ZN7rocprim17ROCPRIM_400000_NS6detail17trampoline_kernelINS0_14default_configENS1_25partition_config_selectorILNS1_17partition_subalgoE5ElNS0_10empty_typeEbEEZZNS1_14partition_implILS5_5ELb0ES3_mN6hipcub16HIPCUB_304000_NS21CountingInputIteratorIllEEPS6_NSA_22TransformInputIteratorIb7NonZeroIsEPslEENS0_5tupleIJPlS6_EEENSJ_IJSD_SD_EEES6_SK_JS6_EEE10hipError_tPvRmT3_T4_T5_T6_T7_T9_mT8_P12ihipStream_tbDpT10_ENKUlT_T0_E_clISt17integral_constantIbLb1EES15_IbLb0EEEEDaS11_S12_EUlS11_E_NS1_11comp_targetILNS1_3genE8ELNS1_11target_archE1030ELNS1_3gpuE2ELNS1_3repE0EEENS1_30default_config_static_selectorELNS0_4arch9wavefront6targetE1EEEvT1_
; %bb.0:
	.section	.rodata,"a",@progbits
	.p2align	6, 0x0
	.amdhsa_kernel _ZN7rocprim17ROCPRIM_400000_NS6detail17trampoline_kernelINS0_14default_configENS1_25partition_config_selectorILNS1_17partition_subalgoE5ElNS0_10empty_typeEbEEZZNS1_14partition_implILS5_5ELb0ES3_mN6hipcub16HIPCUB_304000_NS21CountingInputIteratorIllEEPS6_NSA_22TransformInputIteratorIb7NonZeroIsEPslEENS0_5tupleIJPlS6_EEENSJ_IJSD_SD_EEES6_SK_JS6_EEE10hipError_tPvRmT3_T4_T5_T6_T7_T9_mT8_P12ihipStream_tbDpT10_ENKUlT_T0_E_clISt17integral_constantIbLb1EES15_IbLb0EEEEDaS11_S12_EUlS11_E_NS1_11comp_targetILNS1_3genE8ELNS1_11target_archE1030ELNS1_3gpuE2ELNS1_3repE0EEENS1_30default_config_static_selectorELNS0_4arch9wavefront6targetE1EEEvT1_
		.amdhsa_group_segment_fixed_size 0
		.amdhsa_private_segment_fixed_size 0
		.amdhsa_kernarg_size 120
		.amdhsa_user_sgpr_count 2
		.amdhsa_user_sgpr_dispatch_ptr 0
		.amdhsa_user_sgpr_queue_ptr 0
		.amdhsa_user_sgpr_kernarg_segment_ptr 1
		.amdhsa_user_sgpr_dispatch_id 0
		.amdhsa_user_sgpr_kernarg_preload_length 0
		.amdhsa_user_sgpr_kernarg_preload_offset 0
		.amdhsa_user_sgpr_private_segment_size 0
		.amdhsa_uses_dynamic_stack 0
		.amdhsa_enable_private_segment 0
		.amdhsa_system_sgpr_workgroup_id_x 1
		.amdhsa_system_sgpr_workgroup_id_y 0
		.amdhsa_system_sgpr_workgroup_id_z 0
		.amdhsa_system_sgpr_workgroup_info 0
		.amdhsa_system_vgpr_workitem_id 0
		.amdhsa_next_free_vgpr 1
		.amdhsa_next_free_sgpr 0
		.amdhsa_accum_offset 4
		.amdhsa_reserve_vcc 0
		.amdhsa_float_round_mode_32 0
		.amdhsa_float_round_mode_16_64 0
		.amdhsa_float_denorm_mode_32 3
		.amdhsa_float_denorm_mode_16_64 3
		.amdhsa_dx10_clamp 1
		.amdhsa_ieee_mode 1
		.amdhsa_fp16_overflow 0
		.amdhsa_tg_split 0
		.amdhsa_exception_fp_ieee_invalid_op 0
		.amdhsa_exception_fp_denorm_src 0
		.amdhsa_exception_fp_ieee_div_zero 0
		.amdhsa_exception_fp_ieee_overflow 0
		.amdhsa_exception_fp_ieee_underflow 0
		.amdhsa_exception_fp_ieee_inexact 0
		.amdhsa_exception_int_div_zero 0
	.end_amdhsa_kernel
	.section	.text._ZN7rocprim17ROCPRIM_400000_NS6detail17trampoline_kernelINS0_14default_configENS1_25partition_config_selectorILNS1_17partition_subalgoE5ElNS0_10empty_typeEbEEZZNS1_14partition_implILS5_5ELb0ES3_mN6hipcub16HIPCUB_304000_NS21CountingInputIteratorIllEEPS6_NSA_22TransformInputIteratorIb7NonZeroIsEPslEENS0_5tupleIJPlS6_EEENSJ_IJSD_SD_EEES6_SK_JS6_EEE10hipError_tPvRmT3_T4_T5_T6_T7_T9_mT8_P12ihipStream_tbDpT10_ENKUlT_T0_E_clISt17integral_constantIbLb1EES15_IbLb0EEEEDaS11_S12_EUlS11_E_NS1_11comp_targetILNS1_3genE8ELNS1_11target_archE1030ELNS1_3gpuE2ELNS1_3repE0EEENS1_30default_config_static_selectorELNS0_4arch9wavefront6targetE1EEEvT1_,"axG",@progbits,_ZN7rocprim17ROCPRIM_400000_NS6detail17trampoline_kernelINS0_14default_configENS1_25partition_config_selectorILNS1_17partition_subalgoE5ElNS0_10empty_typeEbEEZZNS1_14partition_implILS5_5ELb0ES3_mN6hipcub16HIPCUB_304000_NS21CountingInputIteratorIllEEPS6_NSA_22TransformInputIteratorIb7NonZeroIsEPslEENS0_5tupleIJPlS6_EEENSJ_IJSD_SD_EEES6_SK_JS6_EEE10hipError_tPvRmT3_T4_T5_T6_T7_T9_mT8_P12ihipStream_tbDpT10_ENKUlT_T0_E_clISt17integral_constantIbLb1EES15_IbLb0EEEEDaS11_S12_EUlS11_E_NS1_11comp_targetILNS1_3genE8ELNS1_11target_archE1030ELNS1_3gpuE2ELNS1_3repE0EEENS1_30default_config_static_selectorELNS0_4arch9wavefront6targetE1EEEvT1_,comdat
.Lfunc_end140:
	.size	_ZN7rocprim17ROCPRIM_400000_NS6detail17trampoline_kernelINS0_14default_configENS1_25partition_config_selectorILNS1_17partition_subalgoE5ElNS0_10empty_typeEbEEZZNS1_14partition_implILS5_5ELb0ES3_mN6hipcub16HIPCUB_304000_NS21CountingInputIteratorIllEEPS6_NSA_22TransformInputIteratorIb7NonZeroIsEPslEENS0_5tupleIJPlS6_EEENSJ_IJSD_SD_EEES6_SK_JS6_EEE10hipError_tPvRmT3_T4_T5_T6_T7_T9_mT8_P12ihipStream_tbDpT10_ENKUlT_T0_E_clISt17integral_constantIbLb1EES15_IbLb0EEEEDaS11_S12_EUlS11_E_NS1_11comp_targetILNS1_3genE8ELNS1_11target_archE1030ELNS1_3gpuE2ELNS1_3repE0EEENS1_30default_config_static_selectorELNS0_4arch9wavefront6targetE1EEEvT1_, .Lfunc_end140-_ZN7rocprim17ROCPRIM_400000_NS6detail17trampoline_kernelINS0_14default_configENS1_25partition_config_selectorILNS1_17partition_subalgoE5ElNS0_10empty_typeEbEEZZNS1_14partition_implILS5_5ELb0ES3_mN6hipcub16HIPCUB_304000_NS21CountingInputIteratorIllEEPS6_NSA_22TransformInputIteratorIb7NonZeroIsEPslEENS0_5tupleIJPlS6_EEENSJ_IJSD_SD_EEES6_SK_JS6_EEE10hipError_tPvRmT3_T4_T5_T6_T7_T9_mT8_P12ihipStream_tbDpT10_ENKUlT_T0_E_clISt17integral_constantIbLb1EES15_IbLb0EEEEDaS11_S12_EUlS11_E_NS1_11comp_targetILNS1_3genE8ELNS1_11target_archE1030ELNS1_3gpuE2ELNS1_3repE0EEENS1_30default_config_static_selectorELNS0_4arch9wavefront6targetE1EEEvT1_
                                        ; -- End function
	.set _ZN7rocprim17ROCPRIM_400000_NS6detail17trampoline_kernelINS0_14default_configENS1_25partition_config_selectorILNS1_17partition_subalgoE5ElNS0_10empty_typeEbEEZZNS1_14partition_implILS5_5ELb0ES3_mN6hipcub16HIPCUB_304000_NS21CountingInputIteratorIllEEPS6_NSA_22TransformInputIteratorIb7NonZeroIsEPslEENS0_5tupleIJPlS6_EEENSJ_IJSD_SD_EEES6_SK_JS6_EEE10hipError_tPvRmT3_T4_T5_T6_T7_T9_mT8_P12ihipStream_tbDpT10_ENKUlT_T0_E_clISt17integral_constantIbLb1EES15_IbLb0EEEEDaS11_S12_EUlS11_E_NS1_11comp_targetILNS1_3genE8ELNS1_11target_archE1030ELNS1_3gpuE2ELNS1_3repE0EEENS1_30default_config_static_selectorELNS0_4arch9wavefront6targetE1EEEvT1_.num_vgpr, 0
	.set _ZN7rocprim17ROCPRIM_400000_NS6detail17trampoline_kernelINS0_14default_configENS1_25partition_config_selectorILNS1_17partition_subalgoE5ElNS0_10empty_typeEbEEZZNS1_14partition_implILS5_5ELb0ES3_mN6hipcub16HIPCUB_304000_NS21CountingInputIteratorIllEEPS6_NSA_22TransformInputIteratorIb7NonZeroIsEPslEENS0_5tupleIJPlS6_EEENSJ_IJSD_SD_EEES6_SK_JS6_EEE10hipError_tPvRmT3_T4_T5_T6_T7_T9_mT8_P12ihipStream_tbDpT10_ENKUlT_T0_E_clISt17integral_constantIbLb1EES15_IbLb0EEEEDaS11_S12_EUlS11_E_NS1_11comp_targetILNS1_3genE8ELNS1_11target_archE1030ELNS1_3gpuE2ELNS1_3repE0EEENS1_30default_config_static_selectorELNS0_4arch9wavefront6targetE1EEEvT1_.num_agpr, 0
	.set _ZN7rocprim17ROCPRIM_400000_NS6detail17trampoline_kernelINS0_14default_configENS1_25partition_config_selectorILNS1_17partition_subalgoE5ElNS0_10empty_typeEbEEZZNS1_14partition_implILS5_5ELb0ES3_mN6hipcub16HIPCUB_304000_NS21CountingInputIteratorIllEEPS6_NSA_22TransformInputIteratorIb7NonZeroIsEPslEENS0_5tupleIJPlS6_EEENSJ_IJSD_SD_EEES6_SK_JS6_EEE10hipError_tPvRmT3_T4_T5_T6_T7_T9_mT8_P12ihipStream_tbDpT10_ENKUlT_T0_E_clISt17integral_constantIbLb1EES15_IbLb0EEEEDaS11_S12_EUlS11_E_NS1_11comp_targetILNS1_3genE8ELNS1_11target_archE1030ELNS1_3gpuE2ELNS1_3repE0EEENS1_30default_config_static_selectorELNS0_4arch9wavefront6targetE1EEEvT1_.numbered_sgpr, 0
	.set _ZN7rocprim17ROCPRIM_400000_NS6detail17trampoline_kernelINS0_14default_configENS1_25partition_config_selectorILNS1_17partition_subalgoE5ElNS0_10empty_typeEbEEZZNS1_14partition_implILS5_5ELb0ES3_mN6hipcub16HIPCUB_304000_NS21CountingInputIteratorIllEEPS6_NSA_22TransformInputIteratorIb7NonZeroIsEPslEENS0_5tupleIJPlS6_EEENSJ_IJSD_SD_EEES6_SK_JS6_EEE10hipError_tPvRmT3_T4_T5_T6_T7_T9_mT8_P12ihipStream_tbDpT10_ENKUlT_T0_E_clISt17integral_constantIbLb1EES15_IbLb0EEEEDaS11_S12_EUlS11_E_NS1_11comp_targetILNS1_3genE8ELNS1_11target_archE1030ELNS1_3gpuE2ELNS1_3repE0EEENS1_30default_config_static_selectorELNS0_4arch9wavefront6targetE1EEEvT1_.num_named_barrier, 0
	.set _ZN7rocprim17ROCPRIM_400000_NS6detail17trampoline_kernelINS0_14default_configENS1_25partition_config_selectorILNS1_17partition_subalgoE5ElNS0_10empty_typeEbEEZZNS1_14partition_implILS5_5ELb0ES3_mN6hipcub16HIPCUB_304000_NS21CountingInputIteratorIllEEPS6_NSA_22TransformInputIteratorIb7NonZeroIsEPslEENS0_5tupleIJPlS6_EEENSJ_IJSD_SD_EEES6_SK_JS6_EEE10hipError_tPvRmT3_T4_T5_T6_T7_T9_mT8_P12ihipStream_tbDpT10_ENKUlT_T0_E_clISt17integral_constantIbLb1EES15_IbLb0EEEEDaS11_S12_EUlS11_E_NS1_11comp_targetILNS1_3genE8ELNS1_11target_archE1030ELNS1_3gpuE2ELNS1_3repE0EEENS1_30default_config_static_selectorELNS0_4arch9wavefront6targetE1EEEvT1_.private_seg_size, 0
	.set _ZN7rocprim17ROCPRIM_400000_NS6detail17trampoline_kernelINS0_14default_configENS1_25partition_config_selectorILNS1_17partition_subalgoE5ElNS0_10empty_typeEbEEZZNS1_14partition_implILS5_5ELb0ES3_mN6hipcub16HIPCUB_304000_NS21CountingInputIteratorIllEEPS6_NSA_22TransformInputIteratorIb7NonZeroIsEPslEENS0_5tupleIJPlS6_EEENSJ_IJSD_SD_EEES6_SK_JS6_EEE10hipError_tPvRmT3_T4_T5_T6_T7_T9_mT8_P12ihipStream_tbDpT10_ENKUlT_T0_E_clISt17integral_constantIbLb1EES15_IbLb0EEEEDaS11_S12_EUlS11_E_NS1_11comp_targetILNS1_3genE8ELNS1_11target_archE1030ELNS1_3gpuE2ELNS1_3repE0EEENS1_30default_config_static_selectorELNS0_4arch9wavefront6targetE1EEEvT1_.uses_vcc, 0
	.set _ZN7rocprim17ROCPRIM_400000_NS6detail17trampoline_kernelINS0_14default_configENS1_25partition_config_selectorILNS1_17partition_subalgoE5ElNS0_10empty_typeEbEEZZNS1_14partition_implILS5_5ELb0ES3_mN6hipcub16HIPCUB_304000_NS21CountingInputIteratorIllEEPS6_NSA_22TransformInputIteratorIb7NonZeroIsEPslEENS0_5tupleIJPlS6_EEENSJ_IJSD_SD_EEES6_SK_JS6_EEE10hipError_tPvRmT3_T4_T5_T6_T7_T9_mT8_P12ihipStream_tbDpT10_ENKUlT_T0_E_clISt17integral_constantIbLb1EES15_IbLb0EEEEDaS11_S12_EUlS11_E_NS1_11comp_targetILNS1_3genE8ELNS1_11target_archE1030ELNS1_3gpuE2ELNS1_3repE0EEENS1_30default_config_static_selectorELNS0_4arch9wavefront6targetE1EEEvT1_.uses_flat_scratch, 0
	.set _ZN7rocprim17ROCPRIM_400000_NS6detail17trampoline_kernelINS0_14default_configENS1_25partition_config_selectorILNS1_17partition_subalgoE5ElNS0_10empty_typeEbEEZZNS1_14partition_implILS5_5ELb0ES3_mN6hipcub16HIPCUB_304000_NS21CountingInputIteratorIllEEPS6_NSA_22TransformInputIteratorIb7NonZeroIsEPslEENS0_5tupleIJPlS6_EEENSJ_IJSD_SD_EEES6_SK_JS6_EEE10hipError_tPvRmT3_T4_T5_T6_T7_T9_mT8_P12ihipStream_tbDpT10_ENKUlT_T0_E_clISt17integral_constantIbLb1EES15_IbLb0EEEEDaS11_S12_EUlS11_E_NS1_11comp_targetILNS1_3genE8ELNS1_11target_archE1030ELNS1_3gpuE2ELNS1_3repE0EEENS1_30default_config_static_selectorELNS0_4arch9wavefront6targetE1EEEvT1_.has_dyn_sized_stack, 0
	.set _ZN7rocprim17ROCPRIM_400000_NS6detail17trampoline_kernelINS0_14default_configENS1_25partition_config_selectorILNS1_17partition_subalgoE5ElNS0_10empty_typeEbEEZZNS1_14partition_implILS5_5ELb0ES3_mN6hipcub16HIPCUB_304000_NS21CountingInputIteratorIllEEPS6_NSA_22TransformInputIteratorIb7NonZeroIsEPslEENS0_5tupleIJPlS6_EEENSJ_IJSD_SD_EEES6_SK_JS6_EEE10hipError_tPvRmT3_T4_T5_T6_T7_T9_mT8_P12ihipStream_tbDpT10_ENKUlT_T0_E_clISt17integral_constantIbLb1EES15_IbLb0EEEEDaS11_S12_EUlS11_E_NS1_11comp_targetILNS1_3genE8ELNS1_11target_archE1030ELNS1_3gpuE2ELNS1_3repE0EEENS1_30default_config_static_selectorELNS0_4arch9wavefront6targetE1EEEvT1_.has_recursion, 0
	.set _ZN7rocprim17ROCPRIM_400000_NS6detail17trampoline_kernelINS0_14default_configENS1_25partition_config_selectorILNS1_17partition_subalgoE5ElNS0_10empty_typeEbEEZZNS1_14partition_implILS5_5ELb0ES3_mN6hipcub16HIPCUB_304000_NS21CountingInputIteratorIllEEPS6_NSA_22TransformInputIteratorIb7NonZeroIsEPslEENS0_5tupleIJPlS6_EEENSJ_IJSD_SD_EEES6_SK_JS6_EEE10hipError_tPvRmT3_T4_T5_T6_T7_T9_mT8_P12ihipStream_tbDpT10_ENKUlT_T0_E_clISt17integral_constantIbLb1EES15_IbLb0EEEEDaS11_S12_EUlS11_E_NS1_11comp_targetILNS1_3genE8ELNS1_11target_archE1030ELNS1_3gpuE2ELNS1_3repE0EEENS1_30default_config_static_selectorELNS0_4arch9wavefront6targetE1EEEvT1_.has_indirect_call, 0
	.section	.AMDGPU.csdata,"",@progbits
; Kernel info:
; codeLenInByte = 0
; TotalNumSgprs: 6
; NumVgprs: 0
; NumAgprs: 0
; TotalNumVgprs: 0
; ScratchSize: 0
; MemoryBound: 0
; FloatMode: 240
; IeeeMode: 1
; LDSByteSize: 0 bytes/workgroup (compile time only)
; SGPRBlocks: 0
; VGPRBlocks: 0
; NumSGPRsForWavesPerEU: 6
; NumVGPRsForWavesPerEU: 1
; AccumOffset: 4
; Occupancy: 8
; WaveLimiterHint : 0
; COMPUTE_PGM_RSRC2:SCRATCH_EN: 0
; COMPUTE_PGM_RSRC2:USER_SGPR: 2
; COMPUTE_PGM_RSRC2:TRAP_HANDLER: 0
; COMPUTE_PGM_RSRC2:TGID_X_EN: 1
; COMPUTE_PGM_RSRC2:TGID_Y_EN: 0
; COMPUTE_PGM_RSRC2:TGID_Z_EN: 0
; COMPUTE_PGM_RSRC2:TIDIG_COMP_CNT: 0
; COMPUTE_PGM_RSRC3_GFX90A:ACCUM_OFFSET: 0
; COMPUTE_PGM_RSRC3_GFX90A:TG_SPLIT: 0
	.section	.text._ZN7rocprim17ROCPRIM_400000_NS6detail17trampoline_kernelINS0_14default_configENS1_25partition_config_selectorILNS1_17partition_subalgoE5ElNS0_10empty_typeEbEEZZNS1_14partition_implILS5_5ELb0ES3_mN6hipcub16HIPCUB_304000_NS21CountingInputIteratorIllEEPS6_NSA_22TransformInputIteratorIb7NonZeroIsEPslEENS0_5tupleIJPlS6_EEENSJ_IJSD_SD_EEES6_SK_JS6_EEE10hipError_tPvRmT3_T4_T5_T6_T7_T9_mT8_P12ihipStream_tbDpT10_ENKUlT_T0_E_clISt17integral_constantIbLb0EES15_IbLb1EEEEDaS11_S12_EUlS11_E_NS1_11comp_targetILNS1_3genE0ELNS1_11target_archE4294967295ELNS1_3gpuE0ELNS1_3repE0EEENS1_30default_config_static_selectorELNS0_4arch9wavefront6targetE1EEEvT1_,"axG",@progbits,_ZN7rocprim17ROCPRIM_400000_NS6detail17trampoline_kernelINS0_14default_configENS1_25partition_config_selectorILNS1_17partition_subalgoE5ElNS0_10empty_typeEbEEZZNS1_14partition_implILS5_5ELb0ES3_mN6hipcub16HIPCUB_304000_NS21CountingInputIteratorIllEEPS6_NSA_22TransformInputIteratorIb7NonZeroIsEPslEENS0_5tupleIJPlS6_EEENSJ_IJSD_SD_EEES6_SK_JS6_EEE10hipError_tPvRmT3_T4_T5_T6_T7_T9_mT8_P12ihipStream_tbDpT10_ENKUlT_T0_E_clISt17integral_constantIbLb0EES15_IbLb1EEEEDaS11_S12_EUlS11_E_NS1_11comp_targetILNS1_3genE0ELNS1_11target_archE4294967295ELNS1_3gpuE0ELNS1_3repE0EEENS1_30default_config_static_selectorELNS0_4arch9wavefront6targetE1EEEvT1_,comdat
	.protected	_ZN7rocprim17ROCPRIM_400000_NS6detail17trampoline_kernelINS0_14default_configENS1_25partition_config_selectorILNS1_17partition_subalgoE5ElNS0_10empty_typeEbEEZZNS1_14partition_implILS5_5ELb0ES3_mN6hipcub16HIPCUB_304000_NS21CountingInputIteratorIllEEPS6_NSA_22TransformInputIteratorIb7NonZeroIsEPslEENS0_5tupleIJPlS6_EEENSJ_IJSD_SD_EEES6_SK_JS6_EEE10hipError_tPvRmT3_T4_T5_T6_T7_T9_mT8_P12ihipStream_tbDpT10_ENKUlT_T0_E_clISt17integral_constantIbLb0EES15_IbLb1EEEEDaS11_S12_EUlS11_E_NS1_11comp_targetILNS1_3genE0ELNS1_11target_archE4294967295ELNS1_3gpuE0ELNS1_3repE0EEENS1_30default_config_static_selectorELNS0_4arch9wavefront6targetE1EEEvT1_ ; -- Begin function _ZN7rocprim17ROCPRIM_400000_NS6detail17trampoline_kernelINS0_14default_configENS1_25partition_config_selectorILNS1_17partition_subalgoE5ElNS0_10empty_typeEbEEZZNS1_14partition_implILS5_5ELb0ES3_mN6hipcub16HIPCUB_304000_NS21CountingInputIteratorIllEEPS6_NSA_22TransformInputIteratorIb7NonZeroIsEPslEENS0_5tupleIJPlS6_EEENSJ_IJSD_SD_EEES6_SK_JS6_EEE10hipError_tPvRmT3_T4_T5_T6_T7_T9_mT8_P12ihipStream_tbDpT10_ENKUlT_T0_E_clISt17integral_constantIbLb0EES15_IbLb1EEEEDaS11_S12_EUlS11_E_NS1_11comp_targetILNS1_3genE0ELNS1_11target_archE4294967295ELNS1_3gpuE0ELNS1_3repE0EEENS1_30default_config_static_selectorELNS0_4arch9wavefront6targetE1EEEvT1_
	.globl	_ZN7rocprim17ROCPRIM_400000_NS6detail17trampoline_kernelINS0_14default_configENS1_25partition_config_selectorILNS1_17partition_subalgoE5ElNS0_10empty_typeEbEEZZNS1_14partition_implILS5_5ELb0ES3_mN6hipcub16HIPCUB_304000_NS21CountingInputIteratorIllEEPS6_NSA_22TransformInputIteratorIb7NonZeroIsEPslEENS0_5tupleIJPlS6_EEENSJ_IJSD_SD_EEES6_SK_JS6_EEE10hipError_tPvRmT3_T4_T5_T6_T7_T9_mT8_P12ihipStream_tbDpT10_ENKUlT_T0_E_clISt17integral_constantIbLb0EES15_IbLb1EEEEDaS11_S12_EUlS11_E_NS1_11comp_targetILNS1_3genE0ELNS1_11target_archE4294967295ELNS1_3gpuE0ELNS1_3repE0EEENS1_30default_config_static_selectorELNS0_4arch9wavefront6targetE1EEEvT1_
	.p2align	8
	.type	_ZN7rocprim17ROCPRIM_400000_NS6detail17trampoline_kernelINS0_14default_configENS1_25partition_config_selectorILNS1_17partition_subalgoE5ElNS0_10empty_typeEbEEZZNS1_14partition_implILS5_5ELb0ES3_mN6hipcub16HIPCUB_304000_NS21CountingInputIteratorIllEEPS6_NSA_22TransformInputIteratorIb7NonZeroIsEPslEENS0_5tupleIJPlS6_EEENSJ_IJSD_SD_EEES6_SK_JS6_EEE10hipError_tPvRmT3_T4_T5_T6_T7_T9_mT8_P12ihipStream_tbDpT10_ENKUlT_T0_E_clISt17integral_constantIbLb0EES15_IbLb1EEEEDaS11_S12_EUlS11_E_NS1_11comp_targetILNS1_3genE0ELNS1_11target_archE4294967295ELNS1_3gpuE0ELNS1_3repE0EEENS1_30default_config_static_selectorELNS0_4arch9wavefront6targetE1EEEvT1_,@function
_ZN7rocprim17ROCPRIM_400000_NS6detail17trampoline_kernelINS0_14default_configENS1_25partition_config_selectorILNS1_17partition_subalgoE5ElNS0_10empty_typeEbEEZZNS1_14partition_implILS5_5ELb0ES3_mN6hipcub16HIPCUB_304000_NS21CountingInputIteratorIllEEPS6_NSA_22TransformInputIteratorIb7NonZeroIsEPslEENS0_5tupleIJPlS6_EEENSJ_IJSD_SD_EEES6_SK_JS6_EEE10hipError_tPvRmT3_T4_T5_T6_T7_T9_mT8_P12ihipStream_tbDpT10_ENKUlT_T0_E_clISt17integral_constantIbLb0EES15_IbLb1EEEEDaS11_S12_EUlS11_E_NS1_11comp_targetILNS1_3genE0ELNS1_11target_archE4294967295ELNS1_3gpuE0ELNS1_3repE0EEENS1_30default_config_static_selectorELNS0_4arch9wavefront6targetE1EEEvT1_: ; @_ZN7rocprim17ROCPRIM_400000_NS6detail17trampoline_kernelINS0_14default_configENS1_25partition_config_selectorILNS1_17partition_subalgoE5ElNS0_10empty_typeEbEEZZNS1_14partition_implILS5_5ELb0ES3_mN6hipcub16HIPCUB_304000_NS21CountingInputIteratorIllEEPS6_NSA_22TransformInputIteratorIb7NonZeroIsEPslEENS0_5tupleIJPlS6_EEENSJ_IJSD_SD_EEES6_SK_JS6_EEE10hipError_tPvRmT3_T4_T5_T6_T7_T9_mT8_P12ihipStream_tbDpT10_ENKUlT_T0_E_clISt17integral_constantIbLb0EES15_IbLb1EEEEDaS11_S12_EUlS11_E_NS1_11comp_targetILNS1_3genE0ELNS1_11target_archE4294967295ELNS1_3gpuE0ELNS1_3repE0EEENS1_30default_config_static_selectorELNS0_4arch9wavefront6targetE1EEEvT1_
; %bb.0:
	s_load_dwordx2 s[2:3], s[0:1], 0x20
	s_load_dwordx4 s[12:15], s[0:1], 0x48
	s_load_dwordx2 s[8:9], s[0:1], 0x58
	s_load_dwordx2 s[20:21], s[0:1], 0x68
	v_cmp_eq_u32_e64 s[10:11], 0, v0
	s_and_saveexec_b64 s[4:5], s[10:11]
	s_cbranch_execz .LBB141_4
; %bb.1:
	s_mov_b64 s[16:17], exec
	v_mbcnt_lo_u32_b32 v1, s16, 0
	v_mbcnt_hi_u32_b32 v1, s17, v1
	v_cmp_eq_u32_e32 vcc, 0, v1
                                        ; implicit-def: $vgpr2
	s_and_saveexec_b64 s[6:7], vcc
	s_cbranch_execz .LBB141_3
; %bb.2:
	s_load_dwordx2 s[18:19], s[0:1], 0x78
	s_bcnt1_i32_b64 s16, s[16:17]
	v_mov_b32_e32 v2, 0
	v_mov_b32_e32 v3, s16
	s_waitcnt lgkmcnt(0)
	global_atomic_add v2, v2, v3, s[18:19] sc0
.LBB141_3:
	s_or_b64 exec, exec, s[6:7]
	s_waitcnt vmcnt(0)
	v_readfirstlane_b32 s6, v2
	v_mov_b32_e32 v2, 0
	s_nop 0
	v_add_u32_e32 v1, s6, v1
	ds_write_b32 v2, v1
.LBB141_4:
	s_or_b64 exec, exec, s[4:5]
	v_mov_b32_e32 v1, 0
	s_load_dwordx4 s[4:7], s[0:1], 0x8
	s_load_dwordx2 s[16:17], s[0:1], 0x30
	s_load_dword s18, s[0:1], 0x70
	s_waitcnt lgkmcnt(0)
	s_barrier
	ds_read_b32 v2, v1
	s_waitcnt lgkmcnt(0)
	s_barrier
	global_load_dwordx2 v[10:11], v1, s[14:15]
	s_add_u32 s22, s6, s4
	s_mul_i32 s0, s18, 0x380
	s_addc_u32 s23, s7, s5
	s_add_i32 s1, s0, s6
	s_add_i32 s14, s18, -1
	s_sub_i32 s25, s8, s1
	s_add_u32 s0, s6, s0
	v_readfirstlane_b32 s24, v2
	s_addc_u32 s1, s7, 0
	v_mov_b64_e32 v[2:3], s[0:1]
	s_cmp_eq_u32 s24, s14
	v_cmp_le_u64_e32 vcc, s[8:9], v[2:3]
	s_cselect_b64 s[14:15], -1, 0
	s_and_b64 s[8:9], vcc, s[14:15]
	s_xor_b64 s[18:19], s[8:9], -1
	s_mul_i32 s4, s24, 0x380
	s_mov_b32 s5, 0
	s_mov_b64 s[0:1], -1
	s_and_b64 vcc, exec, s[18:19]
	s_cbranch_vccz .LBB141_6
; %bb.5:
	s_add_u32 s0, s4, s22
	s_addc_u32 s1, 0, s23
	v_lshl_add_u64 v[2:3], s[0:1], 0, v[0:1]
	s_mov_b64 s[0:1], 0x80
	v_lshl_add_u64 v[4:5], v[2:3], 0, s[0:1]
	s_mov_b64 s[0:1], 0x100
	;; [unrolled: 2-line block ×6, first 2 shown]
	v_lshlrev_b32_e32 v1, 3, v0
	v_lshl_add_u64 v[16:17], v[2:3], 0, s[0:1]
	ds_write2st64_b64 v1, v[2:3], v[4:5] offset1:2
	ds_write2st64_b64 v1, v[6:7], v[8:9] offset0:4 offset1:6
	ds_write2st64_b64 v1, v[12:13], v[14:15] offset0:8 offset1:10
	ds_write_b64 v1, v[16:17] offset:6144
	s_waitcnt lgkmcnt(0)
	s_barrier
	s_mov_b64 s[0:1], 0
.LBB141_6:
	s_add_i32 s8, s25, 0x380
	s_andn2_b64 vcc, exec, s[0:1]
	v_cmp_gt_u32_e64 s[0:1], s8, v0
	s_cbranch_vccnz .LBB141_8
; %bb.7:
	s_add_u32 s22, s22, s4
	v_mov_b32_e32 v1, 0
	s_addc_u32 s23, s23, 0
	v_or_b32_e32 v4, 0x80, v0
	v_mov_b32_e32 v5, v1
	v_lshl_add_u64 v[6:7], s[22:23], 0, v[4:5]
	v_cmp_gt_u32_e32 vcc, s8, v4
	v_lshl_add_u64 v[2:3], s[22:23], 0, v[0:1]
	v_cndmask_b32_e64 v3, 0, v3, s[0:1]
	v_cndmask_b32_e32 v5, 0, v7, vcc
	v_cndmask_b32_e32 v4, 0, v6, vcc
	v_or_b32_e32 v6, 0x100, v0
	v_mov_b32_e32 v7, v1
	v_lshl_add_u64 v[8:9], s[22:23], 0, v[6:7]
	v_cmp_gt_u32_e32 vcc, s8, v6
	v_cndmask_b32_e64 v2, 0, v2, s[0:1]
	s_nop 0
	v_cndmask_b32_e32 v7, 0, v9, vcc
	v_cndmask_b32_e32 v6, 0, v8, vcc
	v_or_b32_e32 v8, 0x180, v0
	v_mov_b32_e32 v9, v1
	v_lshl_add_u64 v[12:13], s[22:23], 0, v[8:9]
	v_cmp_gt_u32_e32 vcc, s8, v8
	s_nop 1
	v_cndmask_b32_e32 v9, 0, v13, vcc
	v_cndmask_b32_e32 v8, 0, v12, vcc
	v_or_b32_e32 v12, 0x200, v0
	v_mov_b32_e32 v13, v1
	v_lshl_add_u64 v[14:15], s[22:23], 0, v[12:13]
	v_cmp_gt_u32_e32 vcc, s8, v12
	;; [unrolled: 7-line block ×4, first 2 shown]
	v_lshlrev_b32_e32 v1, 3, v0
	s_nop 0
	v_cndmask_b32_e32 v17, 0, v19, vcc
	v_cndmask_b32_e32 v16, 0, v18, vcc
	ds_write2st64_b64 v1, v[2:3], v[4:5] offset1:2
	ds_write2st64_b64 v1, v[6:7], v[8:9] offset0:4 offset1:6
	ds_write2st64_b64 v1, v[12:13], v[14:15] offset0:8 offset1:10
	ds_write_b64 v1, v[16:17] offset:6144
	s_waitcnt lgkmcnt(0)
	s_barrier
.LBB141_8:
	v_mul_u32_u24_e32 v1, 7, v0
	v_lshlrev_b32_e32 v3, 3, v1
	ds_read2_b64 v[68:71], v3 offset1:1
	ds_read2_b64 v[64:67], v3 offset0:2 offset1:3
	ds_read2_b64 v[60:63], v3 offset0:4 offset1:5
	ds_read_b64 v[12:13], v3 offset:48
	s_lshl_b64 s[0:1], s[6:7], 1
	s_add_u32 s2, s2, s0
	s_addc_u32 s3, s3, s1
	s_lshl_b64 s[0:1], s[4:5], 1
	s_add_u32 s0, s2, s0
	s_addc_u32 s1, s3, s1
	s_mov_b64 s[2:3], -1
	s_and_b64 vcc, exec, s[18:19]
	v_lshlrev_b32_e32 v4, 1, v0
	s_waitcnt lgkmcnt(0)
	s_barrier
	s_cbranch_vccz .LBB141_10
; %bb.9:
	global_load_ushort v1, v4, s[0:1]
	global_load_ushort v2, v4, s[0:1] offset:256
	global_load_ushort v5, v4, s[0:1] offset:512
	;; [unrolled: 1-line block ×6, first 2 shown]
	s_mov_b64 s[2:3], 0
	s_waitcnt vmcnt(6)
	v_cmp_ne_u16_e32 vcc, 0, v1
	s_nop 1
	v_cndmask_b32_e64 v1, 0, 1, vcc
	s_waitcnt vmcnt(5)
	v_cmp_ne_u16_e32 vcc, 0, v2
	s_nop 1
	v_cndmask_b32_e64 v2, 0, 1, vcc
	;; [unrolled: 4-line block ×7, first 2 shown]
	ds_write_b8 v0, v1
	ds_write_b8 v0, v2 offset:128
	ds_write_b8 v0, v5 offset:256
	;; [unrolled: 1-line block ×6, first 2 shown]
	s_waitcnt lgkmcnt(0)
	s_barrier
.LBB141_10:
	s_andn2_b64 vcc, exec, s[2:3]
	s_cbranch_vccnz .LBB141_26
; %bb.11:
	v_mov_b32_e32 v2, 0
	v_cmp_gt_u32_e32 vcc, s8, v0
	s_mov_b32 s4, 0
	v_mov_b32_e32 v1, v2
	v_mov_b32_e32 v5, v2
	s_and_saveexec_b64 s[2:3], vcc
	s_cbranch_execz .LBB141_13
; %bb.12:
	global_load_ushort v1, v4, s[0:1]
	s_waitcnt vmcnt(0)
	v_cmp_ne_u16_e32 vcc, 0, v1
	s_nop 1
	v_cndmask_b32_e64 v2, 0, 1, vcc
	v_mov_b32_e32 v1, s4
	v_mov_b32_e32 v5, v2
.LBB141_13:
	s_or_b64 exec, exec, s[2:3]
	v_or_b32_e32 v6, 0x80, v0
	v_cmp_gt_u32_e32 vcc, s8, v6
	s_and_saveexec_b64 s[2:3], vcc
	s_cbranch_execz .LBB141_15
; %bb.14:
	global_load_ushort v6, v4, s[0:1] offset:256
	v_lshrrev_b32_e32 v7, 24, v2
	v_mov_b32_e32 v9, 8
	v_lshrrev_b32_e32 v8, 16, v2
	s_movk_i32 s4, 0xff
	v_lshlrev_b16_e32 v7, 8, v7
	v_lshrrev_b32_sdwa v9, v9, v1 dst_sel:BYTE_1 dst_unused:UNUSED_PAD src0_sel:DWORD src1_sel:DWORD
	v_bfe_u32 v14, v1, 16, 8
	v_bitop3_b16 v7, v8, v7, s4 bitop3:0xec
	v_bitop3_b16 v1, v1, v9, s4 bitop3:0xec
	v_lshlrev_b32_e32 v7, 16, v7
	v_and_b32_e32 v1, 0xffff, v1
	v_lshl_or_b32 v1, v14, 16, v1
	s_waitcnt vmcnt(0)
	v_cmp_ne_u16_e32 vcc, 0, v6
	s_nop 1
	v_cndmask_b32_e64 v6, 0, 1, vcc
	v_lshlrev_b16_e32 v6, 8, v6
	v_bitop3_b16 v2, v2, v6, s4 bitop3:0xec
	v_or_b32_sdwa v2, v2, v7 dst_sel:DWORD dst_unused:UNUSED_PAD src0_sel:WORD_0 src1_sel:DWORD
.LBB141_15:
	s_or_b64 exec, exec, s[2:3]
	v_or_b32_e32 v6, 0x100, v0
	v_cmp_gt_u32_e32 vcc, s8, v6
	s_and_saveexec_b64 s[2:3], vcc
	s_cbranch_execz .LBB141_17
; %bb.16:
	global_load_ushort v6, v4, s[0:1] offset:512
	v_mov_b32_e32 v8, 8
	v_lshrrev_b32_e32 v7, 24, v2
	s_movk_i32 s5, 0xff
	v_lshrrev_b32_sdwa v8, v8, v1 dst_sel:BYTE_1 dst_unused:UNUSED_PAD src0_sel:DWORD src1_sel:DWORD
	s_mov_b32 s4, 0xc0c0104
	v_bfe_u32 v9, v1, 16, 8
	v_lshlrev_b16_e32 v7, 8, v7
	v_bitop3_b16 v1, v1, v8, s5 bitop3:0xec
	v_perm_b32 v2, v2, v2, s4
	v_and_b32_e32 v1, 0xffff, v1
	v_lshl_or_b32 v1, v9, 16, v1
	s_waitcnt vmcnt(0)
	v_cmp_ne_u16_e32 vcc, 0, v6
	s_nop 1
	v_cndmask_b32_e64 v6, 0, 1, vcc
	v_or_b32_sdwa v6, v6, v7 dst_sel:WORD_1 dst_unused:UNUSED_PAD src0_sel:DWORD src1_sel:DWORD
	s_nop 0
	v_or_b32_e32 v2, v2, v6
.LBB141_17:
	s_or_b64 exec, exec, s[2:3]
	v_or_b32_e32 v6, 0x180, v0
	v_cmp_gt_u32_e32 vcc, s8, v6
	s_and_saveexec_b64 s[2:3], vcc
	s_cbranch_execz .LBB141_19
; %bb.18:
	global_load_ushort v6, v4, s[0:1] offset:768
	v_mov_b32_e32 v8, 8
	v_lshrrev_b32_e32 v7, 16, v2
	s_movk_i32 s4, 0xff
	v_lshrrev_b32_sdwa v8, v8, v1 dst_sel:BYTE_1 dst_unused:UNUSED_PAD src0_sel:DWORD src1_sel:DWORD
	s_mov_b32 s5, 0xc0c0104
	v_bfe_u32 v9, v1, 16, 8
	v_bitop3_b16 v1, v1, v8, s4 bitop3:0xec
	v_perm_b32 v2, v2, v2, s5
	v_and_b32_e32 v1, 0xffff, v1
	v_lshl_or_b32 v1, v9, 16, v1
	s_waitcnt vmcnt(0)
	v_cmp_ne_u16_e32 vcc, 0, v6
	s_nop 1
	v_cndmask_b32_e64 v6, 0, 1, vcc
	v_lshlrev_b16_e32 v6, 8, v6
	v_bitop3_b16 v6, v7, v6, s4 bitop3:0xec
	v_lshlrev_b32_e32 v6, 16, v6
	v_or_b32_e32 v2, v2, v6
.LBB141_19:
	s_or_b64 exec, exec, s[2:3]
	v_or_b32_e32 v6, 0x200, v0
	v_cmp_gt_u32_e32 vcc, s8, v6
	s_and_saveexec_b64 s[2:3], vcc
	s_cbranch_execz .LBB141_21
; %bb.20:
	global_load_ushort v6, v4, s[0:1] offset:1024
	v_mov_b32_e32 v7, 8
	v_bfe_u32 v8, v1, 16, 8
	v_lshrrev_b32_sdwa v1, v7, v1 dst_sel:BYTE_1 dst_unused:UNUSED_PAD src0_sel:DWORD src1_sel:DWORD
	s_mov_b32 s4, 0x3020104
	v_perm_b32 v2, v2, v2, s4
	s_waitcnt vmcnt(0)
	v_cmp_ne_u16_e32 vcc, 0, v6
	s_nop 1
	v_cndmask_b32_e64 v6, 0, 1, vcc
	v_or_b32_e32 v1, v6, v1
	v_and_b32_e32 v1, 0xffff, v1
	v_lshl_or_b32 v1, v8, 16, v1
.LBB141_21:
	s_or_b64 exec, exec, s[2:3]
	v_or_b32_e32 v6, 0x280, v0
	v_cmp_gt_u32_e32 vcc, s8, v6
	s_and_saveexec_b64 s[2:3], vcc
	s_cbranch_execz .LBB141_23
; %bb.22:
	global_load_ushort v6, v4, s[0:1] offset:1280
	s_movk_i32 s4, 0xff
	v_bfe_u32 v7, v1, 16, 8
	s_mov_b32 s5, 0x3020104
	v_perm_b32 v2, v2, v2, s5
	s_waitcnt vmcnt(0)
	v_cmp_ne_u16_e32 vcc, 0, v6
	s_nop 1
	v_cndmask_b32_e64 v6, 0, 1, vcc
	v_lshlrev_b16_e32 v6, 8, v6
	v_bitop3_b16 v1, v1, v6, s4 bitop3:0xec
	v_and_b32_e32 v1, 0xffff, v1
	v_lshl_or_b32 v1, v7, 16, v1
.LBB141_23:
	s_or_b64 exec, exec, s[2:3]
	v_or_b32_e32 v6, 0x300, v0
	v_cmp_gt_u32_e32 vcc, s8, v6
	s_and_saveexec_b64 s[2:3], vcc
	s_cbranch_execz .LBB141_25
; %bb.24:
	global_load_ushort v4, v4, s[0:1] offset:1536
	v_mov_b32_e32 v6, 8
	s_movk_i32 s0, 0xff
	v_lshrrev_b32_sdwa v6, v6, v1 dst_sel:BYTE_1 dst_unused:UNUSED_PAD src0_sel:DWORD src1_sel:DWORD
	s_mov_b32 s1, 0x3020104
	v_bitop3_b16 v1, v1, v6, s0 bitop3:0xec
	v_and_b32_e32 v1, 0xffff, v1
	v_perm_b32 v2, v2, v2, s1
	s_waitcnt vmcnt(0)
	v_cmp_ne_u16_e32 vcc, 0, v4
	s_nop 1
	v_cndmask_b32_e64 v4, 0, 1, vcc
	v_lshl_or_b32 v1, v4, 16, v1
.LBB141_25:
	s_or_b64 exec, exec, s[2:3]
	v_lshrrev_b32_e32 v4, 8, v2
	ds_write_b8 v0, v5
	ds_write_b8 v0, v4 offset:128
	ds_write_b8_d16_hi v0, v2 offset:256
	v_lshrrev_b32_e32 v2, 24, v2
	ds_write_b8 v0, v2 offset:384
	ds_write_b8 v0, v1 offset:512
	v_lshrrev_b32_e32 v2, 8, v1
	ds_write_b8 v0, v2 offset:640
	ds_write_b8_d16_hi v0, v1 offset:768
	s_waitcnt lgkmcnt(0)
	s_barrier
.LBB141_26:
	s_movk_i32 s0, 0xffcf
	v_mad_i32_i24 v1, v0, s0, v3
	ds_read_u8 v2, v1
	ds_read_u8 v3, v1 offset:1
	ds_read_u8 v4, v1 offset:2
	;; [unrolled: 1-line block ×6, first 2 shown]
	s_waitcnt lgkmcnt(6)
	v_and_b32_e32 v26, 1, v2
	v_mov_b32_e32 v27, 0
	s_waitcnt lgkmcnt(5)
	v_and_b32_e32 v24, 1, v3
	s_waitcnt lgkmcnt(4)
	v_and_b32_e32 v22, 1, v4
	;; [unrolled: 2-line block ×3, first 2 shown]
	v_mov_b32_e32 v21, v27
	v_add3_u32 v2, v24, v26, v22
	v_mov_b32_e32 v3, v27
	s_waitcnt lgkmcnt(2)
	v_and_b32_e32 v18, 1, v6
	v_mov_b32_e32 v19, v27
	v_lshl_add_u64 v[2:3], v[2:3], 0, v[20:21]
	s_waitcnt lgkmcnt(1)
	v_and_b32_e32 v16, 1, v7
	v_mov_b32_e32 v17, v27
	v_lshl_add_u64 v[2:3], v[2:3], 0, v[18:19]
	;; [unrolled: 4-line block ×3, first 2 shown]
	v_lshl_add_u64 v[28:29], v[2:3], 0, v[14:15]
	v_mbcnt_lo_u32_b32 v2, -1, 0
	v_mbcnt_hi_u32_b32 v15, -1, v2
	v_and_b32_e32 v41, 15, v15
	s_cmp_lg_u32 s24, 0
	v_mov_b32_e32 v25, v27
	v_mov_b32_e32 v23, v27
	v_cmp_eq_u32_e64 s[4:5], 0, v41
	v_cmp_lt_u32_e64 s[2:3], 1, v41
	v_cmp_lt_u32_e64 s[0:1], 3, v41
	;; [unrolled: 1-line block ×3, first 2 shown]
	v_and_b32_e32 v40, 16, v15
	v_cmp_eq_u32_e64 s[6:7], 0, v15
	v_cmp_ne_u32_e32 vcc, 0, v15
	s_barrier
	s_cbranch_scc0 .LBB141_54
; %bb.27:
	v_mov_b32_dpp v2, v28 row_shr:1 row_mask:0xf bank_mask:0xf
	v_mov_b32_e32 v3, v27
	v_mov_b32_dpp v5, v27 row_shr:1 row_mask:0xf bank_mask:0xf
	v_mov_b32_e32 v4, v27
	v_lshl_add_u64 v[2:3], v[28:29], 0, v[2:3]
	v_lshl_add_u64 v[4:5], v[4:5], 0, v[2:3]
	v_cndmask_b32_e64 v6, v5, 0, s[4:5]
	v_cndmask_b32_e64 v7, v2, v28, s[4:5]
	v_cndmask_b32_e64 v3, v5, v29, s[4:5]
	v_cndmask_b32_e64 v2, v4, v28, s[4:5]
	v_mov_b32_dpp v4, v7 row_shr:2 row_mask:0xf bank_mask:0xf
	v_mov_b32_dpp v5, v6 row_shr:2 row_mask:0xf bank_mask:0xf
	v_lshl_add_u64 v[4:5], v[4:5], 0, v[2:3]
	v_cndmask_b32_e64 v6, v6, v5, s[2:3]
	v_cndmask_b32_e64 v7, v7, v4, s[2:3]
	v_cndmask_b32_e64 v3, v3, v5, s[2:3]
	v_cndmask_b32_e64 v2, v2, v4, s[2:3]
	v_mov_b32_dpp v4, v7 row_shr:4 row_mask:0xf bank_mask:0xf
	v_mov_b32_dpp v5, v6 row_shr:4 row_mask:0xf bank_mask:0xf
	;; [unrolled: 7-line block ×3, first 2 shown]
	v_lshl_add_u64 v[4:5], v[4:5], 0, v[2:3]
	v_cndmask_b32_e64 v8, v6, v5, s[8:9]
	v_cndmask_b32_e64 v9, v7, v4, s[8:9]
	;; [unrolled: 1-line block ×4, first 2 shown]
	v_mov_b32_dpp v2, v9 row_bcast:15 row_mask:0xf bank_mask:0xf
	v_mov_b32_dpp v3, v8 row_bcast:15 row_mask:0xf bank_mask:0xf
	v_lshl_add_u64 v[6:7], v[2:3], 0, v[4:5]
	v_cmp_eq_u32_e64 s[0:1], 0, v40
	s_nop 1
	v_cndmask_b32_e64 v2, v7, v8, s[0:1]
	v_cndmask_b32_e64 v3, v6, v9, s[0:1]
	s_nop 0
	v_mov_b32_dpp v9, v2 row_bcast:31 row_mask:0xf bank_mask:0xf
	v_mov_b32_dpp v8, v3 row_bcast:31 row_mask:0xf bank_mask:0xf
	v_mov_b64_e32 v[2:3], v[28:29]
	s_and_saveexec_b64 s[8:9], vcc
; %bb.28:
	v_cmp_lt_u32_e32 vcc, 31, v15
	v_cndmask_b32_e64 v3, v7, v5, s[0:1]
	v_cndmask_b32_e64 v2, v6, v4, s[0:1]
	v_cndmask_b32_e32 v5, 0, v9, vcc
	v_cndmask_b32_e32 v4, 0, v8, vcc
	v_lshl_add_u64 v[2:3], v[4:5], 0, v[2:3]
; %bb.29:
	s_or_b64 exec, exec, s[8:9]
	v_or_b32_e32 v5, 63, v0
	v_lshrrev_b32_e32 v4, 6, v0
	v_cmp_eq_u32_e32 vcc, v0, v5
	s_and_saveexec_b64 s[0:1], vcc
; %bb.30:
	v_lshlrev_b32_e32 v5, 3, v4
	ds_write_b64 v5, v[2:3]
; %bb.31:
	s_or_b64 exec, exec, s[0:1]
	v_cmp_gt_u32_e32 vcc, 2, v0
	s_waitcnt lgkmcnt(0)
	s_barrier
	s_and_saveexec_b64 s[0:1], vcc
	s_cbranch_execz .LBB141_33
; %bb.32:
	v_lshlrev_b32_e32 v5, 3, v0
	ds_read_b64 v[6:7], v5
	v_and_b32_e32 v8, 1, v15
	v_cmp_eq_u32_e32 vcc, 1, v8
	s_waitcnt lgkmcnt(0)
	v_mov_b32_dpp v30, v6 row_shr:1 row_mask:0xf bank_mask:0xf
	v_mov_b32_dpp v9, v7 row_shr:1 row_mask:0xf bank_mask:0xf
	v_cndmask_b32_e32 v9, 0, v9, vcc
	v_cndmask_b32_e32 v8, 0, v30, vcc
	v_lshl_add_u64 v[6:7], v[8:9], 0, v[6:7]
	ds_write_b64 v5, v[6:7]
.LBB141_33:
	s_or_b64 exec, exec, s[0:1]
	v_cmp_gt_u32_e32 vcc, 64, v0
	v_cmp_lt_u32_e64 s[0:1], 63, v0
	s_waitcnt lgkmcnt(0)
	s_barrier
                                        ; implicit-def: $vgpr30_vgpr31
	s_and_saveexec_b64 s[8:9], s[0:1]
	s_cbranch_execz .LBB141_35
; %bb.34:
	v_lshl_add_u32 v4, v4, 3, -8
	ds_read_b64 v[30:31], v4
	s_waitcnt lgkmcnt(0)
	v_lshl_add_u64 v[2:3], v[30:31], 0, v[2:3]
.LBB141_35:
	s_or_b64 exec, exec, s[8:9]
	v_add_u32_e32 v4, -1, v15
	v_and_b32_e32 v5, 64, v15
	v_cmp_lt_i32_e64 s[0:1], v4, v5
	s_nop 1
	v_cndmask_b32_e64 v4, v4, v15, s[0:1]
	v_lshlrev_b32_e32 v4, 2, v4
	ds_bpermute_b32 v42, v4, v2
	ds_bpermute_b32 v43, v4, v3
	s_and_saveexec_b64 s[22:23], vcc
	s_cbranch_execz .LBB141_59
; %bb.36:
	v_mov_b32_e32 v5, 0
	ds_read_b64 v[2:3], v5 offset:8
	s_and_saveexec_b64 s[0:1], s[6:7]
	s_cbranch_execz .LBB141_38
; %bb.37:
	s_add_i32 s8, s24, 64
	s_mov_b32 s9, 0
	s_lshl_b64 s[8:9], s[8:9], 4
	s_add_u32 s8, s20, s8
	s_addc_u32 s9, s21, s9
	v_mov_b32_e32 v4, 1
	v_mov_b64_e32 v[6:7], s[8:9]
	s_waitcnt lgkmcnt(0)
	;;#ASMSTART
	global_store_dwordx4 v[6:7], v[2:5] off sc1	
s_waitcnt vmcnt(0)
	;;#ASMEND
.LBB141_38:
	s_or_b64 exec, exec, s[0:1]
	v_xad_u32 v32, v15, -1, s24
	v_add_u32_e32 v4, 64, v32
	v_lshl_add_u64 v[34:35], v[4:5], 4, s[20:21]
	;;#ASMSTART
	global_load_dwordx4 v[6:9], v[34:35] off sc1	
s_waitcnt vmcnt(0)
	;;#ASMEND
	s_nop 0
	v_cmp_eq_u16_sdwa s[8:9], v8, v5 src0_sel:BYTE_0 src1_sel:DWORD
	s_and_saveexec_b64 s[0:1], s[8:9]
	s_cbranch_execz .LBB141_42
; %bb.39:
	s_mov_b64 s[8:9], 0
	v_mov_b32_e32 v4, 0
.LBB141_40:                             ; =>This Inner Loop Header: Depth=1
	;;#ASMSTART
	global_load_dwordx4 v[6:9], v[34:35] off sc1	
s_waitcnt vmcnt(0)
	;;#ASMEND
	s_nop 0
	v_cmp_ne_u16_sdwa s[26:27], v8, v4 src0_sel:BYTE_0 src1_sel:DWORD
	s_or_b64 s[8:9], s[26:27], s[8:9]
	s_andn2_b64 exec, exec, s[8:9]
	s_cbranch_execnz .LBB141_40
; %bb.41:
	s_or_b64 exec, exec, s[8:9]
.LBB141_42:
	s_or_b64 exec, exec, s[0:1]
	v_mov_b32_e32 v44, 2
	v_cmp_eq_u16_sdwa s[0:1], v8, v44 src0_sel:BYTE_0 src1_sel:DWORD
	v_lshlrev_b64 v[34:35], v15, -1
	v_and_b32_e32 v45, 63, v15
	v_and_b32_e32 v4, s1, v35
	v_or_b32_e32 v4, 0x80000000, v4
	v_and_b32_e32 v5, s0, v34
	v_ffbl_b32_e32 v4, v4
	v_add_u32_e32 v4, 32, v4
	v_ffbl_b32_e32 v5, v5
	v_cmp_ne_u32_e32 vcc, 63, v45
	v_min_u32_e32 v9, v5, v4
	v_mov_b32_e32 v33, 0
	v_addc_co_u32_e32 v4, vcc, 0, v15, vcc
	v_lshlrev_b32_e32 v46, 2, v4
	ds_bpermute_b32 v4, v46, v6
	ds_bpermute_b32 v37, v46, v7
	v_mov_b32_e32 v5, v33
	v_mov_b32_e32 v36, v33
	v_cmp_lt_u32_e64 s[0:1], v45, v9
	s_waitcnt lgkmcnt(1)
	v_lshl_add_u64 v[4:5], v[6:7], 0, v[4:5]
	v_cmp_gt_u32_e32 vcc, 62, v45
	s_waitcnt lgkmcnt(0)
	v_lshl_add_u64 v[36:37], v[36:37], 0, v[4:5]
	v_cndmask_b32_e64 v49, v6, v4, s[0:1]
	v_cndmask_b32_e64 v4, 0, 2, vcc
	v_cndmask_b32_e64 v5, v7, v37, s[0:1]
	v_add_lshl_u32 v47, v4, v15, 2
	ds_bpermute_b32 v38, v47, v49
	ds_bpermute_b32 v39, v47, v5
	v_cndmask_b32_e64 v4, v6, v36, s[0:1]
	v_add_u32_e32 v48, 2, v45
	v_cmp_gt_u32_e32 vcc, v48, v9
	v_cmp_gt_u32_e64 s[8:9], 60, v45
	s_waitcnt lgkmcnt(0)
	v_lshl_add_u64 v[36:37], v[38:39], 0, v[4:5]
	v_cndmask_b32_e32 v5, v37, v5, vcc
	v_cndmask_b32_e64 v37, 0, 4, s[8:9]
	v_cndmask_b32_e32 v51, v36, v49, vcc
	v_add_lshl_u32 v49, v37, v15, 2
	ds_bpermute_b32 v38, v49, v51
	ds_bpermute_b32 v39, v49, v5
	v_cndmask_b32_e32 v4, v36, v4, vcc
	v_add_u32_e32 v50, 4, v45
	v_cmp_gt_u32_e32 vcc, v50, v9
	v_cmp_gt_u32_e64 s[8:9], 56, v45
	s_waitcnt lgkmcnt(0)
	v_lshl_add_u64 v[36:37], v[38:39], 0, v[4:5]
	v_cndmask_b32_e32 v5, v37, v5, vcc
	v_cndmask_b32_e64 v37, 0, 8, s[8:9]
	v_cndmask_b32_e32 v53, v36, v51, vcc
	v_add_lshl_u32 v51, v37, v15, 2
	ds_bpermute_b32 v38, v51, v53
	ds_bpermute_b32 v39, v51, v5
	v_cndmask_b32_e32 v4, v36, v4, vcc
	;; [unrolled: 12-line block ×3, first 2 shown]
	v_add_u32_e32 v54, 16, v45
	v_cmp_gt_u32_e32 vcc, v54, v9
	v_add_u32_e32 v56, 32, v45
	s_waitcnt lgkmcnt(0)
	v_lshl_add_u64 v[36:37], v[38:39], 0, v[4:5]
	v_cndmask_b32_e32 v38, v36, v55, vcc
	v_mov_b32_e32 v55, 0x80
	v_cndmask_b32_e32 v39, v37, v5, vcc
	v_lshl_or_b32 v55, v15, 2, v55
	ds_bpermute_b32 v38, v55, v38
	ds_bpermute_b32 v39, v55, v39
	s_and_saveexec_b64 s[8:9], s[0:1]
	s_cbranch_execz .LBB141_44
; %bb.43:
	v_cndmask_b32_e32 v5, v37, v5, vcc
	v_cndmask_b32_e32 v4, v36, v4, vcc
	v_cmp_le_u32_e32 vcc, v56, v9
	s_waitcnt lgkmcnt(0)
	s_nop 0
	v_cndmask_b32_e32 v7, 0, v39, vcc
	v_cndmask_b32_e32 v6, 0, v38, vcc
	v_lshl_add_u64 v[6:7], v[6:7], 0, v[4:5]
.LBB141_44:
	s_or_b64 exec, exec, s[8:9]
	s_branch .LBB141_47
.LBB141_45:                             ;   in Loop: Header=BB141_47 Depth=1
	s_or_b64 exec, exec, s[8:9]
	v_subrev_u32_e32 v32, 64, v32
	v_lshl_add_u64 v[6:7], v[6:7], 0, v[4:5]
	s_mov_b64 s[0:1], 0
.LBB141_46:                             ;   in Loop: Header=BB141_47 Depth=1
	s_and_b64 vcc, exec, s[0:1]
	s_cbranch_vccnz .LBB141_55
.LBB141_47:                             ; =>This Loop Header: Depth=1
                                        ;     Child Loop BB141_50 Depth 2
	v_cmp_ne_u16_sdwa s[0:1], v8, v44 src0_sel:BYTE_0 src1_sel:DWORD
	v_mov_b64_e32 v[4:5], v[6:7]
	s_cmp_lg_u64 s[0:1], exec
	s_mov_b64 s[0:1], -1
                                        ; implicit-def: $vgpr6_vgpr7
	s_cbranch_scc1 .LBB141_46
; %bb.48:                               ;   in Loop: Header=BB141_47 Depth=1
	v_lshl_add_u64 v[36:37], v[32:33], 4, s[20:21]
	;;#ASMSTART
	global_load_dwordx4 v[6:9], v[36:37] off sc1	
s_waitcnt vmcnt(0)
	;;#ASMEND
	s_nop 0
	v_cmp_eq_u16_sdwa s[8:9], v8, v33 src0_sel:BYTE_0 src1_sel:DWORD
	s_and_saveexec_b64 s[0:1], s[8:9]
	s_cbranch_execz .LBB141_52
; %bb.49:                               ;   in Loop: Header=BB141_47 Depth=1
	s_mov_b64 s[8:9], 0
.LBB141_50:                             ;   Parent Loop BB141_47 Depth=1
                                        ; =>  This Inner Loop Header: Depth=2
	;;#ASMSTART
	global_load_dwordx4 v[6:9], v[36:37] off sc1	
s_waitcnt vmcnt(0)
	;;#ASMEND
	s_nop 0
	v_cmp_ne_u16_sdwa s[26:27], v8, v33 src0_sel:BYTE_0 src1_sel:DWORD
	s_or_b64 s[8:9], s[26:27], s[8:9]
	s_andn2_b64 exec, exec, s[8:9]
	s_cbranch_execnz .LBB141_50
; %bb.51:                               ;   in Loop: Header=BB141_47 Depth=1
	s_or_b64 exec, exec, s[8:9]
.LBB141_52:                             ;   in Loop: Header=BB141_47 Depth=1
	s_or_b64 exec, exec, s[0:1]
	v_cmp_eq_u16_sdwa s[0:1], v8, v44 src0_sel:BYTE_0 src1_sel:DWORD
	s_waitcnt lgkmcnt(0)
	ds_bpermute_b32 v39, v46, v7
	v_mov_b32_e32 v38, v33
	v_and_b32_e32 v36, s0, v34
	v_and_b32_e32 v9, s1, v35
	v_ffbl_b32_e32 v37, v36
	ds_bpermute_b32 v36, v46, v6
	v_or_b32_e32 v9, 0x80000000, v9
	v_ffbl_b32_e32 v9, v9
	v_add_u32_e32 v9, 32, v9
	v_min_u32_e32 v9, v37, v9
	v_mov_b32_e32 v37, v33
	s_waitcnt lgkmcnt(0)
	v_lshl_add_u64 v[36:37], v[6:7], 0, v[36:37]
	v_lshl_add_u64 v[38:39], v[38:39], 0, v[36:37]
	v_cmp_lt_u32_e64 s[0:1], v45, v9
	v_cmp_gt_u32_e32 vcc, v48, v9
	s_nop 0
	v_cndmask_b32_e64 v57, v6, v36, s[0:1]
	v_cndmask_b32_e64 v37, v7, v39, s[0:1]
	ds_bpermute_b32 v58, v47, v57
	ds_bpermute_b32 v59, v47, v37
	v_cndmask_b32_e64 v36, v6, v38, s[0:1]
	s_waitcnt lgkmcnt(0)
	v_lshl_add_u64 v[38:39], v[58:59], 0, v[36:37]
	v_cndmask_b32_e32 v57, v38, v57, vcc
	v_cndmask_b32_e32 v37, v39, v37, vcc
	ds_bpermute_b32 v58, v49, v57
	ds_bpermute_b32 v59, v49, v37
	v_cndmask_b32_e32 v36, v38, v36, vcc
	v_cmp_gt_u32_e32 vcc, v50, v9
	s_waitcnt lgkmcnt(0)
	v_lshl_add_u64 v[38:39], v[58:59], 0, v[36:37]
	v_cndmask_b32_e32 v57, v38, v57, vcc
	v_cndmask_b32_e32 v37, v39, v37, vcc
	ds_bpermute_b32 v58, v51, v57
	ds_bpermute_b32 v59, v51, v37
	v_cndmask_b32_e32 v36, v38, v36, vcc
	v_cmp_gt_u32_e32 vcc, v52, v9
	;; [unrolled: 8-line block ×3, first 2 shown]
	s_waitcnt lgkmcnt(0)
	v_lshl_add_u64 v[38:39], v[58:59], 0, v[36:37]
	v_cndmask_b32_e32 v58, v39, v37, vcc
	v_cndmask_b32_e32 v57, v38, v57, vcc
	ds_bpermute_b32 v57, v55, v57
	ds_bpermute_b32 v58, v55, v58
	s_and_saveexec_b64 s[8:9], s[0:1]
	s_cbranch_execz .LBB141_45
; %bb.53:                               ;   in Loop: Header=BB141_47 Depth=1
	v_cndmask_b32_e32 v7, v39, v37, vcc
	v_cndmask_b32_e32 v6, v38, v36, vcc
	v_cmp_le_u32_e32 vcc, v56, v9
	s_waitcnt lgkmcnt(0)
	s_nop 0
	v_cndmask_b32_e32 v37, 0, v58, vcc
	v_cndmask_b32_e32 v36, 0, v57, vcc
	v_lshl_add_u64 v[6:7], v[36:37], 0, v[6:7]
	s_branch .LBB141_45
.LBB141_54:
                                        ; implicit-def: $vgpr6_vgpr7
                                        ; implicit-def: $vgpr8_vgpr9
                                        ; implicit-def: $vgpr30_vgpr31
                                        ; implicit-def: $vgpr32_vgpr33
                                        ; implicit-def: $vgpr34_vgpr35
                                        ; implicit-def: $vgpr36_vgpr37
                                        ; implicit-def: $vgpr38_vgpr39
                                        ; implicit-def: $vgpr4_vgpr5
	s_cbranch_execnz .LBB141_60
	s_branch .LBB141_71
.LBB141_55:
	s_and_saveexec_b64 s[0:1], s[6:7]
	s_cbranch_execz .LBB141_57
; %bb.56:
	s_add_i32 s8, s24, 64
	s_mov_b32 s9, 0
	s_lshl_b64 s[8:9], s[8:9], 4
	s_add_u32 s8, s20, s8
	s_addc_u32 s9, s21, s9
	v_lshl_add_u64 v[6:7], v[4:5], 0, v[2:3]
	v_mov_b32_e32 v8, 2
	v_mov_b32_e32 v9, 0
	v_mov_b64_e32 v[32:33], s[8:9]
	;;#ASMSTART
	global_store_dwordx4 v[32:33], v[6:9] off sc1	
s_waitcnt vmcnt(0)
	;;#ASMEND
	ds_write_b128 v9, v[2:5] offset:7168
.LBB141_57:
	s_or_b64 exec, exec, s[0:1]
	s_and_b64 exec, exec, s[10:11]
; %bb.58:
	v_mov_b32_e32 v2, 0
	ds_write_b64 v2, v[4:5] offset:8
.LBB141_59:
	s_or_b64 exec, exec, s[22:23]
	v_mov_b32_e32 v6, 0
	s_waitcnt lgkmcnt(0)
	s_barrier
	ds_read_b64 v[2:3], v6 offset:8
	v_cndmask_b32_e64 v4, v42, v30, s[6:7]
	v_cndmask_b32_e64 v5, v43, v31, s[6:7]
	;; [unrolled: 1-line block ×4, first 2 shown]
	s_waitcnt lgkmcnt(0)
	v_lshl_add_u64 v[38:39], v[2:3], 0, v[4:5]
	v_lshl_add_u64 v[36:37], v[38:39], 0, v[26:27]
	;; [unrolled: 1-line block ×3, first 2 shown]
	s_barrier
	ds_read_b128 v[2:5], v6 offset:7168
	v_lshl_add_u64 v[32:33], v[34:35], 0, v[22:23]
	v_lshl_add_u64 v[30:31], v[32:33], 0, v[20:21]
	;; [unrolled: 1-line block ×4, first 2 shown]
	s_branch .LBB141_71
.LBB141_60:
	s_waitcnt lgkmcnt(0)
	v_mov_b32_e32 v4, 0
	v_mov_b32_dpp v2, v28 row_shr:1 row_mask:0xf bank_mask:0xf
	v_mov_b32_e32 v3, v4
	v_mov_b32_dpp v5, v4 row_shr:1 row_mask:0xf bank_mask:0xf
	v_lshl_add_u64 v[2:3], v[28:29], 0, v[2:3]
	v_lshl_add_u64 v[4:5], v[4:5], 0, v[2:3]
	v_cndmask_b32_e64 v6, v5, 0, s[4:5]
	v_cndmask_b32_e64 v7, v2, v28, s[4:5]
	;; [unrolled: 1-line block ×4, first 2 shown]
	v_mov_b32_dpp v4, v7 row_shr:2 row_mask:0xf bank_mask:0xf
	v_mov_b32_dpp v5, v6 row_shr:2 row_mask:0xf bank_mask:0xf
	v_lshl_add_u64 v[4:5], v[4:5], 0, v[2:3]
	v_cndmask_b32_e64 v6, v6, v5, s[2:3]
	v_cndmask_b32_e64 v7, v7, v4, s[2:3]
	;; [unrolled: 1-line block ×4, first 2 shown]
	v_mov_b32_dpp v4, v7 row_shr:4 row_mask:0xf bank_mask:0xf
	v_mov_b32_dpp v5, v6 row_shr:4 row_mask:0xf bank_mask:0xf
	v_lshl_add_u64 v[4:5], v[4:5], 0, v[2:3]
	v_cmp_lt_u32_e32 vcc, 3, v41
	v_cmp_eq_u32_e64 s[0:1], 0, v40
	v_cmp_ne_u32_e64 s[2:3], 0, v15
	v_cndmask_b32_e32 v6, v6, v5, vcc
	v_cndmask_b32_e32 v7, v7, v4, vcc
	;; [unrolled: 1-line block ×4, first 2 shown]
	v_mov_b32_dpp v4, v7 row_shr:8 row_mask:0xf bank_mask:0xf
	v_mov_b32_dpp v5, v6 row_shr:8 row_mask:0xf bank_mask:0xf
	v_lshl_add_u64 v[4:5], v[4:5], 0, v[2:3]
	v_cmp_lt_u32_e32 vcc, 7, v41
	s_nop 1
	v_cndmask_b32_e32 v6, v6, v5, vcc
	v_cndmask_b32_e32 v7, v7, v4, vcc
	;; [unrolled: 1-line block ×4, first 2 shown]
	v_mov_b32_dpp v4, v7 row_bcast:15 row_mask:0xf bank_mask:0xf
	v_mov_b32_dpp v5, v6 row_bcast:15 row_mask:0xf bank_mask:0xf
	v_lshl_add_u64 v[4:5], v[4:5], 0, v[2:3]
	v_cndmask_b32_e64 v8, v5, v6, s[0:1]
	v_cndmask_b32_e64 v6, v4, v7, s[0:1]
	v_cmp_eq_u32_e32 vcc, 0, v15
	v_mov_b32_dpp v7, v8 row_bcast:31 row_mask:0xf bank_mask:0xf
	v_mov_b32_dpp v6, v6 row_bcast:31 row_mask:0xf bank_mask:0xf
	s_and_saveexec_b64 s[4:5], s[2:3]
; %bb.61:
	v_cndmask_b32_e64 v3, v5, v3, s[0:1]
	v_cndmask_b32_e64 v2, v4, v2, s[0:1]
	v_cmp_lt_u32_e64 s[0:1], 31, v15
	s_nop 1
	v_cndmask_b32_e64 v5, 0, v7, s[0:1]
	v_cndmask_b32_e64 v4, 0, v6, s[0:1]
	v_lshl_add_u64 v[28:29], v[4:5], 0, v[2:3]
; %bb.62:
	s_or_b64 exec, exec, s[4:5]
	v_or_b32_e32 v3, 63, v0
	v_lshrrev_b32_e32 v2, 6, v0
	v_cmp_eq_u32_e64 s[0:1], v0, v3
	s_and_saveexec_b64 s[2:3], s[0:1]
; %bb.63:
	v_lshlrev_b32_e32 v3, 3, v2
	ds_write_b64 v3, v[28:29]
; %bb.64:
	s_or_b64 exec, exec, s[2:3]
	v_cmp_gt_u32_e64 s[0:1], 2, v0
	s_waitcnt lgkmcnt(0)
	s_barrier
	s_and_saveexec_b64 s[2:3], s[0:1]
	s_cbranch_execz .LBB141_66
; %bb.65:
	v_add_u32_e32 v1, v1, v0
	ds_read_b64 v[4:5], v1
	v_and_b32_e32 v3, 1, v15
	v_cmp_eq_u32_e64 s[0:1], 1, v3
	s_waitcnt lgkmcnt(0)
	v_mov_b32_dpp v6, v4 row_shr:1 row_mask:0xf bank_mask:0xf
	v_mov_b32_dpp v7, v5 row_shr:1 row_mask:0xf bank_mask:0xf
	v_cndmask_b32_e64 v7, 0, v7, s[0:1]
	v_cndmask_b32_e64 v6, 0, v6, s[0:1]
	v_lshl_add_u64 v[4:5], v[6:7], 0, v[4:5]
	ds_write_b64 v1, v[4:5]
.LBB141_66:
	s_or_b64 exec, exec, s[2:3]
	v_cmp_lt_u32_e64 s[0:1], 63, v0
	v_mov_b64_e32 v[6:7], 0
	s_waitcnt lgkmcnt(0)
	s_barrier
	s_and_saveexec_b64 s[2:3], s[0:1]
; %bb.67:
	v_lshl_add_u32 v1, v2, 3, -8
	ds_read_b64 v[6:7], v1
; %bb.68:
	s_or_b64 exec, exec, s[2:3]
	v_add_u32_e32 v1, -1, v15
	v_and_b32_e32 v4, 64, v15
	v_cmp_lt_i32_e64 s[0:1], v1, v4
	s_waitcnt lgkmcnt(0)
	v_lshl_add_u64 v[2:3], v[6:7], 0, v[28:29]
	v_mov_b32_e32 v5, 0
	v_cndmask_b32_e64 v1, v1, v15, s[0:1]
	v_lshlrev_b32_e32 v4, 2, v1
	ds_bpermute_b32 v1, v4, v2
	ds_bpermute_b32 v8, v4, v3
	ds_read_b64 v[2:3], v5 offset:8
	s_and_saveexec_b64 s[0:1], s[10:11]
	s_cbranch_execz .LBB141_70
; %bb.69:
	s_add_u32 s2, s20, 0x400
	s_addc_u32 s3, s21, 0
	v_mov_b32_e32 v4, 2
	v_mov_b64_e32 v[28:29], s[2:3]
	s_waitcnt lgkmcnt(0)
	;;#ASMSTART
	global_store_dwordx4 v[28:29], v[2:5] off sc1	
s_waitcnt vmcnt(0)
	;;#ASMEND
.LBB141_70:
	s_or_b64 exec, exec, s[0:1]
	s_waitcnt lgkmcnt(2)
	v_cndmask_b32_e32 v1, v1, v6, vcc
	s_waitcnt lgkmcnt(1)
	v_cndmask_b32_e32 v4, v8, v7, vcc
	v_cndmask_b32_e64 v39, v4, 0, s[10:11]
	v_cndmask_b32_e64 v38, v1, 0, s[10:11]
	v_lshl_add_u64 v[36:37], v[38:39], 0, v[26:27]
	v_lshl_add_u64 v[34:35], v[36:37], 0, v[24:25]
	;; [unrolled: 1-line block ×6, first 2 shown]
	s_waitcnt lgkmcnt(0)
	s_barrier
	v_mov_b64_e32 v[4:5], 0
.LBB141_71:
	s_mov_b64 s[0:1], 0x81
	s_waitcnt lgkmcnt(0)
	v_cmp_gt_u64_e32 vcc, s[0:1], v[2:3]
	s_mov_b64 s[2:3], -1
	v_lshl_add_u64 v[28:29], v[4:5], 0, v[2:3]
	v_cmp_eq_u32_e64 s[0:1], 1, v26
	s_cbranch_vccnz .LBB141_75
; %bb.72:
	s_and_b64 vcc, exec, s[2:3]
	s_cbranch_vccnz .LBB141_90
.LBB141_73:
	s_and_b64 s[0:1], s[10:11], s[14:15]
	s_and_saveexec_b64 s[2:3], s[0:1]
	s_cbranch_execnz .LBB141_101
.LBB141_74:
	s_endpgm
.LBB141_75:
	v_cmp_lt_u64_e32 vcc, v[38:39], v[28:29]
	s_or_b64 s[2:3], s[18:19], vcc
	s_and_b64 s[2:3], s[2:3], s[0:1]
	s_and_saveexec_b64 s[0:1], s[2:3]
	s_cbranch_execz .LBB141_77
; %bb.76:
	s_waitcnt vmcnt(0)
	v_lshlrev_b64 v[40:41], 3, v[10:11]
	v_lshl_add_u64 v[40:41], s[16:17], 0, v[40:41]
	v_lshl_add_u64 v[40:41], v[38:39], 3, v[40:41]
	global_store_dwordx2 v[40:41], v[68:69], off
.LBB141_77:
	s_or_b64 exec, exec, s[0:1]
	v_cmp_lt_u64_e32 vcc, v[36:37], v[28:29]
	s_or_b64 s[0:1], s[18:19], vcc
	v_cmp_eq_u32_e32 vcc, 1, v24
	s_and_b64 s[2:3], s[0:1], vcc
	s_and_saveexec_b64 s[0:1], s[2:3]
	s_cbranch_execz .LBB141_79
; %bb.78:
	s_waitcnt vmcnt(0)
	v_lshlrev_b64 v[40:41], 3, v[10:11]
	v_lshl_add_u64 v[40:41], s[16:17], 0, v[40:41]
	v_lshl_add_u64 v[40:41], v[36:37], 3, v[40:41]
	global_store_dwordx2 v[40:41], v[70:71], off
.LBB141_79:
	s_or_b64 exec, exec, s[0:1]
	v_cmp_lt_u64_e32 vcc, v[34:35], v[28:29]
	s_or_b64 s[0:1], s[18:19], vcc
	v_cmp_eq_u32_e32 vcc, 1, v22
	s_and_b64 s[2:3], s[0:1], vcc
	;; [unrolled: 14-line block ×6, first 2 shown]
	s_and_saveexec_b64 s[0:1], s[2:3]
	s_cbranch_execz .LBB141_89
; %bb.88:
	s_waitcnt vmcnt(0)
	v_lshlrev_b64 v[40:41], 3, v[10:11]
	v_lshl_add_u64 v[40:41], s[16:17], 0, v[40:41]
	v_lshl_add_u64 v[40:41], v[6:7], 3, v[40:41]
	global_store_dwordx2 v[40:41], v[12:13], off
.LBB141_89:
	s_or_b64 exec, exec, s[0:1]
	s_branch .LBB141_73
.LBB141_90:
	v_cmp_eq_u32_e32 vcc, 1, v26
	s_and_saveexec_b64 s[0:1], vcc
	s_cbranch_execnz .LBB141_102
; %bb.91:
	s_or_b64 exec, exec, s[0:1]
	v_cmp_eq_u32_e32 vcc, 1, v24
	s_and_saveexec_b64 s[0:1], vcc
	s_cbranch_execnz .LBB141_103
.LBB141_92:
	s_or_b64 exec, exec, s[0:1]
	v_cmp_eq_u32_e32 vcc, 1, v22
	s_and_saveexec_b64 s[0:1], vcc
	s_cbranch_execnz .LBB141_104
.LBB141_93:
	s_or_b64 exec, exec, s[0:1]
	v_cmp_eq_u32_e32 vcc, 1, v20
	s_and_saveexec_b64 s[0:1], vcc
	s_cbranch_execnz .LBB141_105
.LBB141_94:
	s_or_b64 exec, exec, s[0:1]
	v_cmp_eq_u32_e32 vcc, 1, v18
	s_and_saveexec_b64 s[0:1], vcc
	s_cbranch_execnz .LBB141_106
.LBB141_95:
	s_or_b64 exec, exec, s[0:1]
	v_cmp_eq_u32_e32 vcc, 1, v16
	s_and_saveexec_b64 s[0:1], vcc
	s_cbranch_execnz .LBB141_107
.LBB141_96:
	s_or_b64 exec, exec, s[0:1]
	v_cmp_eq_u32_e32 vcc, 1, v14
	s_and_saveexec_b64 s[0:1], vcc
.LBB141_97:
	v_sub_u32_e32 v1, v6, v4
	v_lshlrev_b32_e32 v1, 3, v1
	ds_write_b64 v1, v[12:13]
.LBB141_98:
	s_or_b64 exec, exec, s[0:1]
	v_lshlrev_b64 v[4:5], 3, v[4:5]
	v_mov_b32_e32 v1, 0
	v_lshl_add_u64 v[4:5], s[16:17], 0, v[4:5]
	s_waitcnt vmcnt(0)
	v_lshlrev_b64 v[8:9], 3, v[10:11]
	v_mov_b64_e32 v[6:7], v[0:1]
	v_lshl_add_u64 v[4:5], v[4:5], 0, v[8:9]
	v_or_b32_e32 v0, 0x80, v0
	s_mov_b64 s[0:1], 0
	s_waitcnt lgkmcnt(0)
	s_barrier
.LBB141_99:                             ; =>This Inner Loop Header: Depth=1
	v_lshlrev_b32_e32 v12, 3, v6
	ds_read_b64 v[12:13], v12
	v_cmp_le_u64_e32 vcc, v[2:3], v[0:1]
	v_lshl_add_u64 v[8:9], v[6:7], 3, v[4:5]
	v_mov_b64_e32 v[6:7], v[0:1]
	v_add_u32_e32 v0, 0x80, v0
	s_or_b64 s[0:1], vcc, s[0:1]
	s_waitcnt lgkmcnt(0)
	global_store_dwordx2 v[8:9], v[12:13], off
	s_andn2_b64 exec, exec, s[0:1]
	s_cbranch_execnz .LBB141_99
; %bb.100:
	s_or_b64 exec, exec, s[0:1]
	s_and_b64 s[0:1], s[10:11], s[14:15]
	s_and_saveexec_b64 s[2:3], s[0:1]
	s_cbranch_execz .LBB141_74
.LBB141_101:
	v_mov_b32_e32 v2, 0
	s_waitcnt vmcnt(0)
	v_lshl_add_u64 v[0:1], v[28:29], 0, v[10:11]
	global_store_dwordx2 v2, v[0:1], s[12:13]
	s_endpgm
.LBB141_102:
	v_sub_u32_e32 v1, v38, v4
	v_lshlrev_b32_e32 v1, 3, v1
	ds_write_b64 v1, v[68:69]
	s_or_b64 exec, exec, s[0:1]
	v_cmp_eq_u32_e32 vcc, 1, v24
	s_and_saveexec_b64 s[0:1], vcc
	s_cbranch_execz .LBB141_92
.LBB141_103:
	v_sub_u32_e32 v1, v36, v4
	v_lshlrev_b32_e32 v1, 3, v1
	ds_write_b64 v1, v[70:71]
	s_or_b64 exec, exec, s[0:1]
	v_cmp_eq_u32_e32 vcc, 1, v22
	s_and_saveexec_b64 s[0:1], vcc
	s_cbranch_execz .LBB141_93
.LBB141_104:
	v_sub_u32_e32 v1, v34, v4
	v_lshlrev_b32_e32 v1, 3, v1
	ds_write_b64 v1, v[64:65]
	s_or_b64 exec, exec, s[0:1]
	v_cmp_eq_u32_e32 vcc, 1, v20
	s_and_saveexec_b64 s[0:1], vcc
	s_cbranch_execz .LBB141_94
.LBB141_105:
	v_sub_u32_e32 v1, v32, v4
	v_lshlrev_b32_e32 v1, 3, v1
	ds_write_b64 v1, v[66:67]
	s_or_b64 exec, exec, s[0:1]
	v_cmp_eq_u32_e32 vcc, 1, v18
	s_and_saveexec_b64 s[0:1], vcc
	s_cbranch_execz .LBB141_95
.LBB141_106:
	v_sub_u32_e32 v1, v30, v4
	v_lshlrev_b32_e32 v1, 3, v1
	ds_write_b64 v1, v[60:61]
	s_or_b64 exec, exec, s[0:1]
	v_cmp_eq_u32_e32 vcc, 1, v16
	s_and_saveexec_b64 s[0:1], vcc
	s_cbranch_execz .LBB141_96
.LBB141_107:
	v_sub_u32_e32 v1, v8, v4
	v_lshlrev_b32_e32 v1, 3, v1
	ds_write_b64 v1, v[62:63]
	s_or_b64 exec, exec, s[0:1]
	v_cmp_eq_u32_e32 vcc, 1, v14
	s_and_saveexec_b64 s[0:1], vcc
	s_cbranch_execnz .LBB141_97
	s_branch .LBB141_98
	.section	.rodata,"a",@progbits
	.p2align	6, 0x0
	.amdhsa_kernel _ZN7rocprim17ROCPRIM_400000_NS6detail17trampoline_kernelINS0_14default_configENS1_25partition_config_selectorILNS1_17partition_subalgoE5ElNS0_10empty_typeEbEEZZNS1_14partition_implILS5_5ELb0ES3_mN6hipcub16HIPCUB_304000_NS21CountingInputIteratorIllEEPS6_NSA_22TransformInputIteratorIb7NonZeroIsEPslEENS0_5tupleIJPlS6_EEENSJ_IJSD_SD_EEES6_SK_JS6_EEE10hipError_tPvRmT3_T4_T5_T6_T7_T9_mT8_P12ihipStream_tbDpT10_ENKUlT_T0_E_clISt17integral_constantIbLb0EES15_IbLb1EEEEDaS11_S12_EUlS11_E_NS1_11comp_targetILNS1_3genE0ELNS1_11target_archE4294967295ELNS1_3gpuE0ELNS1_3repE0EEENS1_30default_config_static_selectorELNS0_4arch9wavefront6targetE1EEEvT1_
		.amdhsa_group_segment_fixed_size 7184
		.amdhsa_private_segment_fixed_size 0
		.amdhsa_kernarg_size 136
		.amdhsa_user_sgpr_count 2
		.amdhsa_user_sgpr_dispatch_ptr 0
		.amdhsa_user_sgpr_queue_ptr 0
		.amdhsa_user_sgpr_kernarg_segment_ptr 1
		.amdhsa_user_sgpr_dispatch_id 0
		.amdhsa_user_sgpr_kernarg_preload_length 0
		.amdhsa_user_sgpr_kernarg_preload_offset 0
		.amdhsa_user_sgpr_private_segment_size 0
		.amdhsa_uses_dynamic_stack 0
		.amdhsa_enable_private_segment 0
		.amdhsa_system_sgpr_workgroup_id_x 1
		.amdhsa_system_sgpr_workgroup_id_y 0
		.amdhsa_system_sgpr_workgroup_id_z 0
		.amdhsa_system_sgpr_workgroup_info 0
		.amdhsa_system_vgpr_workitem_id 0
		.amdhsa_next_free_vgpr 72
		.amdhsa_next_free_sgpr 28
		.amdhsa_accum_offset 72
		.amdhsa_reserve_vcc 1
		.amdhsa_float_round_mode_32 0
		.amdhsa_float_round_mode_16_64 0
		.amdhsa_float_denorm_mode_32 3
		.amdhsa_float_denorm_mode_16_64 3
		.amdhsa_dx10_clamp 1
		.amdhsa_ieee_mode 1
		.amdhsa_fp16_overflow 0
		.amdhsa_tg_split 0
		.amdhsa_exception_fp_ieee_invalid_op 0
		.amdhsa_exception_fp_denorm_src 0
		.amdhsa_exception_fp_ieee_div_zero 0
		.amdhsa_exception_fp_ieee_overflow 0
		.amdhsa_exception_fp_ieee_underflow 0
		.amdhsa_exception_fp_ieee_inexact 0
		.amdhsa_exception_int_div_zero 0
	.end_amdhsa_kernel
	.section	.text._ZN7rocprim17ROCPRIM_400000_NS6detail17trampoline_kernelINS0_14default_configENS1_25partition_config_selectorILNS1_17partition_subalgoE5ElNS0_10empty_typeEbEEZZNS1_14partition_implILS5_5ELb0ES3_mN6hipcub16HIPCUB_304000_NS21CountingInputIteratorIllEEPS6_NSA_22TransformInputIteratorIb7NonZeroIsEPslEENS0_5tupleIJPlS6_EEENSJ_IJSD_SD_EEES6_SK_JS6_EEE10hipError_tPvRmT3_T4_T5_T6_T7_T9_mT8_P12ihipStream_tbDpT10_ENKUlT_T0_E_clISt17integral_constantIbLb0EES15_IbLb1EEEEDaS11_S12_EUlS11_E_NS1_11comp_targetILNS1_3genE0ELNS1_11target_archE4294967295ELNS1_3gpuE0ELNS1_3repE0EEENS1_30default_config_static_selectorELNS0_4arch9wavefront6targetE1EEEvT1_,"axG",@progbits,_ZN7rocprim17ROCPRIM_400000_NS6detail17trampoline_kernelINS0_14default_configENS1_25partition_config_selectorILNS1_17partition_subalgoE5ElNS0_10empty_typeEbEEZZNS1_14partition_implILS5_5ELb0ES3_mN6hipcub16HIPCUB_304000_NS21CountingInputIteratorIllEEPS6_NSA_22TransformInputIteratorIb7NonZeroIsEPslEENS0_5tupleIJPlS6_EEENSJ_IJSD_SD_EEES6_SK_JS6_EEE10hipError_tPvRmT3_T4_T5_T6_T7_T9_mT8_P12ihipStream_tbDpT10_ENKUlT_T0_E_clISt17integral_constantIbLb0EES15_IbLb1EEEEDaS11_S12_EUlS11_E_NS1_11comp_targetILNS1_3genE0ELNS1_11target_archE4294967295ELNS1_3gpuE0ELNS1_3repE0EEENS1_30default_config_static_selectorELNS0_4arch9wavefront6targetE1EEEvT1_,comdat
.Lfunc_end141:
	.size	_ZN7rocprim17ROCPRIM_400000_NS6detail17trampoline_kernelINS0_14default_configENS1_25partition_config_selectorILNS1_17partition_subalgoE5ElNS0_10empty_typeEbEEZZNS1_14partition_implILS5_5ELb0ES3_mN6hipcub16HIPCUB_304000_NS21CountingInputIteratorIllEEPS6_NSA_22TransformInputIteratorIb7NonZeroIsEPslEENS0_5tupleIJPlS6_EEENSJ_IJSD_SD_EEES6_SK_JS6_EEE10hipError_tPvRmT3_T4_T5_T6_T7_T9_mT8_P12ihipStream_tbDpT10_ENKUlT_T0_E_clISt17integral_constantIbLb0EES15_IbLb1EEEEDaS11_S12_EUlS11_E_NS1_11comp_targetILNS1_3genE0ELNS1_11target_archE4294967295ELNS1_3gpuE0ELNS1_3repE0EEENS1_30default_config_static_selectorELNS0_4arch9wavefront6targetE1EEEvT1_, .Lfunc_end141-_ZN7rocprim17ROCPRIM_400000_NS6detail17trampoline_kernelINS0_14default_configENS1_25partition_config_selectorILNS1_17partition_subalgoE5ElNS0_10empty_typeEbEEZZNS1_14partition_implILS5_5ELb0ES3_mN6hipcub16HIPCUB_304000_NS21CountingInputIteratorIllEEPS6_NSA_22TransformInputIteratorIb7NonZeroIsEPslEENS0_5tupleIJPlS6_EEENSJ_IJSD_SD_EEES6_SK_JS6_EEE10hipError_tPvRmT3_T4_T5_T6_T7_T9_mT8_P12ihipStream_tbDpT10_ENKUlT_T0_E_clISt17integral_constantIbLb0EES15_IbLb1EEEEDaS11_S12_EUlS11_E_NS1_11comp_targetILNS1_3genE0ELNS1_11target_archE4294967295ELNS1_3gpuE0ELNS1_3repE0EEENS1_30default_config_static_selectorELNS0_4arch9wavefront6targetE1EEEvT1_
                                        ; -- End function
	.set _ZN7rocprim17ROCPRIM_400000_NS6detail17trampoline_kernelINS0_14default_configENS1_25partition_config_selectorILNS1_17partition_subalgoE5ElNS0_10empty_typeEbEEZZNS1_14partition_implILS5_5ELb0ES3_mN6hipcub16HIPCUB_304000_NS21CountingInputIteratorIllEEPS6_NSA_22TransformInputIteratorIb7NonZeroIsEPslEENS0_5tupleIJPlS6_EEENSJ_IJSD_SD_EEES6_SK_JS6_EEE10hipError_tPvRmT3_T4_T5_T6_T7_T9_mT8_P12ihipStream_tbDpT10_ENKUlT_T0_E_clISt17integral_constantIbLb0EES15_IbLb1EEEEDaS11_S12_EUlS11_E_NS1_11comp_targetILNS1_3genE0ELNS1_11target_archE4294967295ELNS1_3gpuE0ELNS1_3repE0EEENS1_30default_config_static_selectorELNS0_4arch9wavefront6targetE1EEEvT1_.num_vgpr, 72
	.set _ZN7rocprim17ROCPRIM_400000_NS6detail17trampoline_kernelINS0_14default_configENS1_25partition_config_selectorILNS1_17partition_subalgoE5ElNS0_10empty_typeEbEEZZNS1_14partition_implILS5_5ELb0ES3_mN6hipcub16HIPCUB_304000_NS21CountingInputIteratorIllEEPS6_NSA_22TransformInputIteratorIb7NonZeroIsEPslEENS0_5tupleIJPlS6_EEENSJ_IJSD_SD_EEES6_SK_JS6_EEE10hipError_tPvRmT3_T4_T5_T6_T7_T9_mT8_P12ihipStream_tbDpT10_ENKUlT_T0_E_clISt17integral_constantIbLb0EES15_IbLb1EEEEDaS11_S12_EUlS11_E_NS1_11comp_targetILNS1_3genE0ELNS1_11target_archE4294967295ELNS1_3gpuE0ELNS1_3repE0EEENS1_30default_config_static_selectorELNS0_4arch9wavefront6targetE1EEEvT1_.num_agpr, 0
	.set _ZN7rocprim17ROCPRIM_400000_NS6detail17trampoline_kernelINS0_14default_configENS1_25partition_config_selectorILNS1_17partition_subalgoE5ElNS0_10empty_typeEbEEZZNS1_14partition_implILS5_5ELb0ES3_mN6hipcub16HIPCUB_304000_NS21CountingInputIteratorIllEEPS6_NSA_22TransformInputIteratorIb7NonZeroIsEPslEENS0_5tupleIJPlS6_EEENSJ_IJSD_SD_EEES6_SK_JS6_EEE10hipError_tPvRmT3_T4_T5_T6_T7_T9_mT8_P12ihipStream_tbDpT10_ENKUlT_T0_E_clISt17integral_constantIbLb0EES15_IbLb1EEEEDaS11_S12_EUlS11_E_NS1_11comp_targetILNS1_3genE0ELNS1_11target_archE4294967295ELNS1_3gpuE0ELNS1_3repE0EEENS1_30default_config_static_selectorELNS0_4arch9wavefront6targetE1EEEvT1_.numbered_sgpr, 28
	.set _ZN7rocprim17ROCPRIM_400000_NS6detail17trampoline_kernelINS0_14default_configENS1_25partition_config_selectorILNS1_17partition_subalgoE5ElNS0_10empty_typeEbEEZZNS1_14partition_implILS5_5ELb0ES3_mN6hipcub16HIPCUB_304000_NS21CountingInputIteratorIllEEPS6_NSA_22TransformInputIteratorIb7NonZeroIsEPslEENS0_5tupleIJPlS6_EEENSJ_IJSD_SD_EEES6_SK_JS6_EEE10hipError_tPvRmT3_T4_T5_T6_T7_T9_mT8_P12ihipStream_tbDpT10_ENKUlT_T0_E_clISt17integral_constantIbLb0EES15_IbLb1EEEEDaS11_S12_EUlS11_E_NS1_11comp_targetILNS1_3genE0ELNS1_11target_archE4294967295ELNS1_3gpuE0ELNS1_3repE0EEENS1_30default_config_static_selectorELNS0_4arch9wavefront6targetE1EEEvT1_.num_named_barrier, 0
	.set _ZN7rocprim17ROCPRIM_400000_NS6detail17trampoline_kernelINS0_14default_configENS1_25partition_config_selectorILNS1_17partition_subalgoE5ElNS0_10empty_typeEbEEZZNS1_14partition_implILS5_5ELb0ES3_mN6hipcub16HIPCUB_304000_NS21CountingInputIteratorIllEEPS6_NSA_22TransformInputIteratorIb7NonZeroIsEPslEENS0_5tupleIJPlS6_EEENSJ_IJSD_SD_EEES6_SK_JS6_EEE10hipError_tPvRmT3_T4_T5_T6_T7_T9_mT8_P12ihipStream_tbDpT10_ENKUlT_T0_E_clISt17integral_constantIbLb0EES15_IbLb1EEEEDaS11_S12_EUlS11_E_NS1_11comp_targetILNS1_3genE0ELNS1_11target_archE4294967295ELNS1_3gpuE0ELNS1_3repE0EEENS1_30default_config_static_selectorELNS0_4arch9wavefront6targetE1EEEvT1_.private_seg_size, 0
	.set _ZN7rocprim17ROCPRIM_400000_NS6detail17trampoline_kernelINS0_14default_configENS1_25partition_config_selectorILNS1_17partition_subalgoE5ElNS0_10empty_typeEbEEZZNS1_14partition_implILS5_5ELb0ES3_mN6hipcub16HIPCUB_304000_NS21CountingInputIteratorIllEEPS6_NSA_22TransformInputIteratorIb7NonZeroIsEPslEENS0_5tupleIJPlS6_EEENSJ_IJSD_SD_EEES6_SK_JS6_EEE10hipError_tPvRmT3_T4_T5_T6_T7_T9_mT8_P12ihipStream_tbDpT10_ENKUlT_T0_E_clISt17integral_constantIbLb0EES15_IbLb1EEEEDaS11_S12_EUlS11_E_NS1_11comp_targetILNS1_3genE0ELNS1_11target_archE4294967295ELNS1_3gpuE0ELNS1_3repE0EEENS1_30default_config_static_selectorELNS0_4arch9wavefront6targetE1EEEvT1_.uses_vcc, 1
	.set _ZN7rocprim17ROCPRIM_400000_NS6detail17trampoline_kernelINS0_14default_configENS1_25partition_config_selectorILNS1_17partition_subalgoE5ElNS0_10empty_typeEbEEZZNS1_14partition_implILS5_5ELb0ES3_mN6hipcub16HIPCUB_304000_NS21CountingInputIteratorIllEEPS6_NSA_22TransformInputIteratorIb7NonZeroIsEPslEENS0_5tupleIJPlS6_EEENSJ_IJSD_SD_EEES6_SK_JS6_EEE10hipError_tPvRmT3_T4_T5_T6_T7_T9_mT8_P12ihipStream_tbDpT10_ENKUlT_T0_E_clISt17integral_constantIbLb0EES15_IbLb1EEEEDaS11_S12_EUlS11_E_NS1_11comp_targetILNS1_3genE0ELNS1_11target_archE4294967295ELNS1_3gpuE0ELNS1_3repE0EEENS1_30default_config_static_selectorELNS0_4arch9wavefront6targetE1EEEvT1_.uses_flat_scratch, 0
	.set _ZN7rocprim17ROCPRIM_400000_NS6detail17trampoline_kernelINS0_14default_configENS1_25partition_config_selectorILNS1_17partition_subalgoE5ElNS0_10empty_typeEbEEZZNS1_14partition_implILS5_5ELb0ES3_mN6hipcub16HIPCUB_304000_NS21CountingInputIteratorIllEEPS6_NSA_22TransformInputIteratorIb7NonZeroIsEPslEENS0_5tupleIJPlS6_EEENSJ_IJSD_SD_EEES6_SK_JS6_EEE10hipError_tPvRmT3_T4_T5_T6_T7_T9_mT8_P12ihipStream_tbDpT10_ENKUlT_T0_E_clISt17integral_constantIbLb0EES15_IbLb1EEEEDaS11_S12_EUlS11_E_NS1_11comp_targetILNS1_3genE0ELNS1_11target_archE4294967295ELNS1_3gpuE0ELNS1_3repE0EEENS1_30default_config_static_selectorELNS0_4arch9wavefront6targetE1EEEvT1_.has_dyn_sized_stack, 0
	.set _ZN7rocprim17ROCPRIM_400000_NS6detail17trampoline_kernelINS0_14default_configENS1_25partition_config_selectorILNS1_17partition_subalgoE5ElNS0_10empty_typeEbEEZZNS1_14partition_implILS5_5ELb0ES3_mN6hipcub16HIPCUB_304000_NS21CountingInputIteratorIllEEPS6_NSA_22TransformInputIteratorIb7NonZeroIsEPslEENS0_5tupleIJPlS6_EEENSJ_IJSD_SD_EEES6_SK_JS6_EEE10hipError_tPvRmT3_T4_T5_T6_T7_T9_mT8_P12ihipStream_tbDpT10_ENKUlT_T0_E_clISt17integral_constantIbLb0EES15_IbLb1EEEEDaS11_S12_EUlS11_E_NS1_11comp_targetILNS1_3genE0ELNS1_11target_archE4294967295ELNS1_3gpuE0ELNS1_3repE0EEENS1_30default_config_static_selectorELNS0_4arch9wavefront6targetE1EEEvT1_.has_recursion, 0
	.set _ZN7rocprim17ROCPRIM_400000_NS6detail17trampoline_kernelINS0_14default_configENS1_25partition_config_selectorILNS1_17partition_subalgoE5ElNS0_10empty_typeEbEEZZNS1_14partition_implILS5_5ELb0ES3_mN6hipcub16HIPCUB_304000_NS21CountingInputIteratorIllEEPS6_NSA_22TransformInputIteratorIb7NonZeroIsEPslEENS0_5tupleIJPlS6_EEENSJ_IJSD_SD_EEES6_SK_JS6_EEE10hipError_tPvRmT3_T4_T5_T6_T7_T9_mT8_P12ihipStream_tbDpT10_ENKUlT_T0_E_clISt17integral_constantIbLb0EES15_IbLb1EEEEDaS11_S12_EUlS11_E_NS1_11comp_targetILNS1_3genE0ELNS1_11target_archE4294967295ELNS1_3gpuE0ELNS1_3repE0EEENS1_30default_config_static_selectorELNS0_4arch9wavefront6targetE1EEEvT1_.has_indirect_call, 0
	.section	.AMDGPU.csdata,"",@progbits
; Kernel info:
; codeLenInByte = 6208
; TotalNumSgprs: 34
; NumVgprs: 72
; NumAgprs: 0
; TotalNumVgprs: 72
; ScratchSize: 0
; MemoryBound: 0
; FloatMode: 240
; IeeeMode: 1
; LDSByteSize: 7184 bytes/workgroup (compile time only)
; SGPRBlocks: 4
; VGPRBlocks: 8
; NumSGPRsForWavesPerEU: 34
; NumVGPRsForWavesPerEU: 72
; AccumOffset: 72
; Occupancy: 7
; WaveLimiterHint : 1
; COMPUTE_PGM_RSRC2:SCRATCH_EN: 0
; COMPUTE_PGM_RSRC2:USER_SGPR: 2
; COMPUTE_PGM_RSRC2:TRAP_HANDLER: 0
; COMPUTE_PGM_RSRC2:TGID_X_EN: 1
; COMPUTE_PGM_RSRC2:TGID_Y_EN: 0
; COMPUTE_PGM_RSRC2:TGID_Z_EN: 0
; COMPUTE_PGM_RSRC2:TIDIG_COMP_CNT: 0
; COMPUTE_PGM_RSRC3_GFX90A:ACCUM_OFFSET: 17
; COMPUTE_PGM_RSRC3_GFX90A:TG_SPLIT: 0
	.section	.text._ZN7rocprim17ROCPRIM_400000_NS6detail17trampoline_kernelINS0_14default_configENS1_25partition_config_selectorILNS1_17partition_subalgoE5ElNS0_10empty_typeEbEEZZNS1_14partition_implILS5_5ELb0ES3_mN6hipcub16HIPCUB_304000_NS21CountingInputIteratorIllEEPS6_NSA_22TransformInputIteratorIb7NonZeroIsEPslEENS0_5tupleIJPlS6_EEENSJ_IJSD_SD_EEES6_SK_JS6_EEE10hipError_tPvRmT3_T4_T5_T6_T7_T9_mT8_P12ihipStream_tbDpT10_ENKUlT_T0_E_clISt17integral_constantIbLb0EES15_IbLb1EEEEDaS11_S12_EUlS11_E_NS1_11comp_targetILNS1_3genE5ELNS1_11target_archE942ELNS1_3gpuE9ELNS1_3repE0EEENS1_30default_config_static_selectorELNS0_4arch9wavefront6targetE1EEEvT1_,"axG",@progbits,_ZN7rocprim17ROCPRIM_400000_NS6detail17trampoline_kernelINS0_14default_configENS1_25partition_config_selectorILNS1_17partition_subalgoE5ElNS0_10empty_typeEbEEZZNS1_14partition_implILS5_5ELb0ES3_mN6hipcub16HIPCUB_304000_NS21CountingInputIteratorIllEEPS6_NSA_22TransformInputIteratorIb7NonZeroIsEPslEENS0_5tupleIJPlS6_EEENSJ_IJSD_SD_EEES6_SK_JS6_EEE10hipError_tPvRmT3_T4_T5_T6_T7_T9_mT8_P12ihipStream_tbDpT10_ENKUlT_T0_E_clISt17integral_constantIbLb0EES15_IbLb1EEEEDaS11_S12_EUlS11_E_NS1_11comp_targetILNS1_3genE5ELNS1_11target_archE942ELNS1_3gpuE9ELNS1_3repE0EEENS1_30default_config_static_selectorELNS0_4arch9wavefront6targetE1EEEvT1_,comdat
	.protected	_ZN7rocprim17ROCPRIM_400000_NS6detail17trampoline_kernelINS0_14default_configENS1_25partition_config_selectorILNS1_17partition_subalgoE5ElNS0_10empty_typeEbEEZZNS1_14partition_implILS5_5ELb0ES3_mN6hipcub16HIPCUB_304000_NS21CountingInputIteratorIllEEPS6_NSA_22TransformInputIteratorIb7NonZeroIsEPslEENS0_5tupleIJPlS6_EEENSJ_IJSD_SD_EEES6_SK_JS6_EEE10hipError_tPvRmT3_T4_T5_T6_T7_T9_mT8_P12ihipStream_tbDpT10_ENKUlT_T0_E_clISt17integral_constantIbLb0EES15_IbLb1EEEEDaS11_S12_EUlS11_E_NS1_11comp_targetILNS1_3genE5ELNS1_11target_archE942ELNS1_3gpuE9ELNS1_3repE0EEENS1_30default_config_static_selectorELNS0_4arch9wavefront6targetE1EEEvT1_ ; -- Begin function _ZN7rocprim17ROCPRIM_400000_NS6detail17trampoline_kernelINS0_14default_configENS1_25partition_config_selectorILNS1_17partition_subalgoE5ElNS0_10empty_typeEbEEZZNS1_14partition_implILS5_5ELb0ES3_mN6hipcub16HIPCUB_304000_NS21CountingInputIteratorIllEEPS6_NSA_22TransformInputIteratorIb7NonZeroIsEPslEENS0_5tupleIJPlS6_EEENSJ_IJSD_SD_EEES6_SK_JS6_EEE10hipError_tPvRmT3_T4_T5_T6_T7_T9_mT8_P12ihipStream_tbDpT10_ENKUlT_T0_E_clISt17integral_constantIbLb0EES15_IbLb1EEEEDaS11_S12_EUlS11_E_NS1_11comp_targetILNS1_3genE5ELNS1_11target_archE942ELNS1_3gpuE9ELNS1_3repE0EEENS1_30default_config_static_selectorELNS0_4arch9wavefront6targetE1EEEvT1_
	.globl	_ZN7rocprim17ROCPRIM_400000_NS6detail17trampoline_kernelINS0_14default_configENS1_25partition_config_selectorILNS1_17partition_subalgoE5ElNS0_10empty_typeEbEEZZNS1_14partition_implILS5_5ELb0ES3_mN6hipcub16HIPCUB_304000_NS21CountingInputIteratorIllEEPS6_NSA_22TransformInputIteratorIb7NonZeroIsEPslEENS0_5tupleIJPlS6_EEENSJ_IJSD_SD_EEES6_SK_JS6_EEE10hipError_tPvRmT3_T4_T5_T6_T7_T9_mT8_P12ihipStream_tbDpT10_ENKUlT_T0_E_clISt17integral_constantIbLb0EES15_IbLb1EEEEDaS11_S12_EUlS11_E_NS1_11comp_targetILNS1_3genE5ELNS1_11target_archE942ELNS1_3gpuE9ELNS1_3repE0EEENS1_30default_config_static_selectorELNS0_4arch9wavefront6targetE1EEEvT1_
	.p2align	8
	.type	_ZN7rocprim17ROCPRIM_400000_NS6detail17trampoline_kernelINS0_14default_configENS1_25partition_config_selectorILNS1_17partition_subalgoE5ElNS0_10empty_typeEbEEZZNS1_14partition_implILS5_5ELb0ES3_mN6hipcub16HIPCUB_304000_NS21CountingInputIteratorIllEEPS6_NSA_22TransformInputIteratorIb7NonZeroIsEPslEENS0_5tupleIJPlS6_EEENSJ_IJSD_SD_EEES6_SK_JS6_EEE10hipError_tPvRmT3_T4_T5_T6_T7_T9_mT8_P12ihipStream_tbDpT10_ENKUlT_T0_E_clISt17integral_constantIbLb0EES15_IbLb1EEEEDaS11_S12_EUlS11_E_NS1_11comp_targetILNS1_3genE5ELNS1_11target_archE942ELNS1_3gpuE9ELNS1_3repE0EEENS1_30default_config_static_selectorELNS0_4arch9wavefront6targetE1EEEvT1_,@function
_ZN7rocprim17ROCPRIM_400000_NS6detail17trampoline_kernelINS0_14default_configENS1_25partition_config_selectorILNS1_17partition_subalgoE5ElNS0_10empty_typeEbEEZZNS1_14partition_implILS5_5ELb0ES3_mN6hipcub16HIPCUB_304000_NS21CountingInputIteratorIllEEPS6_NSA_22TransformInputIteratorIb7NonZeroIsEPslEENS0_5tupleIJPlS6_EEENSJ_IJSD_SD_EEES6_SK_JS6_EEE10hipError_tPvRmT3_T4_T5_T6_T7_T9_mT8_P12ihipStream_tbDpT10_ENKUlT_T0_E_clISt17integral_constantIbLb0EES15_IbLb1EEEEDaS11_S12_EUlS11_E_NS1_11comp_targetILNS1_3genE5ELNS1_11target_archE942ELNS1_3gpuE9ELNS1_3repE0EEENS1_30default_config_static_selectorELNS0_4arch9wavefront6targetE1EEEvT1_: ; @_ZN7rocprim17ROCPRIM_400000_NS6detail17trampoline_kernelINS0_14default_configENS1_25partition_config_selectorILNS1_17partition_subalgoE5ElNS0_10empty_typeEbEEZZNS1_14partition_implILS5_5ELb0ES3_mN6hipcub16HIPCUB_304000_NS21CountingInputIteratorIllEEPS6_NSA_22TransformInputIteratorIb7NonZeroIsEPslEENS0_5tupleIJPlS6_EEENSJ_IJSD_SD_EEES6_SK_JS6_EEE10hipError_tPvRmT3_T4_T5_T6_T7_T9_mT8_P12ihipStream_tbDpT10_ENKUlT_T0_E_clISt17integral_constantIbLb0EES15_IbLb1EEEEDaS11_S12_EUlS11_E_NS1_11comp_targetILNS1_3genE5ELNS1_11target_archE942ELNS1_3gpuE9ELNS1_3repE0EEENS1_30default_config_static_selectorELNS0_4arch9wavefront6targetE1EEEvT1_
; %bb.0:
	.section	.rodata,"a",@progbits
	.p2align	6, 0x0
	.amdhsa_kernel _ZN7rocprim17ROCPRIM_400000_NS6detail17trampoline_kernelINS0_14default_configENS1_25partition_config_selectorILNS1_17partition_subalgoE5ElNS0_10empty_typeEbEEZZNS1_14partition_implILS5_5ELb0ES3_mN6hipcub16HIPCUB_304000_NS21CountingInputIteratorIllEEPS6_NSA_22TransformInputIteratorIb7NonZeroIsEPslEENS0_5tupleIJPlS6_EEENSJ_IJSD_SD_EEES6_SK_JS6_EEE10hipError_tPvRmT3_T4_T5_T6_T7_T9_mT8_P12ihipStream_tbDpT10_ENKUlT_T0_E_clISt17integral_constantIbLb0EES15_IbLb1EEEEDaS11_S12_EUlS11_E_NS1_11comp_targetILNS1_3genE5ELNS1_11target_archE942ELNS1_3gpuE9ELNS1_3repE0EEENS1_30default_config_static_selectorELNS0_4arch9wavefront6targetE1EEEvT1_
		.amdhsa_group_segment_fixed_size 0
		.amdhsa_private_segment_fixed_size 0
		.amdhsa_kernarg_size 136
		.amdhsa_user_sgpr_count 2
		.amdhsa_user_sgpr_dispatch_ptr 0
		.amdhsa_user_sgpr_queue_ptr 0
		.amdhsa_user_sgpr_kernarg_segment_ptr 1
		.amdhsa_user_sgpr_dispatch_id 0
		.amdhsa_user_sgpr_kernarg_preload_length 0
		.amdhsa_user_sgpr_kernarg_preload_offset 0
		.amdhsa_user_sgpr_private_segment_size 0
		.amdhsa_uses_dynamic_stack 0
		.amdhsa_enable_private_segment 0
		.amdhsa_system_sgpr_workgroup_id_x 1
		.amdhsa_system_sgpr_workgroup_id_y 0
		.amdhsa_system_sgpr_workgroup_id_z 0
		.amdhsa_system_sgpr_workgroup_info 0
		.amdhsa_system_vgpr_workitem_id 0
		.amdhsa_next_free_vgpr 1
		.amdhsa_next_free_sgpr 0
		.amdhsa_accum_offset 4
		.amdhsa_reserve_vcc 0
		.amdhsa_float_round_mode_32 0
		.amdhsa_float_round_mode_16_64 0
		.amdhsa_float_denorm_mode_32 3
		.amdhsa_float_denorm_mode_16_64 3
		.amdhsa_dx10_clamp 1
		.amdhsa_ieee_mode 1
		.amdhsa_fp16_overflow 0
		.amdhsa_tg_split 0
		.amdhsa_exception_fp_ieee_invalid_op 0
		.amdhsa_exception_fp_denorm_src 0
		.amdhsa_exception_fp_ieee_div_zero 0
		.amdhsa_exception_fp_ieee_overflow 0
		.amdhsa_exception_fp_ieee_underflow 0
		.amdhsa_exception_fp_ieee_inexact 0
		.amdhsa_exception_int_div_zero 0
	.end_amdhsa_kernel
	.section	.text._ZN7rocprim17ROCPRIM_400000_NS6detail17trampoline_kernelINS0_14default_configENS1_25partition_config_selectorILNS1_17partition_subalgoE5ElNS0_10empty_typeEbEEZZNS1_14partition_implILS5_5ELb0ES3_mN6hipcub16HIPCUB_304000_NS21CountingInputIteratorIllEEPS6_NSA_22TransformInputIteratorIb7NonZeroIsEPslEENS0_5tupleIJPlS6_EEENSJ_IJSD_SD_EEES6_SK_JS6_EEE10hipError_tPvRmT3_T4_T5_T6_T7_T9_mT8_P12ihipStream_tbDpT10_ENKUlT_T0_E_clISt17integral_constantIbLb0EES15_IbLb1EEEEDaS11_S12_EUlS11_E_NS1_11comp_targetILNS1_3genE5ELNS1_11target_archE942ELNS1_3gpuE9ELNS1_3repE0EEENS1_30default_config_static_selectorELNS0_4arch9wavefront6targetE1EEEvT1_,"axG",@progbits,_ZN7rocprim17ROCPRIM_400000_NS6detail17trampoline_kernelINS0_14default_configENS1_25partition_config_selectorILNS1_17partition_subalgoE5ElNS0_10empty_typeEbEEZZNS1_14partition_implILS5_5ELb0ES3_mN6hipcub16HIPCUB_304000_NS21CountingInputIteratorIllEEPS6_NSA_22TransformInputIteratorIb7NonZeroIsEPslEENS0_5tupleIJPlS6_EEENSJ_IJSD_SD_EEES6_SK_JS6_EEE10hipError_tPvRmT3_T4_T5_T6_T7_T9_mT8_P12ihipStream_tbDpT10_ENKUlT_T0_E_clISt17integral_constantIbLb0EES15_IbLb1EEEEDaS11_S12_EUlS11_E_NS1_11comp_targetILNS1_3genE5ELNS1_11target_archE942ELNS1_3gpuE9ELNS1_3repE0EEENS1_30default_config_static_selectorELNS0_4arch9wavefront6targetE1EEEvT1_,comdat
.Lfunc_end142:
	.size	_ZN7rocprim17ROCPRIM_400000_NS6detail17trampoline_kernelINS0_14default_configENS1_25partition_config_selectorILNS1_17partition_subalgoE5ElNS0_10empty_typeEbEEZZNS1_14partition_implILS5_5ELb0ES3_mN6hipcub16HIPCUB_304000_NS21CountingInputIteratorIllEEPS6_NSA_22TransformInputIteratorIb7NonZeroIsEPslEENS0_5tupleIJPlS6_EEENSJ_IJSD_SD_EEES6_SK_JS6_EEE10hipError_tPvRmT3_T4_T5_T6_T7_T9_mT8_P12ihipStream_tbDpT10_ENKUlT_T0_E_clISt17integral_constantIbLb0EES15_IbLb1EEEEDaS11_S12_EUlS11_E_NS1_11comp_targetILNS1_3genE5ELNS1_11target_archE942ELNS1_3gpuE9ELNS1_3repE0EEENS1_30default_config_static_selectorELNS0_4arch9wavefront6targetE1EEEvT1_, .Lfunc_end142-_ZN7rocprim17ROCPRIM_400000_NS6detail17trampoline_kernelINS0_14default_configENS1_25partition_config_selectorILNS1_17partition_subalgoE5ElNS0_10empty_typeEbEEZZNS1_14partition_implILS5_5ELb0ES3_mN6hipcub16HIPCUB_304000_NS21CountingInputIteratorIllEEPS6_NSA_22TransformInputIteratorIb7NonZeroIsEPslEENS0_5tupleIJPlS6_EEENSJ_IJSD_SD_EEES6_SK_JS6_EEE10hipError_tPvRmT3_T4_T5_T6_T7_T9_mT8_P12ihipStream_tbDpT10_ENKUlT_T0_E_clISt17integral_constantIbLb0EES15_IbLb1EEEEDaS11_S12_EUlS11_E_NS1_11comp_targetILNS1_3genE5ELNS1_11target_archE942ELNS1_3gpuE9ELNS1_3repE0EEENS1_30default_config_static_selectorELNS0_4arch9wavefront6targetE1EEEvT1_
                                        ; -- End function
	.set _ZN7rocprim17ROCPRIM_400000_NS6detail17trampoline_kernelINS0_14default_configENS1_25partition_config_selectorILNS1_17partition_subalgoE5ElNS0_10empty_typeEbEEZZNS1_14partition_implILS5_5ELb0ES3_mN6hipcub16HIPCUB_304000_NS21CountingInputIteratorIllEEPS6_NSA_22TransformInputIteratorIb7NonZeroIsEPslEENS0_5tupleIJPlS6_EEENSJ_IJSD_SD_EEES6_SK_JS6_EEE10hipError_tPvRmT3_T4_T5_T6_T7_T9_mT8_P12ihipStream_tbDpT10_ENKUlT_T0_E_clISt17integral_constantIbLb0EES15_IbLb1EEEEDaS11_S12_EUlS11_E_NS1_11comp_targetILNS1_3genE5ELNS1_11target_archE942ELNS1_3gpuE9ELNS1_3repE0EEENS1_30default_config_static_selectorELNS0_4arch9wavefront6targetE1EEEvT1_.num_vgpr, 0
	.set _ZN7rocprim17ROCPRIM_400000_NS6detail17trampoline_kernelINS0_14default_configENS1_25partition_config_selectorILNS1_17partition_subalgoE5ElNS0_10empty_typeEbEEZZNS1_14partition_implILS5_5ELb0ES3_mN6hipcub16HIPCUB_304000_NS21CountingInputIteratorIllEEPS6_NSA_22TransformInputIteratorIb7NonZeroIsEPslEENS0_5tupleIJPlS6_EEENSJ_IJSD_SD_EEES6_SK_JS6_EEE10hipError_tPvRmT3_T4_T5_T6_T7_T9_mT8_P12ihipStream_tbDpT10_ENKUlT_T0_E_clISt17integral_constantIbLb0EES15_IbLb1EEEEDaS11_S12_EUlS11_E_NS1_11comp_targetILNS1_3genE5ELNS1_11target_archE942ELNS1_3gpuE9ELNS1_3repE0EEENS1_30default_config_static_selectorELNS0_4arch9wavefront6targetE1EEEvT1_.num_agpr, 0
	.set _ZN7rocprim17ROCPRIM_400000_NS6detail17trampoline_kernelINS0_14default_configENS1_25partition_config_selectorILNS1_17partition_subalgoE5ElNS0_10empty_typeEbEEZZNS1_14partition_implILS5_5ELb0ES3_mN6hipcub16HIPCUB_304000_NS21CountingInputIteratorIllEEPS6_NSA_22TransformInputIteratorIb7NonZeroIsEPslEENS0_5tupleIJPlS6_EEENSJ_IJSD_SD_EEES6_SK_JS6_EEE10hipError_tPvRmT3_T4_T5_T6_T7_T9_mT8_P12ihipStream_tbDpT10_ENKUlT_T0_E_clISt17integral_constantIbLb0EES15_IbLb1EEEEDaS11_S12_EUlS11_E_NS1_11comp_targetILNS1_3genE5ELNS1_11target_archE942ELNS1_3gpuE9ELNS1_3repE0EEENS1_30default_config_static_selectorELNS0_4arch9wavefront6targetE1EEEvT1_.numbered_sgpr, 0
	.set _ZN7rocprim17ROCPRIM_400000_NS6detail17trampoline_kernelINS0_14default_configENS1_25partition_config_selectorILNS1_17partition_subalgoE5ElNS0_10empty_typeEbEEZZNS1_14partition_implILS5_5ELb0ES3_mN6hipcub16HIPCUB_304000_NS21CountingInputIteratorIllEEPS6_NSA_22TransformInputIteratorIb7NonZeroIsEPslEENS0_5tupleIJPlS6_EEENSJ_IJSD_SD_EEES6_SK_JS6_EEE10hipError_tPvRmT3_T4_T5_T6_T7_T9_mT8_P12ihipStream_tbDpT10_ENKUlT_T0_E_clISt17integral_constantIbLb0EES15_IbLb1EEEEDaS11_S12_EUlS11_E_NS1_11comp_targetILNS1_3genE5ELNS1_11target_archE942ELNS1_3gpuE9ELNS1_3repE0EEENS1_30default_config_static_selectorELNS0_4arch9wavefront6targetE1EEEvT1_.num_named_barrier, 0
	.set _ZN7rocprim17ROCPRIM_400000_NS6detail17trampoline_kernelINS0_14default_configENS1_25partition_config_selectorILNS1_17partition_subalgoE5ElNS0_10empty_typeEbEEZZNS1_14partition_implILS5_5ELb0ES3_mN6hipcub16HIPCUB_304000_NS21CountingInputIteratorIllEEPS6_NSA_22TransformInputIteratorIb7NonZeroIsEPslEENS0_5tupleIJPlS6_EEENSJ_IJSD_SD_EEES6_SK_JS6_EEE10hipError_tPvRmT3_T4_T5_T6_T7_T9_mT8_P12ihipStream_tbDpT10_ENKUlT_T0_E_clISt17integral_constantIbLb0EES15_IbLb1EEEEDaS11_S12_EUlS11_E_NS1_11comp_targetILNS1_3genE5ELNS1_11target_archE942ELNS1_3gpuE9ELNS1_3repE0EEENS1_30default_config_static_selectorELNS0_4arch9wavefront6targetE1EEEvT1_.private_seg_size, 0
	.set _ZN7rocprim17ROCPRIM_400000_NS6detail17trampoline_kernelINS0_14default_configENS1_25partition_config_selectorILNS1_17partition_subalgoE5ElNS0_10empty_typeEbEEZZNS1_14partition_implILS5_5ELb0ES3_mN6hipcub16HIPCUB_304000_NS21CountingInputIteratorIllEEPS6_NSA_22TransformInputIteratorIb7NonZeroIsEPslEENS0_5tupleIJPlS6_EEENSJ_IJSD_SD_EEES6_SK_JS6_EEE10hipError_tPvRmT3_T4_T5_T6_T7_T9_mT8_P12ihipStream_tbDpT10_ENKUlT_T0_E_clISt17integral_constantIbLb0EES15_IbLb1EEEEDaS11_S12_EUlS11_E_NS1_11comp_targetILNS1_3genE5ELNS1_11target_archE942ELNS1_3gpuE9ELNS1_3repE0EEENS1_30default_config_static_selectorELNS0_4arch9wavefront6targetE1EEEvT1_.uses_vcc, 0
	.set _ZN7rocprim17ROCPRIM_400000_NS6detail17trampoline_kernelINS0_14default_configENS1_25partition_config_selectorILNS1_17partition_subalgoE5ElNS0_10empty_typeEbEEZZNS1_14partition_implILS5_5ELb0ES3_mN6hipcub16HIPCUB_304000_NS21CountingInputIteratorIllEEPS6_NSA_22TransformInputIteratorIb7NonZeroIsEPslEENS0_5tupleIJPlS6_EEENSJ_IJSD_SD_EEES6_SK_JS6_EEE10hipError_tPvRmT3_T4_T5_T6_T7_T9_mT8_P12ihipStream_tbDpT10_ENKUlT_T0_E_clISt17integral_constantIbLb0EES15_IbLb1EEEEDaS11_S12_EUlS11_E_NS1_11comp_targetILNS1_3genE5ELNS1_11target_archE942ELNS1_3gpuE9ELNS1_3repE0EEENS1_30default_config_static_selectorELNS0_4arch9wavefront6targetE1EEEvT1_.uses_flat_scratch, 0
	.set _ZN7rocprim17ROCPRIM_400000_NS6detail17trampoline_kernelINS0_14default_configENS1_25partition_config_selectorILNS1_17partition_subalgoE5ElNS0_10empty_typeEbEEZZNS1_14partition_implILS5_5ELb0ES3_mN6hipcub16HIPCUB_304000_NS21CountingInputIteratorIllEEPS6_NSA_22TransformInputIteratorIb7NonZeroIsEPslEENS0_5tupleIJPlS6_EEENSJ_IJSD_SD_EEES6_SK_JS6_EEE10hipError_tPvRmT3_T4_T5_T6_T7_T9_mT8_P12ihipStream_tbDpT10_ENKUlT_T0_E_clISt17integral_constantIbLb0EES15_IbLb1EEEEDaS11_S12_EUlS11_E_NS1_11comp_targetILNS1_3genE5ELNS1_11target_archE942ELNS1_3gpuE9ELNS1_3repE0EEENS1_30default_config_static_selectorELNS0_4arch9wavefront6targetE1EEEvT1_.has_dyn_sized_stack, 0
	.set _ZN7rocprim17ROCPRIM_400000_NS6detail17trampoline_kernelINS0_14default_configENS1_25partition_config_selectorILNS1_17partition_subalgoE5ElNS0_10empty_typeEbEEZZNS1_14partition_implILS5_5ELb0ES3_mN6hipcub16HIPCUB_304000_NS21CountingInputIteratorIllEEPS6_NSA_22TransformInputIteratorIb7NonZeroIsEPslEENS0_5tupleIJPlS6_EEENSJ_IJSD_SD_EEES6_SK_JS6_EEE10hipError_tPvRmT3_T4_T5_T6_T7_T9_mT8_P12ihipStream_tbDpT10_ENKUlT_T0_E_clISt17integral_constantIbLb0EES15_IbLb1EEEEDaS11_S12_EUlS11_E_NS1_11comp_targetILNS1_3genE5ELNS1_11target_archE942ELNS1_3gpuE9ELNS1_3repE0EEENS1_30default_config_static_selectorELNS0_4arch9wavefront6targetE1EEEvT1_.has_recursion, 0
	.set _ZN7rocprim17ROCPRIM_400000_NS6detail17trampoline_kernelINS0_14default_configENS1_25partition_config_selectorILNS1_17partition_subalgoE5ElNS0_10empty_typeEbEEZZNS1_14partition_implILS5_5ELb0ES3_mN6hipcub16HIPCUB_304000_NS21CountingInputIteratorIllEEPS6_NSA_22TransformInputIteratorIb7NonZeroIsEPslEENS0_5tupleIJPlS6_EEENSJ_IJSD_SD_EEES6_SK_JS6_EEE10hipError_tPvRmT3_T4_T5_T6_T7_T9_mT8_P12ihipStream_tbDpT10_ENKUlT_T0_E_clISt17integral_constantIbLb0EES15_IbLb1EEEEDaS11_S12_EUlS11_E_NS1_11comp_targetILNS1_3genE5ELNS1_11target_archE942ELNS1_3gpuE9ELNS1_3repE0EEENS1_30default_config_static_selectorELNS0_4arch9wavefront6targetE1EEEvT1_.has_indirect_call, 0
	.section	.AMDGPU.csdata,"",@progbits
; Kernel info:
; codeLenInByte = 0
; TotalNumSgprs: 6
; NumVgprs: 0
; NumAgprs: 0
; TotalNumVgprs: 0
; ScratchSize: 0
; MemoryBound: 0
; FloatMode: 240
; IeeeMode: 1
; LDSByteSize: 0 bytes/workgroup (compile time only)
; SGPRBlocks: 0
; VGPRBlocks: 0
; NumSGPRsForWavesPerEU: 6
; NumVGPRsForWavesPerEU: 1
; AccumOffset: 4
; Occupancy: 8
; WaveLimiterHint : 0
; COMPUTE_PGM_RSRC2:SCRATCH_EN: 0
; COMPUTE_PGM_RSRC2:USER_SGPR: 2
; COMPUTE_PGM_RSRC2:TRAP_HANDLER: 0
; COMPUTE_PGM_RSRC2:TGID_X_EN: 1
; COMPUTE_PGM_RSRC2:TGID_Y_EN: 0
; COMPUTE_PGM_RSRC2:TGID_Z_EN: 0
; COMPUTE_PGM_RSRC2:TIDIG_COMP_CNT: 0
; COMPUTE_PGM_RSRC3_GFX90A:ACCUM_OFFSET: 0
; COMPUTE_PGM_RSRC3_GFX90A:TG_SPLIT: 0
	.section	.text._ZN7rocprim17ROCPRIM_400000_NS6detail17trampoline_kernelINS0_14default_configENS1_25partition_config_selectorILNS1_17partition_subalgoE5ElNS0_10empty_typeEbEEZZNS1_14partition_implILS5_5ELb0ES3_mN6hipcub16HIPCUB_304000_NS21CountingInputIteratorIllEEPS6_NSA_22TransformInputIteratorIb7NonZeroIsEPslEENS0_5tupleIJPlS6_EEENSJ_IJSD_SD_EEES6_SK_JS6_EEE10hipError_tPvRmT3_T4_T5_T6_T7_T9_mT8_P12ihipStream_tbDpT10_ENKUlT_T0_E_clISt17integral_constantIbLb0EES15_IbLb1EEEEDaS11_S12_EUlS11_E_NS1_11comp_targetILNS1_3genE4ELNS1_11target_archE910ELNS1_3gpuE8ELNS1_3repE0EEENS1_30default_config_static_selectorELNS0_4arch9wavefront6targetE1EEEvT1_,"axG",@progbits,_ZN7rocprim17ROCPRIM_400000_NS6detail17trampoline_kernelINS0_14default_configENS1_25partition_config_selectorILNS1_17partition_subalgoE5ElNS0_10empty_typeEbEEZZNS1_14partition_implILS5_5ELb0ES3_mN6hipcub16HIPCUB_304000_NS21CountingInputIteratorIllEEPS6_NSA_22TransformInputIteratorIb7NonZeroIsEPslEENS0_5tupleIJPlS6_EEENSJ_IJSD_SD_EEES6_SK_JS6_EEE10hipError_tPvRmT3_T4_T5_T6_T7_T9_mT8_P12ihipStream_tbDpT10_ENKUlT_T0_E_clISt17integral_constantIbLb0EES15_IbLb1EEEEDaS11_S12_EUlS11_E_NS1_11comp_targetILNS1_3genE4ELNS1_11target_archE910ELNS1_3gpuE8ELNS1_3repE0EEENS1_30default_config_static_selectorELNS0_4arch9wavefront6targetE1EEEvT1_,comdat
	.protected	_ZN7rocprim17ROCPRIM_400000_NS6detail17trampoline_kernelINS0_14default_configENS1_25partition_config_selectorILNS1_17partition_subalgoE5ElNS0_10empty_typeEbEEZZNS1_14partition_implILS5_5ELb0ES3_mN6hipcub16HIPCUB_304000_NS21CountingInputIteratorIllEEPS6_NSA_22TransformInputIteratorIb7NonZeroIsEPslEENS0_5tupleIJPlS6_EEENSJ_IJSD_SD_EEES6_SK_JS6_EEE10hipError_tPvRmT3_T4_T5_T6_T7_T9_mT8_P12ihipStream_tbDpT10_ENKUlT_T0_E_clISt17integral_constantIbLb0EES15_IbLb1EEEEDaS11_S12_EUlS11_E_NS1_11comp_targetILNS1_3genE4ELNS1_11target_archE910ELNS1_3gpuE8ELNS1_3repE0EEENS1_30default_config_static_selectorELNS0_4arch9wavefront6targetE1EEEvT1_ ; -- Begin function _ZN7rocprim17ROCPRIM_400000_NS6detail17trampoline_kernelINS0_14default_configENS1_25partition_config_selectorILNS1_17partition_subalgoE5ElNS0_10empty_typeEbEEZZNS1_14partition_implILS5_5ELb0ES3_mN6hipcub16HIPCUB_304000_NS21CountingInputIteratorIllEEPS6_NSA_22TransformInputIteratorIb7NonZeroIsEPslEENS0_5tupleIJPlS6_EEENSJ_IJSD_SD_EEES6_SK_JS6_EEE10hipError_tPvRmT3_T4_T5_T6_T7_T9_mT8_P12ihipStream_tbDpT10_ENKUlT_T0_E_clISt17integral_constantIbLb0EES15_IbLb1EEEEDaS11_S12_EUlS11_E_NS1_11comp_targetILNS1_3genE4ELNS1_11target_archE910ELNS1_3gpuE8ELNS1_3repE0EEENS1_30default_config_static_selectorELNS0_4arch9wavefront6targetE1EEEvT1_
	.globl	_ZN7rocprim17ROCPRIM_400000_NS6detail17trampoline_kernelINS0_14default_configENS1_25partition_config_selectorILNS1_17partition_subalgoE5ElNS0_10empty_typeEbEEZZNS1_14partition_implILS5_5ELb0ES3_mN6hipcub16HIPCUB_304000_NS21CountingInputIteratorIllEEPS6_NSA_22TransformInputIteratorIb7NonZeroIsEPslEENS0_5tupleIJPlS6_EEENSJ_IJSD_SD_EEES6_SK_JS6_EEE10hipError_tPvRmT3_T4_T5_T6_T7_T9_mT8_P12ihipStream_tbDpT10_ENKUlT_T0_E_clISt17integral_constantIbLb0EES15_IbLb1EEEEDaS11_S12_EUlS11_E_NS1_11comp_targetILNS1_3genE4ELNS1_11target_archE910ELNS1_3gpuE8ELNS1_3repE0EEENS1_30default_config_static_selectorELNS0_4arch9wavefront6targetE1EEEvT1_
	.p2align	8
	.type	_ZN7rocprim17ROCPRIM_400000_NS6detail17trampoline_kernelINS0_14default_configENS1_25partition_config_selectorILNS1_17partition_subalgoE5ElNS0_10empty_typeEbEEZZNS1_14partition_implILS5_5ELb0ES3_mN6hipcub16HIPCUB_304000_NS21CountingInputIteratorIllEEPS6_NSA_22TransformInputIteratorIb7NonZeroIsEPslEENS0_5tupleIJPlS6_EEENSJ_IJSD_SD_EEES6_SK_JS6_EEE10hipError_tPvRmT3_T4_T5_T6_T7_T9_mT8_P12ihipStream_tbDpT10_ENKUlT_T0_E_clISt17integral_constantIbLb0EES15_IbLb1EEEEDaS11_S12_EUlS11_E_NS1_11comp_targetILNS1_3genE4ELNS1_11target_archE910ELNS1_3gpuE8ELNS1_3repE0EEENS1_30default_config_static_selectorELNS0_4arch9wavefront6targetE1EEEvT1_,@function
_ZN7rocprim17ROCPRIM_400000_NS6detail17trampoline_kernelINS0_14default_configENS1_25partition_config_selectorILNS1_17partition_subalgoE5ElNS0_10empty_typeEbEEZZNS1_14partition_implILS5_5ELb0ES3_mN6hipcub16HIPCUB_304000_NS21CountingInputIteratorIllEEPS6_NSA_22TransformInputIteratorIb7NonZeroIsEPslEENS0_5tupleIJPlS6_EEENSJ_IJSD_SD_EEES6_SK_JS6_EEE10hipError_tPvRmT3_T4_T5_T6_T7_T9_mT8_P12ihipStream_tbDpT10_ENKUlT_T0_E_clISt17integral_constantIbLb0EES15_IbLb1EEEEDaS11_S12_EUlS11_E_NS1_11comp_targetILNS1_3genE4ELNS1_11target_archE910ELNS1_3gpuE8ELNS1_3repE0EEENS1_30default_config_static_selectorELNS0_4arch9wavefront6targetE1EEEvT1_: ; @_ZN7rocprim17ROCPRIM_400000_NS6detail17trampoline_kernelINS0_14default_configENS1_25partition_config_selectorILNS1_17partition_subalgoE5ElNS0_10empty_typeEbEEZZNS1_14partition_implILS5_5ELb0ES3_mN6hipcub16HIPCUB_304000_NS21CountingInputIteratorIllEEPS6_NSA_22TransformInputIteratorIb7NonZeroIsEPslEENS0_5tupleIJPlS6_EEENSJ_IJSD_SD_EEES6_SK_JS6_EEE10hipError_tPvRmT3_T4_T5_T6_T7_T9_mT8_P12ihipStream_tbDpT10_ENKUlT_T0_E_clISt17integral_constantIbLb0EES15_IbLb1EEEEDaS11_S12_EUlS11_E_NS1_11comp_targetILNS1_3genE4ELNS1_11target_archE910ELNS1_3gpuE8ELNS1_3repE0EEENS1_30default_config_static_selectorELNS0_4arch9wavefront6targetE1EEEvT1_
; %bb.0:
	.section	.rodata,"a",@progbits
	.p2align	6, 0x0
	.amdhsa_kernel _ZN7rocprim17ROCPRIM_400000_NS6detail17trampoline_kernelINS0_14default_configENS1_25partition_config_selectorILNS1_17partition_subalgoE5ElNS0_10empty_typeEbEEZZNS1_14partition_implILS5_5ELb0ES3_mN6hipcub16HIPCUB_304000_NS21CountingInputIteratorIllEEPS6_NSA_22TransformInputIteratorIb7NonZeroIsEPslEENS0_5tupleIJPlS6_EEENSJ_IJSD_SD_EEES6_SK_JS6_EEE10hipError_tPvRmT3_T4_T5_T6_T7_T9_mT8_P12ihipStream_tbDpT10_ENKUlT_T0_E_clISt17integral_constantIbLb0EES15_IbLb1EEEEDaS11_S12_EUlS11_E_NS1_11comp_targetILNS1_3genE4ELNS1_11target_archE910ELNS1_3gpuE8ELNS1_3repE0EEENS1_30default_config_static_selectorELNS0_4arch9wavefront6targetE1EEEvT1_
		.amdhsa_group_segment_fixed_size 0
		.amdhsa_private_segment_fixed_size 0
		.amdhsa_kernarg_size 136
		.amdhsa_user_sgpr_count 2
		.amdhsa_user_sgpr_dispatch_ptr 0
		.amdhsa_user_sgpr_queue_ptr 0
		.amdhsa_user_sgpr_kernarg_segment_ptr 1
		.amdhsa_user_sgpr_dispatch_id 0
		.amdhsa_user_sgpr_kernarg_preload_length 0
		.amdhsa_user_sgpr_kernarg_preload_offset 0
		.amdhsa_user_sgpr_private_segment_size 0
		.amdhsa_uses_dynamic_stack 0
		.amdhsa_enable_private_segment 0
		.amdhsa_system_sgpr_workgroup_id_x 1
		.amdhsa_system_sgpr_workgroup_id_y 0
		.amdhsa_system_sgpr_workgroup_id_z 0
		.amdhsa_system_sgpr_workgroup_info 0
		.amdhsa_system_vgpr_workitem_id 0
		.amdhsa_next_free_vgpr 1
		.amdhsa_next_free_sgpr 0
		.amdhsa_accum_offset 4
		.amdhsa_reserve_vcc 0
		.amdhsa_float_round_mode_32 0
		.amdhsa_float_round_mode_16_64 0
		.amdhsa_float_denorm_mode_32 3
		.amdhsa_float_denorm_mode_16_64 3
		.amdhsa_dx10_clamp 1
		.amdhsa_ieee_mode 1
		.amdhsa_fp16_overflow 0
		.amdhsa_tg_split 0
		.amdhsa_exception_fp_ieee_invalid_op 0
		.amdhsa_exception_fp_denorm_src 0
		.amdhsa_exception_fp_ieee_div_zero 0
		.amdhsa_exception_fp_ieee_overflow 0
		.amdhsa_exception_fp_ieee_underflow 0
		.amdhsa_exception_fp_ieee_inexact 0
		.amdhsa_exception_int_div_zero 0
	.end_amdhsa_kernel
	.section	.text._ZN7rocprim17ROCPRIM_400000_NS6detail17trampoline_kernelINS0_14default_configENS1_25partition_config_selectorILNS1_17partition_subalgoE5ElNS0_10empty_typeEbEEZZNS1_14partition_implILS5_5ELb0ES3_mN6hipcub16HIPCUB_304000_NS21CountingInputIteratorIllEEPS6_NSA_22TransformInputIteratorIb7NonZeroIsEPslEENS0_5tupleIJPlS6_EEENSJ_IJSD_SD_EEES6_SK_JS6_EEE10hipError_tPvRmT3_T4_T5_T6_T7_T9_mT8_P12ihipStream_tbDpT10_ENKUlT_T0_E_clISt17integral_constantIbLb0EES15_IbLb1EEEEDaS11_S12_EUlS11_E_NS1_11comp_targetILNS1_3genE4ELNS1_11target_archE910ELNS1_3gpuE8ELNS1_3repE0EEENS1_30default_config_static_selectorELNS0_4arch9wavefront6targetE1EEEvT1_,"axG",@progbits,_ZN7rocprim17ROCPRIM_400000_NS6detail17trampoline_kernelINS0_14default_configENS1_25partition_config_selectorILNS1_17partition_subalgoE5ElNS0_10empty_typeEbEEZZNS1_14partition_implILS5_5ELb0ES3_mN6hipcub16HIPCUB_304000_NS21CountingInputIteratorIllEEPS6_NSA_22TransformInputIteratorIb7NonZeroIsEPslEENS0_5tupleIJPlS6_EEENSJ_IJSD_SD_EEES6_SK_JS6_EEE10hipError_tPvRmT3_T4_T5_T6_T7_T9_mT8_P12ihipStream_tbDpT10_ENKUlT_T0_E_clISt17integral_constantIbLb0EES15_IbLb1EEEEDaS11_S12_EUlS11_E_NS1_11comp_targetILNS1_3genE4ELNS1_11target_archE910ELNS1_3gpuE8ELNS1_3repE0EEENS1_30default_config_static_selectorELNS0_4arch9wavefront6targetE1EEEvT1_,comdat
.Lfunc_end143:
	.size	_ZN7rocprim17ROCPRIM_400000_NS6detail17trampoline_kernelINS0_14default_configENS1_25partition_config_selectorILNS1_17partition_subalgoE5ElNS0_10empty_typeEbEEZZNS1_14partition_implILS5_5ELb0ES3_mN6hipcub16HIPCUB_304000_NS21CountingInputIteratorIllEEPS6_NSA_22TransformInputIteratorIb7NonZeroIsEPslEENS0_5tupleIJPlS6_EEENSJ_IJSD_SD_EEES6_SK_JS6_EEE10hipError_tPvRmT3_T4_T5_T6_T7_T9_mT8_P12ihipStream_tbDpT10_ENKUlT_T0_E_clISt17integral_constantIbLb0EES15_IbLb1EEEEDaS11_S12_EUlS11_E_NS1_11comp_targetILNS1_3genE4ELNS1_11target_archE910ELNS1_3gpuE8ELNS1_3repE0EEENS1_30default_config_static_selectorELNS0_4arch9wavefront6targetE1EEEvT1_, .Lfunc_end143-_ZN7rocprim17ROCPRIM_400000_NS6detail17trampoline_kernelINS0_14default_configENS1_25partition_config_selectorILNS1_17partition_subalgoE5ElNS0_10empty_typeEbEEZZNS1_14partition_implILS5_5ELb0ES3_mN6hipcub16HIPCUB_304000_NS21CountingInputIteratorIllEEPS6_NSA_22TransformInputIteratorIb7NonZeroIsEPslEENS0_5tupleIJPlS6_EEENSJ_IJSD_SD_EEES6_SK_JS6_EEE10hipError_tPvRmT3_T4_T5_T6_T7_T9_mT8_P12ihipStream_tbDpT10_ENKUlT_T0_E_clISt17integral_constantIbLb0EES15_IbLb1EEEEDaS11_S12_EUlS11_E_NS1_11comp_targetILNS1_3genE4ELNS1_11target_archE910ELNS1_3gpuE8ELNS1_3repE0EEENS1_30default_config_static_selectorELNS0_4arch9wavefront6targetE1EEEvT1_
                                        ; -- End function
	.set _ZN7rocprim17ROCPRIM_400000_NS6detail17trampoline_kernelINS0_14default_configENS1_25partition_config_selectorILNS1_17partition_subalgoE5ElNS0_10empty_typeEbEEZZNS1_14partition_implILS5_5ELb0ES3_mN6hipcub16HIPCUB_304000_NS21CountingInputIteratorIllEEPS6_NSA_22TransformInputIteratorIb7NonZeroIsEPslEENS0_5tupleIJPlS6_EEENSJ_IJSD_SD_EEES6_SK_JS6_EEE10hipError_tPvRmT3_T4_T5_T6_T7_T9_mT8_P12ihipStream_tbDpT10_ENKUlT_T0_E_clISt17integral_constantIbLb0EES15_IbLb1EEEEDaS11_S12_EUlS11_E_NS1_11comp_targetILNS1_3genE4ELNS1_11target_archE910ELNS1_3gpuE8ELNS1_3repE0EEENS1_30default_config_static_selectorELNS0_4arch9wavefront6targetE1EEEvT1_.num_vgpr, 0
	.set _ZN7rocprim17ROCPRIM_400000_NS6detail17trampoline_kernelINS0_14default_configENS1_25partition_config_selectorILNS1_17partition_subalgoE5ElNS0_10empty_typeEbEEZZNS1_14partition_implILS5_5ELb0ES3_mN6hipcub16HIPCUB_304000_NS21CountingInputIteratorIllEEPS6_NSA_22TransformInputIteratorIb7NonZeroIsEPslEENS0_5tupleIJPlS6_EEENSJ_IJSD_SD_EEES6_SK_JS6_EEE10hipError_tPvRmT3_T4_T5_T6_T7_T9_mT8_P12ihipStream_tbDpT10_ENKUlT_T0_E_clISt17integral_constantIbLb0EES15_IbLb1EEEEDaS11_S12_EUlS11_E_NS1_11comp_targetILNS1_3genE4ELNS1_11target_archE910ELNS1_3gpuE8ELNS1_3repE0EEENS1_30default_config_static_selectorELNS0_4arch9wavefront6targetE1EEEvT1_.num_agpr, 0
	.set _ZN7rocprim17ROCPRIM_400000_NS6detail17trampoline_kernelINS0_14default_configENS1_25partition_config_selectorILNS1_17partition_subalgoE5ElNS0_10empty_typeEbEEZZNS1_14partition_implILS5_5ELb0ES3_mN6hipcub16HIPCUB_304000_NS21CountingInputIteratorIllEEPS6_NSA_22TransformInputIteratorIb7NonZeroIsEPslEENS0_5tupleIJPlS6_EEENSJ_IJSD_SD_EEES6_SK_JS6_EEE10hipError_tPvRmT3_T4_T5_T6_T7_T9_mT8_P12ihipStream_tbDpT10_ENKUlT_T0_E_clISt17integral_constantIbLb0EES15_IbLb1EEEEDaS11_S12_EUlS11_E_NS1_11comp_targetILNS1_3genE4ELNS1_11target_archE910ELNS1_3gpuE8ELNS1_3repE0EEENS1_30default_config_static_selectorELNS0_4arch9wavefront6targetE1EEEvT1_.numbered_sgpr, 0
	.set _ZN7rocprim17ROCPRIM_400000_NS6detail17trampoline_kernelINS0_14default_configENS1_25partition_config_selectorILNS1_17partition_subalgoE5ElNS0_10empty_typeEbEEZZNS1_14partition_implILS5_5ELb0ES3_mN6hipcub16HIPCUB_304000_NS21CountingInputIteratorIllEEPS6_NSA_22TransformInputIteratorIb7NonZeroIsEPslEENS0_5tupleIJPlS6_EEENSJ_IJSD_SD_EEES6_SK_JS6_EEE10hipError_tPvRmT3_T4_T5_T6_T7_T9_mT8_P12ihipStream_tbDpT10_ENKUlT_T0_E_clISt17integral_constantIbLb0EES15_IbLb1EEEEDaS11_S12_EUlS11_E_NS1_11comp_targetILNS1_3genE4ELNS1_11target_archE910ELNS1_3gpuE8ELNS1_3repE0EEENS1_30default_config_static_selectorELNS0_4arch9wavefront6targetE1EEEvT1_.num_named_barrier, 0
	.set _ZN7rocprim17ROCPRIM_400000_NS6detail17trampoline_kernelINS0_14default_configENS1_25partition_config_selectorILNS1_17partition_subalgoE5ElNS0_10empty_typeEbEEZZNS1_14partition_implILS5_5ELb0ES3_mN6hipcub16HIPCUB_304000_NS21CountingInputIteratorIllEEPS6_NSA_22TransformInputIteratorIb7NonZeroIsEPslEENS0_5tupleIJPlS6_EEENSJ_IJSD_SD_EEES6_SK_JS6_EEE10hipError_tPvRmT3_T4_T5_T6_T7_T9_mT8_P12ihipStream_tbDpT10_ENKUlT_T0_E_clISt17integral_constantIbLb0EES15_IbLb1EEEEDaS11_S12_EUlS11_E_NS1_11comp_targetILNS1_3genE4ELNS1_11target_archE910ELNS1_3gpuE8ELNS1_3repE0EEENS1_30default_config_static_selectorELNS0_4arch9wavefront6targetE1EEEvT1_.private_seg_size, 0
	.set _ZN7rocprim17ROCPRIM_400000_NS6detail17trampoline_kernelINS0_14default_configENS1_25partition_config_selectorILNS1_17partition_subalgoE5ElNS0_10empty_typeEbEEZZNS1_14partition_implILS5_5ELb0ES3_mN6hipcub16HIPCUB_304000_NS21CountingInputIteratorIllEEPS6_NSA_22TransformInputIteratorIb7NonZeroIsEPslEENS0_5tupleIJPlS6_EEENSJ_IJSD_SD_EEES6_SK_JS6_EEE10hipError_tPvRmT3_T4_T5_T6_T7_T9_mT8_P12ihipStream_tbDpT10_ENKUlT_T0_E_clISt17integral_constantIbLb0EES15_IbLb1EEEEDaS11_S12_EUlS11_E_NS1_11comp_targetILNS1_3genE4ELNS1_11target_archE910ELNS1_3gpuE8ELNS1_3repE0EEENS1_30default_config_static_selectorELNS0_4arch9wavefront6targetE1EEEvT1_.uses_vcc, 0
	.set _ZN7rocprim17ROCPRIM_400000_NS6detail17trampoline_kernelINS0_14default_configENS1_25partition_config_selectorILNS1_17partition_subalgoE5ElNS0_10empty_typeEbEEZZNS1_14partition_implILS5_5ELb0ES3_mN6hipcub16HIPCUB_304000_NS21CountingInputIteratorIllEEPS6_NSA_22TransformInputIteratorIb7NonZeroIsEPslEENS0_5tupleIJPlS6_EEENSJ_IJSD_SD_EEES6_SK_JS6_EEE10hipError_tPvRmT3_T4_T5_T6_T7_T9_mT8_P12ihipStream_tbDpT10_ENKUlT_T0_E_clISt17integral_constantIbLb0EES15_IbLb1EEEEDaS11_S12_EUlS11_E_NS1_11comp_targetILNS1_3genE4ELNS1_11target_archE910ELNS1_3gpuE8ELNS1_3repE0EEENS1_30default_config_static_selectorELNS0_4arch9wavefront6targetE1EEEvT1_.uses_flat_scratch, 0
	.set _ZN7rocprim17ROCPRIM_400000_NS6detail17trampoline_kernelINS0_14default_configENS1_25partition_config_selectorILNS1_17partition_subalgoE5ElNS0_10empty_typeEbEEZZNS1_14partition_implILS5_5ELb0ES3_mN6hipcub16HIPCUB_304000_NS21CountingInputIteratorIllEEPS6_NSA_22TransformInputIteratorIb7NonZeroIsEPslEENS0_5tupleIJPlS6_EEENSJ_IJSD_SD_EEES6_SK_JS6_EEE10hipError_tPvRmT3_T4_T5_T6_T7_T9_mT8_P12ihipStream_tbDpT10_ENKUlT_T0_E_clISt17integral_constantIbLb0EES15_IbLb1EEEEDaS11_S12_EUlS11_E_NS1_11comp_targetILNS1_3genE4ELNS1_11target_archE910ELNS1_3gpuE8ELNS1_3repE0EEENS1_30default_config_static_selectorELNS0_4arch9wavefront6targetE1EEEvT1_.has_dyn_sized_stack, 0
	.set _ZN7rocprim17ROCPRIM_400000_NS6detail17trampoline_kernelINS0_14default_configENS1_25partition_config_selectorILNS1_17partition_subalgoE5ElNS0_10empty_typeEbEEZZNS1_14partition_implILS5_5ELb0ES3_mN6hipcub16HIPCUB_304000_NS21CountingInputIteratorIllEEPS6_NSA_22TransformInputIteratorIb7NonZeroIsEPslEENS0_5tupleIJPlS6_EEENSJ_IJSD_SD_EEES6_SK_JS6_EEE10hipError_tPvRmT3_T4_T5_T6_T7_T9_mT8_P12ihipStream_tbDpT10_ENKUlT_T0_E_clISt17integral_constantIbLb0EES15_IbLb1EEEEDaS11_S12_EUlS11_E_NS1_11comp_targetILNS1_3genE4ELNS1_11target_archE910ELNS1_3gpuE8ELNS1_3repE0EEENS1_30default_config_static_selectorELNS0_4arch9wavefront6targetE1EEEvT1_.has_recursion, 0
	.set _ZN7rocprim17ROCPRIM_400000_NS6detail17trampoline_kernelINS0_14default_configENS1_25partition_config_selectorILNS1_17partition_subalgoE5ElNS0_10empty_typeEbEEZZNS1_14partition_implILS5_5ELb0ES3_mN6hipcub16HIPCUB_304000_NS21CountingInputIteratorIllEEPS6_NSA_22TransformInputIteratorIb7NonZeroIsEPslEENS0_5tupleIJPlS6_EEENSJ_IJSD_SD_EEES6_SK_JS6_EEE10hipError_tPvRmT3_T4_T5_T6_T7_T9_mT8_P12ihipStream_tbDpT10_ENKUlT_T0_E_clISt17integral_constantIbLb0EES15_IbLb1EEEEDaS11_S12_EUlS11_E_NS1_11comp_targetILNS1_3genE4ELNS1_11target_archE910ELNS1_3gpuE8ELNS1_3repE0EEENS1_30default_config_static_selectorELNS0_4arch9wavefront6targetE1EEEvT1_.has_indirect_call, 0
	.section	.AMDGPU.csdata,"",@progbits
; Kernel info:
; codeLenInByte = 0
; TotalNumSgprs: 6
; NumVgprs: 0
; NumAgprs: 0
; TotalNumVgprs: 0
; ScratchSize: 0
; MemoryBound: 0
; FloatMode: 240
; IeeeMode: 1
; LDSByteSize: 0 bytes/workgroup (compile time only)
; SGPRBlocks: 0
; VGPRBlocks: 0
; NumSGPRsForWavesPerEU: 6
; NumVGPRsForWavesPerEU: 1
; AccumOffset: 4
; Occupancy: 8
; WaveLimiterHint : 0
; COMPUTE_PGM_RSRC2:SCRATCH_EN: 0
; COMPUTE_PGM_RSRC2:USER_SGPR: 2
; COMPUTE_PGM_RSRC2:TRAP_HANDLER: 0
; COMPUTE_PGM_RSRC2:TGID_X_EN: 1
; COMPUTE_PGM_RSRC2:TGID_Y_EN: 0
; COMPUTE_PGM_RSRC2:TGID_Z_EN: 0
; COMPUTE_PGM_RSRC2:TIDIG_COMP_CNT: 0
; COMPUTE_PGM_RSRC3_GFX90A:ACCUM_OFFSET: 0
; COMPUTE_PGM_RSRC3_GFX90A:TG_SPLIT: 0
	.section	.text._ZN7rocprim17ROCPRIM_400000_NS6detail17trampoline_kernelINS0_14default_configENS1_25partition_config_selectorILNS1_17partition_subalgoE5ElNS0_10empty_typeEbEEZZNS1_14partition_implILS5_5ELb0ES3_mN6hipcub16HIPCUB_304000_NS21CountingInputIteratorIllEEPS6_NSA_22TransformInputIteratorIb7NonZeroIsEPslEENS0_5tupleIJPlS6_EEENSJ_IJSD_SD_EEES6_SK_JS6_EEE10hipError_tPvRmT3_T4_T5_T6_T7_T9_mT8_P12ihipStream_tbDpT10_ENKUlT_T0_E_clISt17integral_constantIbLb0EES15_IbLb1EEEEDaS11_S12_EUlS11_E_NS1_11comp_targetILNS1_3genE3ELNS1_11target_archE908ELNS1_3gpuE7ELNS1_3repE0EEENS1_30default_config_static_selectorELNS0_4arch9wavefront6targetE1EEEvT1_,"axG",@progbits,_ZN7rocprim17ROCPRIM_400000_NS6detail17trampoline_kernelINS0_14default_configENS1_25partition_config_selectorILNS1_17partition_subalgoE5ElNS0_10empty_typeEbEEZZNS1_14partition_implILS5_5ELb0ES3_mN6hipcub16HIPCUB_304000_NS21CountingInputIteratorIllEEPS6_NSA_22TransformInputIteratorIb7NonZeroIsEPslEENS0_5tupleIJPlS6_EEENSJ_IJSD_SD_EEES6_SK_JS6_EEE10hipError_tPvRmT3_T4_T5_T6_T7_T9_mT8_P12ihipStream_tbDpT10_ENKUlT_T0_E_clISt17integral_constantIbLb0EES15_IbLb1EEEEDaS11_S12_EUlS11_E_NS1_11comp_targetILNS1_3genE3ELNS1_11target_archE908ELNS1_3gpuE7ELNS1_3repE0EEENS1_30default_config_static_selectorELNS0_4arch9wavefront6targetE1EEEvT1_,comdat
	.protected	_ZN7rocprim17ROCPRIM_400000_NS6detail17trampoline_kernelINS0_14default_configENS1_25partition_config_selectorILNS1_17partition_subalgoE5ElNS0_10empty_typeEbEEZZNS1_14partition_implILS5_5ELb0ES3_mN6hipcub16HIPCUB_304000_NS21CountingInputIteratorIllEEPS6_NSA_22TransformInputIteratorIb7NonZeroIsEPslEENS0_5tupleIJPlS6_EEENSJ_IJSD_SD_EEES6_SK_JS6_EEE10hipError_tPvRmT3_T4_T5_T6_T7_T9_mT8_P12ihipStream_tbDpT10_ENKUlT_T0_E_clISt17integral_constantIbLb0EES15_IbLb1EEEEDaS11_S12_EUlS11_E_NS1_11comp_targetILNS1_3genE3ELNS1_11target_archE908ELNS1_3gpuE7ELNS1_3repE0EEENS1_30default_config_static_selectorELNS0_4arch9wavefront6targetE1EEEvT1_ ; -- Begin function _ZN7rocprim17ROCPRIM_400000_NS6detail17trampoline_kernelINS0_14default_configENS1_25partition_config_selectorILNS1_17partition_subalgoE5ElNS0_10empty_typeEbEEZZNS1_14partition_implILS5_5ELb0ES3_mN6hipcub16HIPCUB_304000_NS21CountingInputIteratorIllEEPS6_NSA_22TransformInputIteratorIb7NonZeroIsEPslEENS0_5tupleIJPlS6_EEENSJ_IJSD_SD_EEES6_SK_JS6_EEE10hipError_tPvRmT3_T4_T5_T6_T7_T9_mT8_P12ihipStream_tbDpT10_ENKUlT_T0_E_clISt17integral_constantIbLb0EES15_IbLb1EEEEDaS11_S12_EUlS11_E_NS1_11comp_targetILNS1_3genE3ELNS1_11target_archE908ELNS1_3gpuE7ELNS1_3repE0EEENS1_30default_config_static_selectorELNS0_4arch9wavefront6targetE1EEEvT1_
	.globl	_ZN7rocprim17ROCPRIM_400000_NS6detail17trampoline_kernelINS0_14default_configENS1_25partition_config_selectorILNS1_17partition_subalgoE5ElNS0_10empty_typeEbEEZZNS1_14partition_implILS5_5ELb0ES3_mN6hipcub16HIPCUB_304000_NS21CountingInputIteratorIllEEPS6_NSA_22TransformInputIteratorIb7NonZeroIsEPslEENS0_5tupleIJPlS6_EEENSJ_IJSD_SD_EEES6_SK_JS6_EEE10hipError_tPvRmT3_T4_T5_T6_T7_T9_mT8_P12ihipStream_tbDpT10_ENKUlT_T0_E_clISt17integral_constantIbLb0EES15_IbLb1EEEEDaS11_S12_EUlS11_E_NS1_11comp_targetILNS1_3genE3ELNS1_11target_archE908ELNS1_3gpuE7ELNS1_3repE0EEENS1_30default_config_static_selectorELNS0_4arch9wavefront6targetE1EEEvT1_
	.p2align	8
	.type	_ZN7rocprim17ROCPRIM_400000_NS6detail17trampoline_kernelINS0_14default_configENS1_25partition_config_selectorILNS1_17partition_subalgoE5ElNS0_10empty_typeEbEEZZNS1_14partition_implILS5_5ELb0ES3_mN6hipcub16HIPCUB_304000_NS21CountingInputIteratorIllEEPS6_NSA_22TransformInputIteratorIb7NonZeroIsEPslEENS0_5tupleIJPlS6_EEENSJ_IJSD_SD_EEES6_SK_JS6_EEE10hipError_tPvRmT3_T4_T5_T6_T7_T9_mT8_P12ihipStream_tbDpT10_ENKUlT_T0_E_clISt17integral_constantIbLb0EES15_IbLb1EEEEDaS11_S12_EUlS11_E_NS1_11comp_targetILNS1_3genE3ELNS1_11target_archE908ELNS1_3gpuE7ELNS1_3repE0EEENS1_30default_config_static_selectorELNS0_4arch9wavefront6targetE1EEEvT1_,@function
_ZN7rocprim17ROCPRIM_400000_NS6detail17trampoline_kernelINS0_14default_configENS1_25partition_config_selectorILNS1_17partition_subalgoE5ElNS0_10empty_typeEbEEZZNS1_14partition_implILS5_5ELb0ES3_mN6hipcub16HIPCUB_304000_NS21CountingInputIteratorIllEEPS6_NSA_22TransformInputIteratorIb7NonZeroIsEPslEENS0_5tupleIJPlS6_EEENSJ_IJSD_SD_EEES6_SK_JS6_EEE10hipError_tPvRmT3_T4_T5_T6_T7_T9_mT8_P12ihipStream_tbDpT10_ENKUlT_T0_E_clISt17integral_constantIbLb0EES15_IbLb1EEEEDaS11_S12_EUlS11_E_NS1_11comp_targetILNS1_3genE3ELNS1_11target_archE908ELNS1_3gpuE7ELNS1_3repE0EEENS1_30default_config_static_selectorELNS0_4arch9wavefront6targetE1EEEvT1_: ; @_ZN7rocprim17ROCPRIM_400000_NS6detail17trampoline_kernelINS0_14default_configENS1_25partition_config_selectorILNS1_17partition_subalgoE5ElNS0_10empty_typeEbEEZZNS1_14partition_implILS5_5ELb0ES3_mN6hipcub16HIPCUB_304000_NS21CountingInputIteratorIllEEPS6_NSA_22TransformInputIteratorIb7NonZeroIsEPslEENS0_5tupleIJPlS6_EEENSJ_IJSD_SD_EEES6_SK_JS6_EEE10hipError_tPvRmT3_T4_T5_T6_T7_T9_mT8_P12ihipStream_tbDpT10_ENKUlT_T0_E_clISt17integral_constantIbLb0EES15_IbLb1EEEEDaS11_S12_EUlS11_E_NS1_11comp_targetILNS1_3genE3ELNS1_11target_archE908ELNS1_3gpuE7ELNS1_3repE0EEENS1_30default_config_static_selectorELNS0_4arch9wavefront6targetE1EEEvT1_
; %bb.0:
	.section	.rodata,"a",@progbits
	.p2align	6, 0x0
	.amdhsa_kernel _ZN7rocprim17ROCPRIM_400000_NS6detail17trampoline_kernelINS0_14default_configENS1_25partition_config_selectorILNS1_17partition_subalgoE5ElNS0_10empty_typeEbEEZZNS1_14partition_implILS5_5ELb0ES3_mN6hipcub16HIPCUB_304000_NS21CountingInputIteratorIllEEPS6_NSA_22TransformInputIteratorIb7NonZeroIsEPslEENS0_5tupleIJPlS6_EEENSJ_IJSD_SD_EEES6_SK_JS6_EEE10hipError_tPvRmT3_T4_T5_T6_T7_T9_mT8_P12ihipStream_tbDpT10_ENKUlT_T0_E_clISt17integral_constantIbLb0EES15_IbLb1EEEEDaS11_S12_EUlS11_E_NS1_11comp_targetILNS1_3genE3ELNS1_11target_archE908ELNS1_3gpuE7ELNS1_3repE0EEENS1_30default_config_static_selectorELNS0_4arch9wavefront6targetE1EEEvT1_
		.amdhsa_group_segment_fixed_size 0
		.amdhsa_private_segment_fixed_size 0
		.amdhsa_kernarg_size 136
		.amdhsa_user_sgpr_count 2
		.amdhsa_user_sgpr_dispatch_ptr 0
		.amdhsa_user_sgpr_queue_ptr 0
		.amdhsa_user_sgpr_kernarg_segment_ptr 1
		.amdhsa_user_sgpr_dispatch_id 0
		.amdhsa_user_sgpr_kernarg_preload_length 0
		.amdhsa_user_sgpr_kernarg_preload_offset 0
		.amdhsa_user_sgpr_private_segment_size 0
		.amdhsa_uses_dynamic_stack 0
		.amdhsa_enable_private_segment 0
		.amdhsa_system_sgpr_workgroup_id_x 1
		.amdhsa_system_sgpr_workgroup_id_y 0
		.amdhsa_system_sgpr_workgroup_id_z 0
		.amdhsa_system_sgpr_workgroup_info 0
		.amdhsa_system_vgpr_workitem_id 0
		.amdhsa_next_free_vgpr 1
		.amdhsa_next_free_sgpr 0
		.amdhsa_accum_offset 4
		.amdhsa_reserve_vcc 0
		.amdhsa_float_round_mode_32 0
		.amdhsa_float_round_mode_16_64 0
		.amdhsa_float_denorm_mode_32 3
		.amdhsa_float_denorm_mode_16_64 3
		.amdhsa_dx10_clamp 1
		.amdhsa_ieee_mode 1
		.amdhsa_fp16_overflow 0
		.amdhsa_tg_split 0
		.amdhsa_exception_fp_ieee_invalid_op 0
		.amdhsa_exception_fp_denorm_src 0
		.amdhsa_exception_fp_ieee_div_zero 0
		.amdhsa_exception_fp_ieee_overflow 0
		.amdhsa_exception_fp_ieee_underflow 0
		.amdhsa_exception_fp_ieee_inexact 0
		.amdhsa_exception_int_div_zero 0
	.end_amdhsa_kernel
	.section	.text._ZN7rocprim17ROCPRIM_400000_NS6detail17trampoline_kernelINS0_14default_configENS1_25partition_config_selectorILNS1_17partition_subalgoE5ElNS0_10empty_typeEbEEZZNS1_14partition_implILS5_5ELb0ES3_mN6hipcub16HIPCUB_304000_NS21CountingInputIteratorIllEEPS6_NSA_22TransformInputIteratorIb7NonZeroIsEPslEENS0_5tupleIJPlS6_EEENSJ_IJSD_SD_EEES6_SK_JS6_EEE10hipError_tPvRmT3_T4_T5_T6_T7_T9_mT8_P12ihipStream_tbDpT10_ENKUlT_T0_E_clISt17integral_constantIbLb0EES15_IbLb1EEEEDaS11_S12_EUlS11_E_NS1_11comp_targetILNS1_3genE3ELNS1_11target_archE908ELNS1_3gpuE7ELNS1_3repE0EEENS1_30default_config_static_selectorELNS0_4arch9wavefront6targetE1EEEvT1_,"axG",@progbits,_ZN7rocprim17ROCPRIM_400000_NS6detail17trampoline_kernelINS0_14default_configENS1_25partition_config_selectorILNS1_17partition_subalgoE5ElNS0_10empty_typeEbEEZZNS1_14partition_implILS5_5ELb0ES3_mN6hipcub16HIPCUB_304000_NS21CountingInputIteratorIllEEPS6_NSA_22TransformInputIteratorIb7NonZeroIsEPslEENS0_5tupleIJPlS6_EEENSJ_IJSD_SD_EEES6_SK_JS6_EEE10hipError_tPvRmT3_T4_T5_T6_T7_T9_mT8_P12ihipStream_tbDpT10_ENKUlT_T0_E_clISt17integral_constantIbLb0EES15_IbLb1EEEEDaS11_S12_EUlS11_E_NS1_11comp_targetILNS1_3genE3ELNS1_11target_archE908ELNS1_3gpuE7ELNS1_3repE0EEENS1_30default_config_static_selectorELNS0_4arch9wavefront6targetE1EEEvT1_,comdat
.Lfunc_end144:
	.size	_ZN7rocprim17ROCPRIM_400000_NS6detail17trampoline_kernelINS0_14default_configENS1_25partition_config_selectorILNS1_17partition_subalgoE5ElNS0_10empty_typeEbEEZZNS1_14partition_implILS5_5ELb0ES3_mN6hipcub16HIPCUB_304000_NS21CountingInputIteratorIllEEPS6_NSA_22TransformInputIteratorIb7NonZeroIsEPslEENS0_5tupleIJPlS6_EEENSJ_IJSD_SD_EEES6_SK_JS6_EEE10hipError_tPvRmT3_T4_T5_T6_T7_T9_mT8_P12ihipStream_tbDpT10_ENKUlT_T0_E_clISt17integral_constantIbLb0EES15_IbLb1EEEEDaS11_S12_EUlS11_E_NS1_11comp_targetILNS1_3genE3ELNS1_11target_archE908ELNS1_3gpuE7ELNS1_3repE0EEENS1_30default_config_static_selectorELNS0_4arch9wavefront6targetE1EEEvT1_, .Lfunc_end144-_ZN7rocprim17ROCPRIM_400000_NS6detail17trampoline_kernelINS0_14default_configENS1_25partition_config_selectorILNS1_17partition_subalgoE5ElNS0_10empty_typeEbEEZZNS1_14partition_implILS5_5ELb0ES3_mN6hipcub16HIPCUB_304000_NS21CountingInputIteratorIllEEPS6_NSA_22TransformInputIteratorIb7NonZeroIsEPslEENS0_5tupleIJPlS6_EEENSJ_IJSD_SD_EEES6_SK_JS6_EEE10hipError_tPvRmT3_T4_T5_T6_T7_T9_mT8_P12ihipStream_tbDpT10_ENKUlT_T0_E_clISt17integral_constantIbLb0EES15_IbLb1EEEEDaS11_S12_EUlS11_E_NS1_11comp_targetILNS1_3genE3ELNS1_11target_archE908ELNS1_3gpuE7ELNS1_3repE0EEENS1_30default_config_static_selectorELNS0_4arch9wavefront6targetE1EEEvT1_
                                        ; -- End function
	.set _ZN7rocprim17ROCPRIM_400000_NS6detail17trampoline_kernelINS0_14default_configENS1_25partition_config_selectorILNS1_17partition_subalgoE5ElNS0_10empty_typeEbEEZZNS1_14partition_implILS5_5ELb0ES3_mN6hipcub16HIPCUB_304000_NS21CountingInputIteratorIllEEPS6_NSA_22TransformInputIteratorIb7NonZeroIsEPslEENS0_5tupleIJPlS6_EEENSJ_IJSD_SD_EEES6_SK_JS6_EEE10hipError_tPvRmT3_T4_T5_T6_T7_T9_mT8_P12ihipStream_tbDpT10_ENKUlT_T0_E_clISt17integral_constantIbLb0EES15_IbLb1EEEEDaS11_S12_EUlS11_E_NS1_11comp_targetILNS1_3genE3ELNS1_11target_archE908ELNS1_3gpuE7ELNS1_3repE0EEENS1_30default_config_static_selectorELNS0_4arch9wavefront6targetE1EEEvT1_.num_vgpr, 0
	.set _ZN7rocprim17ROCPRIM_400000_NS6detail17trampoline_kernelINS0_14default_configENS1_25partition_config_selectorILNS1_17partition_subalgoE5ElNS0_10empty_typeEbEEZZNS1_14partition_implILS5_5ELb0ES3_mN6hipcub16HIPCUB_304000_NS21CountingInputIteratorIllEEPS6_NSA_22TransformInputIteratorIb7NonZeroIsEPslEENS0_5tupleIJPlS6_EEENSJ_IJSD_SD_EEES6_SK_JS6_EEE10hipError_tPvRmT3_T4_T5_T6_T7_T9_mT8_P12ihipStream_tbDpT10_ENKUlT_T0_E_clISt17integral_constantIbLb0EES15_IbLb1EEEEDaS11_S12_EUlS11_E_NS1_11comp_targetILNS1_3genE3ELNS1_11target_archE908ELNS1_3gpuE7ELNS1_3repE0EEENS1_30default_config_static_selectorELNS0_4arch9wavefront6targetE1EEEvT1_.num_agpr, 0
	.set _ZN7rocprim17ROCPRIM_400000_NS6detail17trampoline_kernelINS0_14default_configENS1_25partition_config_selectorILNS1_17partition_subalgoE5ElNS0_10empty_typeEbEEZZNS1_14partition_implILS5_5ELb0ES3_mN6hipcub16HIPCUB_304000_NS21CountingInputIteratorIllEEPS6_NSA_22TransformInputIteratorIb7NonZeroIsEPslEENS0_5tupleIJPlS6_EEENSJ_IJSD_SD_EEES6_SK_JS6_EEE10hipError_tPvRmT3_T4_T5_T6_T7_T9_mT8_P12ihipStream_tbDpT10_ENKUlT_T0_E_clISt17integral_constantIbLb0EES15_IbLb1EEEEDaS11_S12_EUlS11_E_NS1_11comp_targetILNS1_3genE3ELNS1_11target_archE908ELNS1_3gpuE7ELNS1_3repE0EEENS1_30default_config_static_selectorELNS0_4arch9wavefront6targetE1EEEvT1_.numbered_sgpr, 0
	.set _ZN7rocprim17ROCPRIM_400000_NS6detail17trampoline_kernelINS0_14default_configENS1_25partition_config_selectorILNS1_17partition_subalgoE5ElNS0_10empty_typeEbEEZZNS1_14partition_implILS5_5ELb0ES3_mN6hipcub16HIPCUB_304000_NS21CountingInputIteratorIllEEPS6_NSA_22TransformInputIteratorIb7NonZeroIsEPslEENS0_5tupleIJPlS6_EEENSJ_IJSD_SD_EEES6_SK_JS6_EEE10hipError_tPvRmT3_T4_T5_T6_T7_T9_mT8_P12ihipStream_tbDpT10_ENKUlT_T0_E_clISt17integral_constantIbLb0EES15_IbLb1EEEEDaS11_S12_EUlS11_E_NS1_11comp_targetILNS1_3genE3ELNS1_11target_archE908ELNS1_3gpuE7ELNS1_3repE0EEENS1_30default_config_static_selectorELNS0_4arch9wavefront6targetE1EEEvT1_.num_named_barrier, 0
	.set _ZN7rocprim17ROCPRIM_400000_NS6detail17trampoline_kernelINS0_14default_configENS1_25partition_config_selectorILNS1_17partition_subalgoE5ElNS0_10empty_typeEbEEZZNS1_14partition_implILS5_5ELb0ES3_mN6hipcub16HIPCUB_304000_NS21CountingInputIteratorIllEEPS6_NSA_22TransformInputIteratorIb7NonZeroIsEPslEENS0_5tupleIJPlS6_EEENSJ_IJSD_SD_EEES6_SK_JS6_EEE10hipError_tPvRmT3_T4_T5_T6_T7_T9_mT8_P12ihipStream_tbDpT10_ENKUlT_T0_E_clISt17integral_constantIbLb0EES15_IbLb1EEEEDaS11_S12_EUlS11_E_NS1_11comp_targetILNS1_3genE3ELNS1_11target_archE908ELNS1_3gpuE7ELNS1_3repE0EEENS1_30default_config_static_selectorELNS0_4arch9wavefront6targetE1EEEvT1_.private_seg_size, 0
	.set _ZN7rocprim17ROCPRIM_400000_NS6detail17trampoline_kernelINS0_14default_configENS1_25partition_config_selectorILNS1_17partition_subalgoE5ElNS0_10empty_typeEbEEZZNS1_14partition_implILS5_5ELb0ES3_mN6hipcub16HIPCUB_304000_NS21CountingInputIteratorIllEEPS6_NSA_22TransformInputIteratorIb7NonZeroIsEPslEENS0_5tupleIJPlS6_EEENSJ_IJSD_SD_EEES6_SK_JS6_EEE10hipError_tPvRmT3_T4_T5_T6_T7_T9_mT8_P12ihipStream_tbDpT10_ENKUlT_T0_E_clISt17integral_constantIbLb0EES15_IbLb1EEEEDaS11_S12_EUlS11_E_NS1_11comp_targetILNS1_3genE3ELNS1_11target_archE908ELNS1_3gpuE7ELNS1_3repE0EEENS1_30default_config_static_selectorELNS0_4arch9wavefront6targetE1EEEvT1_.uses_vcc, 0
	.set _ZN7rocprim17ROCPRIM_400000_NS6detail17trampoline_kernelINS0_14default_configENS1_25partition_config_selectorILNS1_17partition_subalgoE5ElNS0_10empty_typeEbEEZZNS1_14partition_implILS5_5ELb0ES3_mN6hipcub16HIPCUB_304000_NS21CountingInputIteratorIllEEPS6_NSA_22TransformInputIteratorIb7NonZeroIsEPslEENS0_5tupleIJPlS6_EEENSJ_IJSD_SD_EEES6_SK_JS6_EEE10hipError_tPvRmT3_T4_T5_T6_T7_T9_mT8_P12ihipStream_tbDpT10_ENKUlT_T0_E_clISt17integral_constantIbLb0EES15_IbLb1EEEEDaS11_S12_EUlS11_E_NS1_11comp_targetILNS1_3genE3ELNS1_11target_archE908ELNS1_3gpuE7ELNS1_3repE0EEENS1_30default_config_static_selectorELNS0_4arch9wavefront6targetE1EEEvT1_.uses_flat_scratch, 0
	.set _ZN7rocprim17ROCPRIM_400000_NS6detail17trampoline_kernelINS0_14default_configENS1_25partition_config_selectorILNS1_17partition_subalgoE5ElNS0_10empty_typeEbEEZZNS1_14partition_implILS5_5ELb0ES3_mN6hipcub16HIPCUB_304000_NS21CountingInputIteratorIllEEPS6_NSA_22TransformInputIteratorIb7NonZeroIsEPslEENS0_5tupleIJPlS6_EEENSJ_IJSD_SD_EEES6_SK_JS6_EEE10hipError_tPvRmT3_T4_T5_T6_T7_T9_mT8_P12ihipStream_tbDpT10_ENKUlT_T0_E_clISt17integral_constantIbLb0EES15_IbLb1EEEEDaS11_S12_EUlS11_E_NS1_11comp_targetILNS1_3genE3ELNS1_11target_archE908ELNS1_3gpuE7ELNS1_3repE0EEENS1_30default_config_static_selectorELNS0_4arch9wavefront6targetE1EEEvT1_.has_dyn_sized_stack, 0
	.set _ZN7rocprim17ROCPRIM_400000_NS6detail17trampoline_kernelINS0_14default_configENS1_25partition_config_selectorILNS1_17partition_subalgoE5ElNS0_10empty_typeEbEEZZNS1_14partition_implILS5_5ELb0ES3_mN6hipcub16HIPCUB_304000_NS21CountingInputIteratorIllEEPS6_NSA_22TransformInputIteratorIb7NonZeroIsEPslEENS0_5tupleIJPlS6_EEENSJ_IJSD_SD_EEES6_SK_JS6_EEE10hipError_tPvRmT3_T4_T5_T6_T7_T9_mT8_P12ihipStream_tbDpT10_ENKUlT_T0_E_clISt17integral_constantIbLb0EES15_IbLb1EEEEDaS11_S12_EUlS11_E_NS1_11comp_targetILNS1_3genE3ELNS1_11target_archE908ELNS1_3gpuE7ELNS1_3repE0EEENS1_30default_config_static_selectorELNS0_4arch9wavefront6targetE1EEEvT1_.has_recursion, 0
	.set _ZN7rocprim17ROCPRIM_400000_NS6detail17trampoline_kernelINS0_14default_configENS1_25partition_config_selectorILNS1_17partition_subalgoE5ElNS0_10empty_typeEbEEZZNS1_14partition_implILS5_5ELb0ES3_mN6hipcub16HIPCUB_304000_NS21CountingInputIteratorIllEEPS6_NSA_22TransformInputIteratorIb7NonZeroIsEPslEENS0_5tupleIJPlS6_EEENSJ_IJSD_SD_EEES6_SK_JS6_EEE10hipError_tPvRmT3_T4_T5_T6_T7_T9_mT8_P12ihipStream_tbDpT10_ENKUlT_T0_E_clISt17integral_constantIbLb0EES15_IbLb1EEEEDaS11_S12_EUlS11_E_NS1_11comp_targetILNS1_3genE3ELNS1_11target_archE908ELNS1_3gpuE7ELNS1_3repE0EEENS1_30default_config_static_selectorELNS0_4arch9wavefront6targetE1EEEvT1_.has_indirect_call, 0
	.section	.AMDGPU.csdata,"",@progbits
; Kernel info:
; codeLenInByte = 0
; TotalNumSgprs: 6
; NumVgprs: 0
; NumAgprs: 0
; TotalNumVgprs: 0
; ScratchSize: 0
; MemoryBound: 0
; FloatMode: 240
; IeeeMode: 1
; LDSByteSize: 0 bytes/workgroup (compile time only)
; SGPRBlocks: 0
; VGPRBlocks: 0
; NumSGPRsForWavesPerEU: 6
; NumVGPRsForWavesPerEU: 1
; AccumOffset: 4
; Occupancy: 8
; WaveLimiterHint : 0
; COMPUTE_PGM_RSRC2:SCRATCH_EN: 0
; COMPUTE_PGM_RSRC2:USER_SGPR: 2
; COMPUTE_PGM_RSRC2:TRAP_HANDLER: 0
; COMPUTE_PGM_RSRC2:TGID_X_EN: 1
; COMPUTE_PGM_RSRC2:TGID_Y_EN: 0
; COMPUTE_PGM_RSRC2:TGID_Z_EN: 0
; COMPUTE_PGM_RSRC2:TIDIG_COMP_CNT: 0
; COMPUTE_PGM_RSRC3_GFX90A:ACCUM_OFFSET: 0
; COMPUTE_PGM_RSRC3_GFX90A:TG_SPLIT: 0
	.section	.text._ZN7rocprim17ROCPRIM_400000_NS6detail17trampoline_kernelINS0_14default_configENS1_25partition_config_selectorILNS1_17partition_subalgoE5ElNS0_10empty_typeEbEEZZNS1_14partition_implILS5_5ELb0ES3_mN6hipcub16HIPCUB_304000_NS21CountingInputIteratorIllEEPS6_NSA_22TransformInputIteratorIb7NonZeroIsEPslEENS0_5tupleIJPlS6_EEENSJ_IJSD_SD_EEES6_SK_JS6_EEE10hipError_tPvRmT3_T4_T5_T6_T7_T9_mT8_P12ihipStream_tbDpT10_ENKUlT_T0_E_clISt17integral_constantIbLb0EES15_IbLb1EEEEDaS11_S12_EUlS11_E_NS1_11comp_targetILNS1_3genE2ELNS1_11target_archE906ELNS1_3gpuE6ELNS1_3repE0EEENS1_30default_config_static_selectorELNS0_4arch9wavefront6targetE1EEEvT1_,"axG",@progbits,_ZN7rocprim17ROCPRIM_400000_NS6detail17trampoline_kernelINS0_14default_configENS1_25partition_config_selectorILNS1_17partition_subalgoE5ElNS0_10empty_typeEbEEZZNS1_14partition_implILS5_5ELb0ES3_mN6hipcub16HIPCUB_304000_NS21CountingInputIteratorIllEEPS6_NSA_22TransformInputIteratorIb7NonZeroIsEPslEENS0_5tupleIJPlS6_EEENSJ_IJSD_SD_EEES6_SK_JS6_EEE10hipError_tPvRmT3_T4_T5_T6_T7_T9_mT8_P12ihipStream_tbDpT10_ENKUlT_T0_E_clISt17integral_constantIbLb0EES15_IbLb1EEEEDaS11_S12_EUlS11_E_NS1_11comp_targetILNS1_3genE2ELNS1_11target_archE906ELNS1_3gpuE6ELNS1_3repE0EEENS1_30default_config_static_selectorELNS0_4arch9wavefront6targetE1EEEvT1_,comdat
	.protected	_ZN7rocprim17ROCPRIM_400000_NS6detail17trampoline_kernelINS0_14default_configENS1_25partition_config_selectorILNS1_17partition_subalgoE5ElNS0_10empty_typeEbEEZZNS1_14partition_implILS5_5ELb0ES3_mN6hipcub16HIPCUB_304000_NS21CountingInputIteratorIllEEPS6_NSA_22TransformInputIteratorIb7NonZeroIsEPslEENS0_5tupleIJPlS6_EEENSJ_IJSD_SD_EEES6_SK_JS6_EEE10hipError_tPvRmT3_T4_T5_T6_T7_T9_mT8_P12ihipStream_tbDpT10_ENKUlT_T0_E_clISt17integral_constantIbLb0EES15_IbLb1EEEEDaS11_S12_EUlS11_E_NS1_11comp_targetILNS1_3genE2ELNS1_11target_archE906ELNS1_3gpuE6ELNS1_3repE0EEENS1_30default_config_static_selectorELNS0_4arch9wavefront6targetE1EEEvT1_ ; -- Begin function _ZN7rocprim17ROCPRIM_400000_NS6detail17trampoline_kernelINS0_14default_configENS1_25partition_config_selectorILNS1_17partition_subalgoE5ElNS0_10empty_typeEbEEZZNS1_14partition_implILS5_5ELb0ES3_mN6hipcub16HIPCUB_304000_NS21CountingInputIteratorIllEEPS6_NSA_22TransformInputIteratorIb7NonZeroIsEPslEENS0_5tupleIJPlS6_EEENSJ_IJSD_SD_EEES6_SK_JS6_EEE10hipError_tPvRmT3_T4_T5_T6_T7_T9_mT8_P12ihipStream_tbDpT10_ENKUlT_T0_E_clISt17integral_constantIbLb0EES15_IbLb1EEEEDaS11_S12_EUlS11_E_NS1_11comp_targetILNS1_3genE2ELNS1_11target_archE906ELNS1_3gpuE6ELNS1_3repE0EEENS1_30default_config_static_selectorELNS0_4arch9wavefront6targetE1EEEvT1_
	.globl	_ZN7rocprim17ROCPRIM_400000_NS6detail17trampoline_kernelINS0_14default_configENS1_25partition_config_selectorILNS1_17partition_subalgoE5ElNS0_10empty_typeEbEEZZNS1_14partition_implILS5_5ELb0ES3_mN6hipcub16HIPCUB_304000_NS21CountingInputIteratorIllEEPS6_NSA_22TransformInputIteratorIb7NonZeroIsEPslEENS0_5tupleIJPlS6_EEENSJ_IJSD_SD_EEES6_SK_JS6_EEE10hipError_tPvRmT3_T4_T5_T6_T7_T9_mT8_P12ihipStream_tbDpT10_ENKUlT_T0_E_clISt17integral_constantIbLb0EES15_IbLb1EEEEDaS11_S12_EUlS11_E_NS1_11comp_targetILNS1_3genE2ELNS1_11target_archE906ELNS1_3gpuE6ELNS1_3repE0EEENS1_30default_config_static_selectorELNS0_4arch9wavefront6targetE1EEEvT1_
	.p2align	8
	.type	_ZN7rocprim17ROCPRIM_400000_NS6detail17trampoline_kernelINS0_14default_configENS1_25partition_config_selectorILNS1_17partition_subalgoE5ElNS0_10empty_typeEbEEZZNS1_14partition_implILS5_5ELb0ES3_mN6hipcub16HIPCUB_304000_NS21CountingInputIteratorIllEEPS6_NSA_22TransformInputIteratorIb7NonZeroIsEPslEENS0_5tupleIJPlS6_EEENSJ_IJSD_SD_EEES6_SK_JS6_EEE10hipError_tPvRmT3_T4_T5_T6_T7_T9_mT8_P12ihipStream_tbDpT10_ENKUlT_T0_E_clISt17integral_constantIbLb0EES15_IbLb1EEEEDaS11_S12_EUlS11_E_NS1_11comp_targetILNS1_3genE2ELNS1_11target_archE906ELNS1_3gpuE6ELNS1_3repE0EEENS1_30default_config_static_selectorELNS0_4arch9wavefront6targetE1EEEvT1_,@function
_ZN7rocprim17ROCPRIM_400000_NS6detail17trampoline_kernelINS0_14default_configENS1_25partition_config_selectorILNS1_17partition_subalgoE5ElNS0_10empty_typeEbEEZZNS1_14partition_implILS5_5ELb0ES3_mN6hipcub16HIPCUB_304000_NS21CountingInputIteratorIllEEPS6_NSA_22TransformInputIteratorIb7NonZeroIsEPslEENS0_5tupleIJPlS6_EEENSJ_IJSD_SD_EEES6_SK_JS6_EEE10hipError_tPvRmT3_T4_T5_T6_T7_T9_mT8_P12ihipStream_tbDpT10_ENKUlT_T0_E_clISt17integral_constantIbLb0EES15_IbLb1EEEEDaS11_S12_EUlS11_E_NS1_11comp_targetILNS1_3genE2ELNS1_11target_archE906ELNS1_3gpuE6ELNS1_3repE0EEENS1_30default_config_static_selectorELNS0_4arch9wavefront6targetE1EEEvT1_: ; @_ZN7rocprim17ROCPRIM_400000_NS6detail17trampoline_kernelINS0_14default_configENS1_25partition_config_selectorILNS1_17partition_subalgoE5ElNS0_10empty_typeEbEEZZNS1_14partition_implILS5_5ELb0ES3_mN6hipcub16HIPCUB_304000_NS21CountingInputIteratorIllEEPS6_NSA_22TransformInputIteratorIb7NonZeroIsEPslEENS0_5tupleIJPlS6_EEENSJ_IJSD_SD_EEES6_SK_JS6_EEE10hipError_tPvRmT3_T4_T5_T6_T7_T9_mT8_P12ihipStream_tbDpT10_ENKUlT_T0_E_clISt17integral_constantIbLb0EES15_IbLb1EEEEDaS11_S12_EUlS11_E_NS1_11comp_targetILNS1_3genE2ELNS1_11target_archE906ELNS1_3gpuE6ELNS1_3repE0EEENS1_30default_config_static_selectorELNS0_4arch9wavefront6targetE1EEEvT1_
; %bb.0:
	.section	.rodata,"a",@progbits
	.p2align	6, 0x0
	.amdhsa_kernel _ZN7rocprim17ROCPRIM_400000_NS6detail17trampoline_kernelINS0_14default_configENS1_25partition_config_selectorILNS1_17partition_subalgoE5ElNS0_10empty_typeEbEEZZNS1_14partition_implILS5_5ELb0ES3_mN6hipcub16HIPCUB_304000_NS21CountingInputIteratorIllEEPS6_NSA_22TransformInputIteratorIb7NonZeroIsEPslEENS0_5tupleIJPlS6_EEENSJ_IJSD_SD_EEES6_SK_JS6_EEE10hipError_tPvRmT3_T4_T5_T6_T7_T9_mT8_P12ihipStream_tbDpT10_ENKUlT_T0_E_clISt17integral_constantIbLb0EES15_IbLb1EEEEDaS11_S12_EUlS11_E_NS1_11comp_targetILNS1_3genE2ELNS1_11target_archE906ELNS1_3gpuE6ELNS1_3repE0EEENS1_30default_config_static_selectorELNS0_4arch9wavefront6targetE1EEEvT1_
		.amdhsa_group_segment_fixed_size 0
		.amdhsa_private_segment_fixed_size 0
		.amdhsa_kernarg_size 136
		.amdhsa_user_sgpr_count 2
		.amdhsa_user_sgpr_dispatch_ptr 0
		.amdhsa_user_sgpr_queue_ptr 0
		.amdhsa_user_sgpr_kernarg_segment_ptr 1
		.amdhsa_user_sgpr_dispatch_id 0
		.amdhsa_user_sgpr_kernarg_preload_length 0
		.amdhsa_user_sgpr_kernarg_preload_offset 0
		.amdhsa_user_sgpr_private_segment_size 0
		.amdhsa_uses_dynamic_stack 0
		.amdhsa_enable_private_segment 0
		.amdhsa_system_sgpr_workgroup_id_x 1
		.amdhsa_system_sgpr_workgroup_id_y 0
		.amdhsa_system_sgpr_workgroup_id_z 0
		.amdhsa_system_sgpr_workgroup_info 0
		.amdhsa_system_vgpr_workitem_id 0
		.amdhsa_next_free_vgpr 1
		.amdhsa_next_free_sgpr 0
		.amdhsa_accum_offset 4
		.amdhsa_reserve_vcc 0
		.amdhsa_float_round_mode_32 0
		.amdhsa_float_round_mode_16_64 0
		.amdhsa_float_denorm_mode_32 3
		.amdhsa_float_denorm_mode_16_64 3
		.amdhsa_dx10_clamp 1
		.amdhsa_ieee_mode 1
		.amdhsa_fp16_overflow 0
		.amdhsa_tg_split 0
		.amdhsa_exception_fp_ieee_invalid_op 0
		.amdhsa_exception_fp_denorm_src 0
		.amdhsa_exception_fp_ieee_div_zero 0
		.amdhsa_exception_fp_ieee_overflow 0
		.amdhsa_exception_fp_ieee_underflow 0
		.amdhsa_exception_fp_ieee_inexact 0
		.amdhsa_exception_int_div_zero 0
	.end_amdhsa_kernel
	.section	.text._ZN7rocprim17ROCPRIM_400000_NS6detail17trampoline_kernelINS0_14default_configENS1_25partition_config_selectorILNS1_17partition_subalgoE5ElNS0_10empty_typeEbEEZZNS1_14partition_implILS5_5ELb0ES3_mN6hipcub16HIPCUB_304000_NS21CountingInputIteratorIllEEPS6_NSA_22TransformInputIteratorIb7NonZeroIsEPslEENS0_5tupleIJPlS6_EEENSJ_IJSD_SD_EEES6_SK_JS6_EEE10hipError_tPvRmT3_T4_T5_T6_T7_T9_mT8_P12ihipStream_tbDpT10_ENKUlT_T0_E_clISt17integral_constantIbLb0EES15_IbLb1EEEEDaS11_S12_EUlS11_E_NS1_11comp_targetILNS1_3genE2ELNS1_11target_archE906ELNS1_3gpuE6ELNS1_3repE0EEENS1_30default_config_static_selectorELNS0_4arch9wavefront6targetE1EEEvT1_,"axG",@progbits,_ZN7rocprim17ROCPRIM_400000_NS6detail17trampoline_kernelINS0_14default_configENS1_25partition_config_selectorILNS1_17partition_subalgoE5ElNS0_10empty_typeEbEEZZNS1_14partition_implILS5_5ELb0ES3_mN6hipcub16HIPCUB_304000_NS21CountingInputIteratorIllEEPS6_NSA_22TransformInputIteratorIb7NonZeroIsEPslEENS0_5tupleIJPlS6_EEENSJ_IJSD_SD_EEES6_SK_JS6_EEE10hipError_tPvRmT3_T4_T5_T6_T7_T9_mT8_P12ihipStream_tbDpT10_ENKUlT_T0_E_clISt17integral_constantIbLb0EES15_IbLb1EEEEDaS11_S12_EUlS11_E_NS1_11comp_targetILNS1_3genE2ELNS1_11target_archE906ELNS1_3gpuE6ELNS1_3repE0EEENS1_30default_config_static_selectorELNS0_4arch9wavefront6targetE1EEEvT1_,comdat
.Lfunc_end145:
	.size	_ZN7rocprim17ROCPRIM_400000_NS6detail17trampoline_kernelINS0_14default_configENS1_25partition_config_selectorILNS1_17partition_subalgoE5ElNS0_10empty_typeEbEEZZNS1_14partition_implILS5_5ELb0ES3_mN6hipcub16HIPCUB_304000_NS21CountingInputIteratorIllEEPS6_NSA_22TransformInputIteratorIb7NonZeroIsEPslEENS0_5tupleIJPlS6_EEENSJ_IJSD_SD_EEES6_SK_JS6_EEE10hipError_tPvRmT3_T4_T5_T6_T7_T9_mT8_P12ihipStream_tbDpT10_ENKUlT_T0_E_clISt17integral_constantIbLb0EES15_IbLb1EEEEDaS11_S12_EUlS11_E_NS1_11comp_targetILNS1_3genE2ELNS1_11target_archE906ELNS1_3gpuE6ELNS1_3repE0EEENS1_30default_config_static_selectorELNS0_4arch9wavefront6targetE1EEEvT1_, .Lfunc_end145-_ZN7rocprim17ROCPRIM_400000_NS6detail17trampoline_kernelINS0_14default_configENS1_25partition_config_selectorILNS1_17partition_subalgoE5ElNS0_10empty_typeEbEEZZNS1_14partition_implILS5_5ELb0ES3_mN6hipcub16HIPCUB_304000_NS21CountingInputIteratorIllEEPS6_NSA_22TransformInputIteratorIb7NonZeroIsEPslEENS0_5tupleIJPlS6_EEENSJ_IJSD_SD_EEES6_SK_JS6_EEE10hipError_tPvRmT3_T4_T5_T6_T7_T9_mT8_P12ihipStream_tbDpT10_ENKUlT_T0_E_clISt17integral_constantIbLb0EES15_IbLb1EEEEDaS11_S12_EUlS11_E_NS1_11comp_targetILNS1_3genE2ELNS1_11target_archE906ELNS1_3gpuE6ELNS1_3repE0EEENS1_30default_config_static_selectorELNS0_4arch9wavefront6targetE1EEEvT1_
                                        ; -- End function
	.set _ZN7rocprim17ROCPRIM_400000_NS6detail17trampoline_kernelINS0_14default_configENS1_25partition_config_selectorILNS1_17partition_subalgoE5ElNS0_10empty_typeEbEEZZNS1_14partition_implILS5_5ELb0ES3_mN6hipcub16HIPCUB_304000_NS21CountingInputIteratorIllEEPS6_NSA_22TransformInputIteratorIb7NonZeroIsEPslEENS0_5tupleIJPlS6_EEENSJ_IJSD_SD_EEES6_SK_JS6_EEE10hipError_tPvRmT3_T4_T5_T6_T7_T9_mT8_P12ihipStream_tbDpT10_ENKUlT_T0_E_clISt17integral_constantIbLb0EES15_IbLb1EEEEDaS11_S12_EUlS11_E_NS1_11comp_targetILNS1_3genE2ELNS1_11target_archE906ELNS1_3gpuE6ELNS1_3repE0EEENS1_30default_config_static_selectorELNS0_4arch9wavefront6targetE1EEEvT1_.num_vgpr, 0
	.set _ZN7rocprim17ROCPRIM_400000_NS6detail17trampoline_kernelINS0_14default_configENS1_25partition_config_selectorILNS1_17partition_subalgoE5ElNS0_10empty_typeEbEEZZNS1_14partition_implILS5_5ELb0ES3_mN6hipcub16HIPCUB_304000_NS21CountingInputIteratorIllEEPS6_NSA_22TransformInputIteratorIb7NonZeroIsEPslEENS0_5tupleIJPlS6_EEENSJ_IJSD_SD_EEES6_SK_JS6_EEE10hipError_tPvRmT3_T4_T5_T6_T7_T9_mT8_P12ihipStream_tbDpT10_ENKUlT_T0_E_clISt17integral_constantIbLb0EES15_IbLb1EEEEDaS11_S12_EUlS11_E_NS1_11comp_targetILNS1_3genE2ELNS1_11target_archE906ELNS1_3gpuE6ELNS1_3repE0EEENS1_30default_config_static_selectorELNS0_4arch9wavefront6targetE1EEEvT1_.num_agpr, 0
	.set _ZN7rocprim17ROCPRIM_400000_NS6detail17trampoline_kernelINS0_14default_configENS1_25partition_config_selectorILNS1_17partition_subalgoE5ElNS0_10empty_typeEbEEZZNS1_14partition_implILS5_5ELb0ES3_mN6hipcub16HIPCUB_304000_NS21CountingInputIteratorIllEEPS6_NSA_22TransformInputIteratorIb7NonZeroIsEPslEENS0_5tupleIJPlS6_EEENSJ_IJSD_SD_EEES6_SK_JS6_EEE10hipError_tPvRmT3_T4_T5_T6_T7_T9_mT8_P12ihipStream_tbDpT10_ENKUlT_T0_E_clISt17integral_constantIbLb0EES15_IbLb1EEEEDaS11_S12_EUlS11_E_NS1_11comp_targetILNS1_3genE2ELNS1_11target_archE906ELNS1_3gpuE6ELNS1_3repE0EEENS1_30default_config_static_selectorELNS0_4arch9wavefront6targetE1EEEvT1_.numbered_sgpr, 0
	.set _ZN7rocprim17ROCPRIM_400000_NS6detail17trampoline_kernelINS0_14default_configENS1_25partition_config_selectorILNS1_17partition_subalgoE5ElNS0_10empty_typeEbEEZZNS1_14partition_implILS5_5ELb0ES3_mN6hipcub16HIPCUB_304000_NS21CountingInputIteratorIllEEPS6_NSA_22TransformInputIteratorIb7NonZeroIsEPslEENS0_5tupleIJPlS6_EEENSJ_IJSD_SD_EEES6_SK_JS6_EEE10hipError_tPvRmT3_T4_T5_T6_T7_T9_mT8_P12ihipStream_tbDpT10_ENKUlT_T0_E_clISt17integral_constantIbLb0EES15_IbLb1EEEEDaS11_S12_EUlS11_E_NS1_11comp_targetILNS1_3genE2ELNS1_11target_archE906ELNS1_3gpuE6ELNS1_3repE0EEENS1_30default_config_static_selectorELNS0_4arch9wavefront6targetE1EEEvT1_.num_named_barrier, 0
	.set _ZN7rocprim17ROCPRIM_400000_NS6detail17trampoline_kernelINS0_14default_configENS1_25partition_config_selectorILNS1_17partition_subalgoE5ElNS0_10empty_typeEbEEZZNS1_14partition_implILS5_5ELb0ES3_mN6hipcub16HIPCUB_304000_NS21CountingInputIteratorIllEEPS6_NSA_22TransformInputIteratorIb7NonZeroIsEPslEENS0_5tupleIJPlS6_EEENSJ_IJSD_SD_EEES6_SK_JS6_EEE10hipError_tPvRmT3_T4_T5_T6_T7_T9_mT8_P12ihipStream_tbDpT10_ENKUlT_T0_E_clISt17integral_constantIbLb0EES15_IbLb1EEEEDaS11_S12_EUlS11_E_NS1_11comp_targetILNS1_3genE2ELNS1_11target_archE906ELNS1_3gpuE6ELNS1_3repE0EEENS1_30default_config_static_selectorELNS0_4arch9wavefront6targetE1EEEvT1_.private_seg_size, 0
	.set _ZN7rocprim17ROCPRIM_400000_NS6detail17trampoline_kernelINS0_14default_configENS1_25partition_config_selectorILNS1_17partition_subalgoE5ElNS0_10empty_typeEbEEZZNS1_14partition_implILS5_5ELb0ES3_mN6hipcub16HIPCUB_304000_NS21CountingInputIteratorIllEEPS6_NSA_22TransformInputIteratorIb7NonZeroIsEPslEENS0_5tupleIJPlS6_EEENSJ_IJSD_SD_EEES6_SK_JS6_EEE10hipError_tPvRmT3_T4_T5_T6_T7_T9_mT8_P12ihipStream_tbDpT10_ENKUlT_T0_E_clISt17integral_constantIbLb0EES15_IbLb1EEEEDaS11_S12_EUlS11_E_NS1_11comp_targetILNS1_3genE2ELNS1_11target_archE906ELNS1_3gpuE6ELNS1_3repE0EEENS1_30default_config_static_selectorELNS0_4arch9wavefront6targetE1EEEvT1_.uses_vcc, 0
	.set _ZN7rocprim17ROCPRIM_400000_NS6detail17trampoline_kernelINS0_14default_configENS1_25partition_config_selectorILNS1_17partition_subalgoE5ElNS0_10empty_typeEbEEZZNS1_14partition_implILS5_5ELb0ES3_mN6hipcub16HIPCUB_304000_NS21CountingInputIteratorIllEEPS6_NSA_22TransformInputIteratorIb7NonZeroIsEPslEENS0_5tupleIJPlS6_EEENSJ_IJSD_SD_EEES6_SK_JS6_EEE10hipError_tPvRmT3_T4_T5_T6_T7_T9_mT8_P12ihipStream_tbDpT10_ENKUlT_T0_E_clISt17integral_constantIbLb0EES15_IbLb1EEEEDaS11_S12_EUlS11_E_NS1_11comp_targetILNS1_3genE2ELNS1_11target_archE906ELNS1_3gpuE6ELNS1_3repE0EEENS1_30default_config_static_selectorELNS0_4arch9wavefront6targetE1EEEvT1_.uses_flat_scratch, 0
	.set _ZN7rocprim17ROCPRIM_400000_NS6detail17trampoline_kernelINS0_14default_configENS1_25partition_config_selectorILNS1_17partition_subalgoE5ElNS0_10empty_typeEbEEZZNS1_14partition_implILS5_5ELb0ES3_mN6hipcub16HIPCUB_304000_NS21CountingInputIteratorIllEEPS6_NSA_22TransformInputIteratorIb7NonZeroIsEPslEENS0_5tupleIJPlS6_EEENSJ_IJSD_SD_EEES6_SK_JS6_EEE10hipError_tPvRmT3_T4_T5_T6_T7_T9_mT8_P12ihipStream_tbDpT10_ENKUlT_T0_E_clISt17integral_constantIbLb0EES15_IbLb1EEEEDaS11_S12_EUlS11_E_NS1_11comp_targetILNS1_3genE2ELNS1_11target_archE906ELNS1_3gpuE6ELNS1_3repE0EEENS1_30default_config_static_selectorELNS0_4arch9wavefront6targetE1EEEvT1_.has_dyn_sized_stack, 0
	.set _ZN7rocprim17ROCPRIM_400000_NS6detail17trampoline_kernelINS0_14default_configENS1_25partition_config_selectorILNS1_17partition_subalgoE5ElNS0_10empty_typeEbEEZZNS1_14partition_implILS5_5ELb0ES3_mN6hipcub16HIPCUB_304000_NS21CountingInputIteratorIllEEPS6_NSA_22TransformInputIteratorIb7NonZeroIsEPslEENS0_5tupleIJPlS6_EEENSJ_IJSD_SD_EEES6_SK_JS6_EEE10hipError_tPvRmT3_T4_T5_T6_T7_T9_mT8_P12ihipStream_tbDpT10_ENKUlT_T0_E_clISt17integral_constantIbLb0EES15_IbLb1EEEEDaS11_S12_EUlS11_E_NS1_11comp_targetILNS1_3genE2ELNS1_11target_archE906ELNS1_3gpuE6ELNS1_3repE0EEENS1_30default_config_static_selectorELNS0_4arch9wavefront6targetE1EEEvT1_.has_recursion, 0
	.set _ZN7rocprim17ROCPRIM_400000_NS6detail17trampoline_kernelINS0_14default_configENS1_25partition_config_selectorILNS1_17partition_subalgoE5ElNS0_10empty_typeEbEEZZNS1_14partition_implILS5_5ELb0ES3_mN6hipcub16HIPCUB_304000_NS21CountingInputIteratorIllEEPS6_NSA_22TransformInputIteratorIb7NonZeroIsEPslEENS0_5tupleIJPlS6_EEENSJ_IJSD_SD_EEES6_SK_JS6_EEE10hipError_tPvRmT3_T4_T5_T6_T7_T9_mT8_P12ihipStream_tbDpT10_ENKUlT_T0_E_clISt17integral_constantIbLb0EES15_IbLb1EEEEDaS11_S12_EUlS11_E_NS1_11comp_targetILNS1_3genE2ELNS1_11target_archE906ELNS1_3gpuE6ELNS1_3repE0EEENS1_30default_config_static_selectorELNS0_4arch9wavefront6targetE1EEEvT1_.has_indirect_call, 0
	.section	.AMDGPU.csdata,"",@progbits
; Kernel info:
; codeLenInByte = 0
; TotalNumSgprs: 6
; NumVgprs: 0
; NumAgprs: 0
; TotalNumVgprs: 0
; ScratchSize: 0
; MemoryBound: 0
; FloatMode: 240
; IeeeMode: 1
; LDSByteSize: 0 bytes/workgroup (compile time only)
; SGPRBlocks: 0
; VGPRBlocks: 0
; NumSGPRsForWavesPerEU: 6
; NumVGPRsForWavesPerEU: 1
; AccumOffset: 4
; Occupancy: 8
; WaveLimiterHint : 0
; COMPUTE_PGM_RSRC2:SCRATCH_EN: 0
; COMPUTE_PGM_RSRC2:USER_SGPR: 2
; COMPUTE_PGM_RSRC2:TRAP_HANDLER: 0
; COMPUTE_PGM_RSRC2:TGID_X_EN: 1
; COMPUTE_PGM_RSRC2:TGID_Y_EN: 0
; COMPUTE_PGM_RSRC2:TGID_Z_EN: 0
; COMPUTE_PGM_RSRC2:TIDIG_COMP_CNT: 0
; COMPUTE_PGM_RSRC3_GFX90A:ACCUM_OFFSET: 0
; COMPUTE_PGM_RSRC3_GFX90A:TG_SPLIT: 0
	.section	.text._ZN7rocprim17ROCPRIM_400000_NS6detail17trampoline_kernelINS0_14default_configENS1_25partition_config_selectorILNS1_17partition_subalgoE5ElNS0_10empty_typeEbEEZZNS1_14partition_implILS5_5ELb0ES3_mN6hipcub16HIPCUB_304000_NS21CountingInputIteratorIllEEPS6_NSA_22TransformInputIteratorIb7NonZeroIsEPslEENS0_5tupleIJPlS6_EEENSJ_IJSD_SD_EEES6_SK_JS6_EEE10hipError_tPvRmT3_T4_T5_T6_T7_T9_mT8_P12ihipStream_tbDpT10_ENKUlT_T0_E_clISt17integral_constantIbLb0EES15_IbLb1EEEEDaS11_S12_EUlS11_E_NS1_11comp_targetILNS1_3genE10ELNS1_11target_archE1200ELNS1_3gpuE4ELNS1_3repE0EEENS1_30default_config_static_selectorELNS0_4arch9wavefront6targetE1EEEvT1_,"axG",@progbits,_ZN7rocprim17ROCPRIM_400000_NS6detail17trampoline_kernelINS0_14default_configENS1_25partition_config_selectorILNS1_17partition_subalgoE5ElNS0_10empty_typeEbEEZZNS1_14partition_implILS5_5ELb0ES3_mN6hipcub16HIPCUB_304000_NS21CountingInputIteratorIllEEPS6_NSA_22TransformInputIteratorIb7NonZeroIsEPslEENS0_5tupleIJPlS6_EEENSJ_IJSD_SD_EEES6_SK_JS6_EEE10hipError_tPvRmT3_T4_T5_T6_T7_T9_mT8_P12ihipStream_tbDpT10_ENKUlT_T0_E_clISt17integral_constantIbLb0EES15_IbLb1EEEEDaS11_S12_EUlS11_E_NS1_11comp_targetILNS1_3genE10ELNS1_11target_archE1200ELNS1_3gpuE4ELNS1_3repE0EEENS1_30default_config_static_selectorELNS0_4arch9wavefront6targetE1EEEvT1_,comdat
	.protected	_ZN7rocprim17ROCPRIM_400000_NS6detail17trampoline_kernelINS0_14default_configENS1_25partition_config_selectorILNS1_17partition_subalgoE5ElNS0_10empty_typeEbEEZZNS1_14partition_implILS5_5ELb0ES3_mN6hipcub16HIPCUB_304000_NS21CountingInputIteratorIllEEPS6_NSA_22TransformInputIteratorIb7NonZeroIsEPslEENS0_5tupleIJPlS6_EEENSJ_IJSD_SD_EEES6_SK_JS6_EEE10hipError_tPvRmT3_T4_T5_T6_T7_T9_mT8_P12ihipStream_tbDpT10_ENKUlT_T0_E_clISt17integral_constantIbLb0EES15_IbLb1EEEEDaS11_S12_EUlS11_E_NS1_11comp_targetILNS1_3genE10ELNS1_11target_archE1200ELNS1_3gpuE4ELNS1_3repE0EEENS1_30default_config_static_selectorELNS0_4arch9wavefront6targetE1EEEvT1_ ; -- Begin function _ZN7rocprim17ROCPRIM_400000_NS6detail17trampoline_kernelINS0_14default_configENS1_25partition_config_selectorILNS1_17partition_subalgoE5ElNS0_10empty_typeEbEEZZNS1_14partition_implILS5_5ELb0ES3_mN6hipcub16HIPCUB_304000_NS21CountingInputIteratorIllEEPS6_NSA_22TransformInputIteratorIb7NonZeroIsEPslEENS0_5tupleIJPlS6_EEENSJ_IJSD_SD_EEES6_SK_JS6_EEE10hipError_tPvRmT3_T4_T5_T6_T7_T9_mT8_P12ihipStream_tbDpT10_ENKUlT_T0_E_clISt17integral_constantIbLb0EES15_IbLb1EEEEDaS11_S12_EUlS11_E_NS1_11comp_targetILNS1_3genE10ELNS1_11target_archE1200ELNS1_3gpuE4ELNS1_3repE0EEENS1_30default_config_static_selectorELNS0_4arch9wavefront6targetE1EEEvT1_
	.globl	_ZN7rocprim17ROCPRIM_400000_NS6detail17trampoline_kernelINS0_14default_configENS1_25partition_config_selectorILNS1_17partition_subalgoE5ElNS0_10empty_typeEbEEZZNS1_14partition_implILS5_5ELb0ES3_mN6hipcub16HIPCUB_304000_NS21CountingInputIteratorIllEEPS6_NSA_22TransformInputIteratorIb7NonZeroIsEPslEENS0_5tupleIJPlS6_EEENSJ_IJSD_SD_EEES6_SK_JS6_EEE10hipError_tPvRmT3_T4_T5_T6_T7_T9_mT8_P12ihipStream_tbDpT10_ENKUlT_T0_E_clISt17integral_constantIbLb0EES15_IbLb1EEEEDaS11_S12_EUlS11_E_NS1_11comp_targetILNS1_3genE10ELNS1_11target_archE1200ELNS1_3gpuE4ELNS1_3repE0EEENS1_30default_config_static_selectorELNS0_4arch9wavefront6targetE1EEEvT1_
	.p2align	8
	.type	_ZN7rocprim17ROCPRIM_400000_NS6detail17trampoline_kernelINS0_14default_configENS1_25partition_config_selectorILNS1_17partition_subalgoE5ElNS0_10empty_typeEbEEZZNS1_14partition_implILS5_5ELb0ES3_mN6hipcub16HIPCUB_304000_NS21CountingInputIteratorIllEEPS6_NSA_22TransformInputIteratorIb7NonZeroIsEPslEENS0_5tupleIJPlS6_EEENSJ_IJSD_SD_EEES6_SK_JS6_EEE10hipError_tPvRmT3_T4_T5_T6_T7_T9_mT8_P12ihipStream_tbDpT10_ENKUlT_T0_E_clISt17integral_constantIbLb0EES15_IbLb1EEEEDaS11_S12_EUlS11_E_NS1_11comp_targetILNS1_3genE10ELNS1_11target_archE1200ELNS1_3gpuE4ELNS1_3repE0EEENS1_30default_config_static_selectorELNS0_4arch9wavefront6targetE1EEEvT1_,@function
_ZN7rocprim17ROCPRIM_400000_NS6detail17trampoline_kernelINS0_14default_configENS1_25partition_config_selectorILNS1_17partition_subalgoE5ElNS0_10empty_typeEbEEZZNS1_14partition_implILS5_5ELb0ES3_mN6hipcub16HIPCUB_304000_NS21CountingInputIteratorIllEEPS6_NSA_22TransformInputIteratorIb7NonZeroIsEPslEENS0_5tupleIJPlS6_EEENSJ_IJSD_SD_EEES6_SK_JS6_EEE10hipError_tPvRmT3_T4_T5_T6_T7_T9_mT8_P12ihipStream_tbDpT10_ENKUlT_T0_E_clISt17integral_constantIbLb0EES15_IbLb1EEEEDaS11_S12_EUlS11_E_NS1_11comp_targetILNS1_3genE10ELNS1_11target_archE1200ELNS1_3gpuE4ELNS1_3repE0EEENS1_30default_config_static_selectorELNS0_4arch9wavefront6targetE1EEEvT1_: ; @_ZN7rocprim17ROCPRIM_400000_NS6detail17trampoline_kernelINS0_14default_configENS1_25partition_config_selectorILNS1_17partition_subalgoE5ElNS0_10empty_typeEbEEZZNS1_14partition_implILS5_5ELb0ES3_mN6hipcub16HIPCUB_304000_NS21CountingInputIteratorIllEEPS6_NSA_22TransformInputIteratorIb7NonZeroIsEPslEENS0_5tupleIJPlS6_EEENSJ_IJSD_SD_EEES6_SK_JS6_EEE10hipError_tPvRmT3_T4_T5_T6_T7_T9_mT8_P12ihipStream_tbDpT10_ENKUlT_T0_E_clISt17integral_constantIbLb0EES15_IbLb1EEEEDaS11_S12_EUlS11_E_NS1_11comp_targetILNS1_3genE10ELNS1_11target_archE1200ELNS1_3gpuE4ELNS1_3repE0EEENS1_30default_config_static_selectorELNS0_4arch9wavefront6targetE1EEEvT1_
; %bb.0:
	.section	.rodata,"a",@progbits
	.p2align	6, 0x0
	.amdhsa_kernel _ZN7rocprim17ROCPRIM_400000_NS6detail17trampoline_kernelINS0_14default_configENS1_25partition_config_selectorILNS1_17partition_subalgoE5ElNS0_10empty_typeEbEEZZNS1_14partition_implILS5_5ELb0ES3_mN6hipcub16HIPCUB_304000_NS21CountingInputIteratorIllEEPS6_NSA_22TransformInputIteratorIb7NonZeroIsEPslEENS0_5tupleIJPlS6_EEENSJ_IJSD_SD_EEES6_SK_JS6_EEE10hipError_tPvRmT3_T4_T5_T6_T7_T9_mT8_P12ihipStream_tbDpT10_ENKUlT_T0_E_clISt17integral_constantIbLb0EES15_IbLb1EEEEDaS11_S12_EUlS11_E_NS1_11comp_targetILNS1_3genE10ELNS1_11target_archE1200ELNS1_3gpuE4ELNS1_3repE0EEENS1_30default_config_static_selectorELNS0_4arch9wavefront6targetE1EEEvT1_
		.amdhsa_group_segment_fixed_size 0
		.amdhsa_private_segment_fixed_size 0
		.amdhsa_kernarg_size 136
		.amdhsa_user_sgpr_count 2
		.amdhsa_user_sgpr_dispatch_ptr 0
		.amdhsa_user_sgpr_queue_ptr 0
		.amdhsa_user_sgpr_kernarg_segment_ptr 1
		.amdhsa_user_sgpr_dispatch_id 0
		.amdhsa_user_sgpr_kernarg_preload_length 0
		.amdhsa_user_sgpr_kernarg_preload_offset 0
		.amdhsa_user_sgpr_private_segment_size 0
		.amdhsa_uses_dynamic_stack 0
		.amdhsa_enable_private_segment 0
		.amdhsa_system_sgpr_workgroup_id_x 1
		.amdhsa_system_sgpr_workgroup_id_y 0
		.amdhsa_system_sgpr_workgroup_id_z 0
		.amdhsa_system_sgpr_workgroup_info 0
		.amdhsa_system_vgpr_workitem_id 0
		.amdhsa_next_free_vgpr 1
		.amdhsa_next_free_sgpr 0
		.amdhsa_accum_offset 4
		.amdhsa_reserve_vcc 0
		.amdhsa_float_round_mode_32 0
		.amdhsa_float_round_mode_16_64 0
		.amdhsa_float_denorm_mode_32 3
		.amdhsa_float_denorm_mode_16_64 3
		.amdhsa_dx10_clamp 1
		.amdhsa_ieee_mode 1
		.amdhsa_fp16_overflow 0
		.amdhsa_tg_split 0
		.amdhsa_exception_fp_ieee_invalid_op 0
		.amdhsa_exception_fp_denorm_src 0
		.amdhsa_exception_fp_ieee_div_zero 0
		.amdhsa_exception_fp_ieee_overflow 0
		.amdhsa_exception_fp_ieee_underflow 0
		.amdhsa_exception_fp_ieee_inexact 0
		.amdhsa_exception_int_div_zero 0
	.end_amdhsa_kernel
	.section	.text._ZN7rocprim17ROCPRIM_400000_NS6detail17trampoline_kernelINS0_14default_configENS1_25partition_config_selectorILNS1_17partition_subalgoE5ElNS0_10empty_typeEbEEZZNS1_14partition_implILS5_5ELb0ES3_mN6hipcub16HIPCUB_304000_NS21CountingInputIteratorIllEEPS6_NSA_22TransformInputIteratorIb7NonZeroIsEPslEENS0_5tupleIJPlS6_EEENSJ_IJSD_SD_EEES6_SK_JS6_EEE10hipError_tPvRmT3_T4_T5_T6_T7_T9_mT8_P12ihipStream_tbDpT10_ENKUlT_T0_E_clISt17integral_constantIbLb0EES15_IbLb1EEEEDaS11_S12_EUlS11_E_NS1_11comp_targetILNS1_3genE10ELNS1_11target_archE1200ELNS1_3gpuE4ELNS1_3repE0EEENS1_30default_config_static_selectorELNS0_4arch9wavefront6targetE1EEEvT1_,"axG",@progbits,_ZN7rocprim17ROCPRIM_400000_NS6detail17trampoline_kernelINS0_14default_configENS1_25partition_config_selectorILNS1_17partition_subalgoE5ElNS0_10empty_typeEbEEZZNS1_14partition_implILS5_5ELb0ES3_mN6hipcub16HIPCUB_304000_NS21CountingInputIteratorIllEEPS6_NSA_22TransformInputIteratorIb7NonZeroIsEPslEENS0_5tupleIJPlS6_EEENSJ_IJSD_SD_EEES6_SK_JS6_EEE10hipError_tPvRmT3_T4_T5_T6_T7_T9_mT8_P12ihipStream_tbDpT10_ENKUlT_T0_E_clISt17integral_constantIbLb0EES15_IbLb1EEEEDaS11_S12_EUlS11_E_NS1_11comp_targetILNS1_3genE10ELNS1_11target_archE1200ELNS1_3gpuE4ELNS1_3repE0EEENS1_30default_config_static_selectorELNS0_4arch9wavefront6targetE1EEEvT1_,comdat
.Lfunc_end146:
	.size	_ZN7rocprim17ROCPRIM_400000_NS6detail17trampoline_kernelINS0_14default_configENS1_25partition_config_selectorILNS1_17partition_subalgoE5ElNS0_10empty_typeEbEEZZNS1_14partition_implILS5_5ELb0ES3_mN6hipcub16HIPCUB_304000_NS21CountingInputIteratorIllEEPS6_NSA_22TransformInputIteratorIb7NonZeroIsEPslEENS0_5tupleIJPlS6_EEENSJ_IJSD_SD_EEES6_SK_JS6_EEE10hipError_tPvRmT3_T4_T5_T6_T7_T9_mT8_P12ihipStream_tbDpT10_ENKUlT_T0_E_clISt17integral_constantIbLb0EES15_IbLb1EEEEDaS11_S12_EUlS11_E_NS1_11comp_targetILNS1_3genE10ELNS1_11target_archE1200ELNS1_3gpuE4ELNS1_3repE0EEENS1_30default_config_static_selectorELNS0_4arch9wavefront6targetE1EEEvT1_, .Lfunc_end146-_ZN7rocprim17ROCPRIM_400000_NS6detail17trampoline_kernelINS0_14default_configENS1_25partition_config_selectorILNS1_17partition_subalgoE5ElNS0_10empty_typeEbEEZZNS1_14partition_implILS5_5ELb0ES3_mN6hipcub16HIPCUB_304000_NS21CountingInputIteratorIllEEPS6_NSA_22TransformInputIteratorIb7NonZeroIsEPslEENS0_5tupleIJPlS6_EEENSJ_IJSD_SD_EEES6_SK_JS6_EEE10hipError_tPvRmT3_T4_T5_T6_T7_T9_mT8_P12ihipStream_tbDpT10_ENKUlT_T0_E_clISt17integral_constantIbLb0EES15_IbLb1EEEEDaS11_S12_EUlS11_E_NS1_11comp_targetILNS1_3genE10ELNS1_11target_archE1200ELNS1_3gpuE4ELNS1_3repE0EEENS1_30default_config_static_selectorELNS0_4arch9wavefront6targetE1EEEvT1_
                                        ; -- End function
	.set _ZN7rocprim17ROCPRIM_400000_NS6detail17trampoline_kernelINS0_14default_configENS1_25partition_config_selectorILNS1_17partition_subalgoE5ElNS0_10empty_typeEbEEZZNS1_14partition_implILS5_5ELb0ES3_mN6hipcub16HIPCUB_304000_NS21CountingInputIteratorIllEEPS6_NSA_22TransformInputIteratorIb7NonZeroIsEPslEENS0_5tupleIJPlS6_EEENSJ_IJSD_SD_EEES6_SK_JS6_EEE10hipError_tPvRmT3_T4_T5_T6_T7_T9_mT8_P12ihipStream_tbDpT10_ENKUlT_T0_E_clISt17integral_constantIbLb0EES15_IbLb1EEEEDaS11_S12_EUlS11_E_NS1_11comp_targetILNS1_3genE10ELNS1_11target_archE1200ELNS1_3gpuE4ELNS1_3repE0EEENS1_30default_config_static_selectorELNS0_4arch9wavefront6targetE1EEEvT1_.num_vgpr, 0
	.set _ZN7rocprim17ROCPRIM_400000_NS6detail17trampoline_kernelINS0_14default_configENS1_25partition_config_selectorILNS1_17partition_subalgoE5ElNS0_10empty_typeEbEEZZNS1_14partition_implILS5_5ELb0ES3_mN6hipcub16HIPCUB_304000_NS21CountingInputIteratorIllEEPS6_NSA_22TransformInputIteratorIb7NonZeroIsEPslEENS0_5tupleIJPlS6_EEENSJ_IJSD_SD_EEES6_SK_JS6_EEE10hipError_tPvRmT3_T4_T5_T6_T7_T9_mT8_P12ihipStream_tbDpT10_ENKUlT_T0_E_clISt17integral_constantIbLb0EES15_IbLb1EEEEDaS11_S12_EUlS11_E_NS1_11comp_targetILNS1_3genE10ELNS1_11target_archE1200ELNS1_3gpuE4ELNS1_3repE0EEENS1_30default_config_static_selectorELNS0_4arch9wavefront6targetE1EEEvT1_.num_agpr, 0
	.set _ZN7rocprim17ROCPRIM_400000_NS6detail17trampoline_kernelINS0_14default_configENS1_25partition_config_selectorILNS1_17partition_subalgoE5ElNS0_10empty_typeEbEEZZNS1_14partition_implILS5_5ELb0ES3_mN6hipcub16HIPCUB_304000_NS21CountingInputIteratorIllEEPS6_NSA_22TransformInputIteratorIb7NonZeroIsEPslEENS0_5tupleIJPlS6_EEENSJ_IJSD_SD_EEES6_SK_JS6_EEE10hipError_tPvRmT3_T4_T5_T6_T7_T9_mT8_P12ihipStream_tbDpT10_ENKUlT_T0_E_clISt17integral_constantIbLb0EES15_IbLb1EEEEDaS11_S12_EUlS11_E_NS1_11comp_targetILNS1_3genE10ELNS1_11target_archE1200ELNS1_3gpuE4ELNS1_3repE0EEENS1_30default_config_static_selectorELNS0_4arch9wavefront6targetE1EEEvT1_.numbered_sgpr, 0
	.set _ZN7rocprim17ROCPRIM_400000_NS6detail17trampoline_kernelINS0_14default_configENS1_25partition_config_selectorILNS1_17partition_subalgoE5ElNS0_10empty_typeEbEEZZNS1_14partition_implILS5_5ELb0ES3_mN6hipcub16HIPCUB_304000_NS21CountingInputIteratorIllEEPS6_NSA_22TransformInputIteratorIb7NonZeroIsEPslEENS0_5tupleIJPlS6_EEENSJ_IJSD_SD_EEES6_SK_JS6_EEE10hipError_tPvRmT3_T4_T5_T6_T7_T9_mT8_P12ihipStream_tbDpT10_ENKUlT_T0_E_clISt17integral_constantIbLb0EES15_IbLb1EEEEDaS11_S12_EUlS11_E_NS1_11comp_targetILNS1_3genE10ELNS1_11target_archE1200ELNS1_3gpuE4ELNS1_3repE0EEENS1_30default_config_static_selectorELNS0_4arch9wavefront6targetE1EEEvT1_.num_named_barrier, 0
	.set _ZN7rocprim17ROCPRIM_400000_NS6detail17trampoline_kernelINS0_14default_configENS1_25partition_config_selectorILNS1_17partition_subalgoE5ElNS0_10empty_typeEbEEZZNS1_14partition_implILS5_5ELb0ES3_mN6hipcub16HIPCUB_304000_NS21CountingInputIteratorIllEEPS6_NSA_22TransformInputIteratorIb7NonZeroIsEPslEENS0_5tupleIJPlS6_EEENSJ_IJSD_SD_EEES6_SK_JS6_EEE10hipError_tPvRmT3_T4_T5_T6_T7_T9_mT8_P12ihipStream_tbDpT10_ENKUlT_T0_E_clISt17integral_constantIbLb0EES15_IbLb1EEEEDaS11_S12_EUlS11_E_NS1_11comp_targetILNS1_3genE10ELNS1_11target_archE1200ELNS1_3gpuE4ELNS1_3repE0EEENS1_30default_config_static_selectorELNS0_4arch9wavefront6targetE1EEEvT1_.private_seg_size, 0
	.set _ZN7rocprim17ROCPRIM_400000_NS6detail17trampoline_kernelINS0_14default_configENS1_25partition_config_selectorILNS1_17partition_subalgoE5ElNS0_10empty_typeEbEEZZNS1_14partition_implILS5_5ELb0ES3_mN6hipcub16HIPCUB_304000_NS21CountingInputIteratorIllEEPS6_NSA_22TransformInputIteratorIb7NonZeroIsEPslEENS0_5tupleIJPlS6_EEENSJ_IJSD_SD_EEES6_SK_JS6_EEE10hipError_tPvRmT3_T4_T5_T6_T7_T9_mT8_P12ihipStream_tbDpT10_ENKUlT_T0_E_clISt17integral_constantIbLb0EES15_IbLb1EEEEDaS11_S12_EUlS11_E_NS1_11comp_targetILNS1_3genE10ELNS1_11target_archE1200ELNS1_3gpuE4ELNS1_3repE0EEENS1_30default_config_static_selectorELNS0_4arch9wavefront6targetE1EEEvT1_.uses_vcc, 0
	.set _ZN7rocprim17ROCPRIM_400000_NS6detail17trampoline_kernelINS0_14default_configENS1_25partition_config_selectorILNS1_17partition_subalgoE5ElNS0_10empty_typeEbEEZZNS1_14partition_implILS5_5ELb0ES3_mN6hipcub16HIPCUB_304000_NS21CountingInputIteratorIllEEPS6_NSA_22TransformInputIteratorIb7NonZeroIsEPslEENS0_5tupleIJPlS6_EEENSJ_IJSD_SD_EEES6_SK_JS6_EEE10hipError_tPvRmT3_T4_T5_T6_T7_T9_mT8_P12ihipStream_tbDpT10_ENKUlT_T0_E_clISt17integral_constantIbLb0EES15_IbLb1EEEEDaS11_S12_EUlS11_E_NS1_11comp_targetILNS1_3genE10ELNS1_11target_archE1200ELNS1_3gpuE4ELNS1_3repE0EEENS1_30default_config_static_selectorELNS0_4arch9wavefront6targetE1EEEvT1_.uses_flat_scratch, 0
	.set _ZN7rocprim17ROCPRIM_400000_NS6detail17trampoline_kernelINS0_14default_configENS1_25partition_config_selectorILNS1_17partition_subalgoE5ElNS0_10empty_typeEbEEZZNS1_14partition_implILS5_5ELb0ES3_mN6hipcub16HIPCUB_304000_NS21CountingInputIteratorIllEEPS6_NSA_22TransformInputIteratorIb7NonZeroIsEPslEENS0_5tupleIJPlS6_EEENSJ_IJSD_SD_EEES6_SK_JS6_EEE10hipError_tPvRmT3_T4_T5_T6_T7_T9_mT8_P12ihipStream_tbDpT10_ENKUlT_T0_E_clISt17integral_constantIbLb0EES15_IbLb1EEEEDaS11_S12_EUlS11_E_NS1_11comp_targetILNS1_3genE10ELNS1_11target_archE1200ELNS1_3gpuE4ELNS1_3repE0EEENS1_30default_config_static_selectorELNS0_4arch9wavefront6targetE1EEEvT1_.has_dyn_sized_stack, 0
	.set _ZN7rocprim17ROCPRIM_400000_NS6detail17trampoline_kernelINS0_14default_configENS1_25partition_config_selectorILNS1_17partition_subalgoE5ElNS0_10empty_typeEbEEZZNS1_14partition_implILS5_5ELb0ES3_mN6hipcub16HIPCUB_304000_NS21CountingInputIteratorIllEEPS6_NSA_22TransformInputIteratorIb7NonZeroIsEPslEENS0_5tupleIJPlS6_EEENSJ_IJSD_SD_EEES6_SK_JS6_EEE10hipError_tPvRmT3_T4_T5_T6_T7_T9_mT8_P12ihipStream_tbDpT10_ENKUlT_T0_E_clISt17integral_constantIbLb0EES15_IbLb1EEEEDaS11_S12_EUlS11_E_NS1_11comp_targetILNS1_3genE10ELNS1_11target_archE1200ELNS1_3gpuE4ELNS1_3repE0EEENS1_30default_config_static_selectorELNS0_4arch9wavefront6targetE1EEEvT1_.has_recursion, 0
	.set _ZN7rocprim17ROCPRIM_400000_NS6detail17trampoline_kernelINS0_14default_configENS1_25partition_config_selectorILNS1_17partition_subalgoE5ElNS0_10empty_typeEbEEZZNS1_14partition_implILS5_5ELb0ES3_mN6hipcub16HIPCUB_304000_NS21CountingInputIteratorIllEEPS6_NSA_22TransformInputIteratorIb7NonZeroIsEPslEENS0_5tupleIJPlS6_EEENSJ_IJSD_SD_EEES6_SK_JS6_EEE10hipError_tPvRmT3_T4_T5_T6_T7_T9_mT8_P12ihipStream_tbDpT10_ENKUlT_T0_E_clISt17integral_constantIbLb0EES15_IbLb1EEEEDaS11_S12_EUlS11_E_NS1_11comp_targetILNS1_3genE10ELNS1_11target_archE1200ELNS1_3gpuE4ELNS1_3repE0EEENS1_30default_config_static_selectorELNS0_4arch9wavefront6targetE1EEEvT1_.has_indirect_call, 0
	.section	.AMDGPU.csdata,"",@progbits
; Kernel info:
; codeLenInByte = 0
; TotalNumSgprs: 6
; NumVgprs: 0
; NumAgprs: 0
; TotalNumVgprs: 0
; ScratchSize: 0
; MemoryBound: 0
; FloatMode: 240
; IeeeMode: 1
; LDSByteSize: 0 bytes/workgroup (compile time only)
; SGPRBlocks: 0
; VGPRBlocks: 0
; NumSGPRsForWavesPerEU: 6
; NumVGPRsForWavesPerEU: 1
; AccumOffset: 4
; Occupancy: 8
; WaveLimiterHint : 0
; COMPUTE_PGM_RSRC2:SCRATCH_EN: 0
; COMPUTE_PGM_RSRC2:USER_SGPR: 2
; COMPUTE_PGM_RSRC2:TRAP_HANDLER: 0
; COMPUTE_PGM_RSRC2:TGID_X_EN: 1
; COMPUTE_PGM_RSRC2:TGID_Y_EN: 0
; COMPUTE_PGM_RSRC2:TGID_Z_EN: 0
; COMPUTE_PGM_RSRC2:TIDIG_COMP_CNT: 0
; COMPUTE_PGM_RSRC3_GFX90A:ACCUM_OFFSET: 0
; COMPUTE_PGM_RSRC3_GFX90A:TG_SPLIT: 0
	.section	.text._ZN7rocprim17ROCPRIM_400000_NS6detail17trampoline_kernelINS0_14default_configENS1_25partition_config_selectorILNS1_17partition_subalgoE5ElNS0_10empty_typeEbEEZZNS1_14partition_implILS5_5ELb0ES3_mN6hipcub16HIPCUB_304000_NS21CountingInputIteratorIllEEPS6_NSA_22TransformInputIteratorIb7NonZeroIsEPslEENS0_5tupleIJPlS6_EEENSJ_IJSD_SD_EEES6_SK_JS6_EEE10hipError_tPvRmT3_T4_T5_T6_T7_T9_mT8_P12ihipStream_tbDpT10_ENKUlT_T0_E_clISt17integral_constantIbLb0EES15_IbLb1EEEEDaS11_S12_EUlS11_E_NS1_11comp_targetILNS1_3genE9ELNS1_11target_archE1100ELNS1_3gpuE3ELNS1_3repE0EEENS1_30default_config_static_selectorELNS0_4arch9wavefront6targetE1EEEvT1_,"axG",@progbits,_ZN7rocprim17ROCPRIM_400000_NS6detail17trampoline_kernelINS0_14default_configENS1_25partition_config_selectorILNS1_17partition_subalgoE5ElNS0_10empty_typeEbEEZZNS1_14partition_implILS5_5ELb0ES3_mN6hipcub16HIPCUB_304000_NS21CountingInputIteratorIllEEPS6_NSA_22TransformInputIteratorIb7NonZeroIsEPslEENS0_5tupleIJPlS6_EEENSJ_IJSD_SD_EEES6_SK_JS6_EEE10hipError_tPvRmT3_T4_T5_T6_T7_T9_mT8_P12ihipStream_tbDpT10_ENKUlT_T0_E_clISt17integral_constantIbLb0EES15_IbLb1EEEEDaS11_S12_EUlS11_E_NS1_11comp_targetILNS1_3genE9ELNS1_11target_archE1100ELNS1_3gpuE3ELNS1_3repE0EEENS1_30default_config_static_selectorELNS0_4arch9wavefront6targetE1EEEvT1_,comdat
	.protected	_ZN7rocprim17ROCPRIM_400000_NS6detail17trampoline_kernelINS0_14default_configENS1_25partition_config_selectorILNS1_17partition_subalgoE5ElNS0_10empty_typeEbEEZZNS1_14partition_implILS5_5ELb0ES3_mN6hipcub16HIPCUB_304000_NS21CountingInputIteratorIllEEPS6_NSA_22TransformInputIteratorIb7NonZeroIsEPslEENS0_5tupleIJPlS6_EEENSJ_IJSD_SD_EEES6_SK_JS6_EEE10hipError_tPvRmT3_T4_T5_T6_T7_T9_mT8_P12ihipStream_tbDpT10_ENKUlT_T0_E_clISt17integral_constantIbLb0EES15_IbLb1EEEEDaS11_S12_EUlS11_E_NS1_11comp_targetILNS1_3genE9ELNS1_11target_archE1100ELNS1_3gpuE3ELNS1_3repE0EEENS1_30default_config_static_selectorELNS0_4arch9wavefront6targetE1EEEvT1_ ; -- Begin function _ZN7rocprim17ROCPRIM_400000_NS6detail17trampoline_kernelINS0_14default_configENS1_25partition_config_selectorILNS1_17partition_subalgoE5ElNS0_10empty_typeEbEEZZNS1_14partition_implILS5_5ELb0ES3_mN6hipcub16HIPCUB_304000_NS21CountingInputIteratorIllEEPS6_NSA_22TransformInputIteratorIb7NonZeroIsEPslEENS0_5tupleIJPlS6_EEENSJ_IJSD_SD_EEES6_SK_JS6_EEE10hipError_tPvRmT3_T4_T5_T6_T7_T9_mT8_P12ihipStream_tbDpT10_ENKUlT_T0_E_clISt17integral_constantIbLb0EES15_IbLb1EEEEDaS11_S12_EUlS11_E_NS1_11comp_targetILNS1_3genE9ELNS1_11target_archE1100ELNS1_3gpuE3ELNS1_3repE0EEENS1_30default_config_static_selectorELNS0_4arch9wavefront6targetE1EEEvT1_
	.globl	_ZN7rocprim17ROCPRIM_400000_NS6detail17trampoline_kernelINS0_14default_configENS1_25partition_config_selectorILNS1_17partition_subalgoE5ElNS0_10empty_typeEbEEZZNS1_14partition_implILS5_5ELb0ES3_mN6hipcub16HIPCUB_304000_NS21CountingInputIteratorIllEEPS6_NSA_22TransformInputIteratorIb7NonZeroIsEPslEENS0_5tupleIJPlS6_EEENSJ_IJSD_SD_EEES6_SK_JS6_EEE10hipError_tPvRmT3_T4_T5_T6_T7_T9_mT8_P12ihipStream_tbDpT10_ENKUlT_T0_E_clISt17integral_constantIbLb0EES15_IbLb1EEEEDaS11_S12_EUlS11_E_NS1_11comp_targetILNS1_3genE9ELNS1_11target_archE1100ELNS1_3gpuE3ELNS1_3repE0EEENS1_30default_config_static_selectorELNS0_4arch9wavefront6targetE1EEEvT1_
	.p2align	8
	.type	_ZN7rocprim17ROCPRIM_400000_NS6detail17trampoline_kernelINS0_14default_configENS1_25partition_config_selectorILNS1_17partition_subalgoE5ElNS0_10empty_typeEbEEZZNS1_14partition_implILS5_5ELb0ES3_mN6hipcub16HIPCUB_304000_NS21CountingInputIteratorIllEEPS6_NSA_22TransformInputIteratorIb7NonZeroIsEPslEENS0_5tupleIJPlS6_EEENSJ_IJSD_SD_EEES6_SK_JS6_EEE10hipError_tPvRmT3_T4_T5_T6_T7_T9_mT8_P12ihipStream_tbDpT10_ENKUlT_T0_E_clISt17integral_constantIbLb0EES15_IbLb1EEEEDaS11_S12_EUlS11_E_NS1_11comp_targetILNS1_3genE9ELNS1_11target_archE1100ELNS1_3gpuE3ELNS1_3repE0EEENS1_30default_config_static_selectorELNS0_4arch9wavefront6targetE1EEEvT1_,@function
_ZN7rocprim17ROCPRIM_400000_NS6detail17trampoline_kernelINS0_14default_configENS1_25partition_config_selectorILNS1_17partition_subalgoE5ElNS0_10empty_typeEbEEZZNS1_14partition_implILS5_5ELb0ES3_mN6hipcub16HIPCUB_304000_NS21CountingInputIteratorIllEEPS6_NSA_22TransformInputIteratorIb7NonZeroIsEPslEENS0_5tupleIJPlS6_EEENSJ_IJSD_SD_EEES6_SK_JS6_EEE10hipError_tPvRmT3_T4_T5_T6_T7_T9_mT8_P12ihipStream_tbDpT10_ENKUlT_T0_E_clISt17integral_constantIbLb0EES15_IbLb1EEEEDaS11_S12_EUlS11_E_NS1_11comp_targetILNS1_3genE9ELNS1_11target_archE1100ELNS1_3gpuE3ELNS1_3repE0EEENS1_30default_config_static_selectorELNS0_4arch9wavefront6targetE1EEEvT1_: ; @_ZN7rocprim17ROCPRIM_400000_NS6detail17trampoline_kernelINS0_14default_configENS1_25partition_config_selectorILNS1_17partition_subalgoE5ElNS0_10empty_typeEbEEZZNS1_14partition_implILS5_5ELb0ES3_mN6hipcub16HIPCUB_304000_NS21CountingInputIteratorIllEEPS6_NSA_22TransformInputIteratorIb7NonZeroIsEPslEENS0_5tupleIJPlS6_EEENSJ_IJSD_SD_EEES6_SK_JS6_EEE10hipError_tPvRmT3_T4_T5_T6_T7_T9_mT8_P12ihipStream_tbDpT10_ENKUlT_T0_E_clISt17integral_constantIbLb0EES15_IbLb1EEEEDaS11_S12_EUlS11_E_NS1_11comp_targetILNS1_3genE9ELNS1_11target_archE1100ELNS1_3gpuE3ELNS1_3repE0EEENS1_30default_config_static_selectorELNS0_4arch9wavefront6targetE1EEEvT1_
; %bb.0:
	.section	.rodata,"a",@progbits
	.p2align	6, 0x0
	.amdhsa_kernel _ZN7rocprim17ROCPRIM_400000_NS6detail17trampoline_kernelINS0_14default_configENS1_25partition_config_selectorILNS1_17partition_subalgoE5ElNS0_10empty_typeEbEEZZNS1_14partition_implILS5_5ELb0ES3_mN6hipcub16HIPCUB_304000_NS21CountingInputIteratorIllEEPS6_NSA_22TransformInputIteratorIb7NonZeroIsEPslEENS0_5tupleIJPlS6_EEENSJ_IJSD_SD_EEES6_SK_JS6_EEE10hipError_tPvRmT3_T4_T5_T6_T7_T9_mT8_P12ihipStream_tbDpT10_ENKUlT_T0_E_clISt17integral_constantIbLb0EES15_IbLb1EEEEDaS11_S12_EUlS11_E_NS1_11comp_targetILNS1_3genE9ELNS1_11target_archE1100ELNS1_3gpuE3ELNS1_3repE0EEENS1_30default_config_static_selectorELNS0_4arch9wavefront6targetE1EEEvT1_
		.amdhsa_group_segment_fixed_size 0
		.amdhsa_private_segment_fixed_size 0
		.amdhsa_kernarg_size 136
		.amdhsa_user_sgpr_count 2
		.amdhsa_user_sgpr_dispatch_ptr 0
		.amdhsa_user_sgpr_queue_ptr 0
		.amdhsa_user_sgpr_kernarg_segment_ptr 1
		.amdhsa_user_sgpr_dispatch_id 0
		.amdhsa_user_sgpr_kernarg_preload_length 0
		.amdhsa_user_sgpr_kernarg_preload_offset 0
		.amdhsa_user_sgpr_private_segment_size 0
		.amdhsa_uses_dynamic_stack 0
		.amdhsa_enable_private_segment 0
		.amdhsa_system_sgpr_workgroup_id_x 1
		.amdhsa_system_sgpr_workgroup_id_y 0
		.amdhsa_system_sgpr_workgroup_id_z 0
		.amdhsa_system_sgpr_workgroup_info 0
		.amdhsa_system_vgpr_workitem_id 0
		.amdhsa_next_free_vgpr 1
		.amdhsa_next_free_sgpr 0
		.amdhsa_accum_offset 4
		.amdhsa_reserve_vcc 0
		.amdhsa_float_round_mode_32 0
		.amdhsa_float_round_mode_16_64 0
		.amdhsa_float_denorm_mode_32 3
		.amdhsa_float_denorm_mode_16_64 3
		.amdhsa_dx10_clamp 1
		.amdhsa_ieee_mode 1
		.amdhsa_fp16_overflow 0
		.amdhsa_tg_split 0
		.amdhsa_exception_fp_ieee_invalid_op 0
		.amdhsa_exception_fp_denorm_src 0
		.amdhsa_exception_fp_ieee_div_zero 0
		.amdhsa_exception_fp_ieee_overflow 0
		.amdhsa_exception_fp_ieee_underflow 0
		.amdhsa_exception_fp_ieee_inexact 0
		.amdhsa_exception_int_div_zero 0
	.end_amdhsa_kernel
	.section	.text._ZN7rocprim17ROCPRIM_400000_NS6detail17trampoline_kernelINS0_14default_configENS1_25partition_config_selectorILNS1_17partition_subalgoE5ElNS0_10empty_typeEbEEZZNS1_14partition_implILS5_5ELb0ES3_mN6hipcub16HIPCUB_304000_NS21CountingInputIteratorIllEEPS6_NSA_22TransformInputIteratorIb7NonZeroIsEPslEENS0_5tupleIJPlS6_EEENSJ_IJSD_SD_EEES6_SK_JS6_EEE10hipError_tPvRmT3_T4_T5_T6_T7_T9_mT8_P12ihipStream_tbDpT10_ENKUlT_T0_E_clISt17integral_constantIbLb0EES15_IbLb1EEEEDaS11_S12_EUlS11_E_NS1_11comp_targetILNS1_3genE9ELNS1_11target_archE1100ELNS1_3gpuE3ELNS1_3repE0EEENS1_30default_config_static_selectorELNS0_4arch9wavefront6targetE1EEEvT1_,"axG",@progbits,_ZN7rocprim17ROCPRIM_400000_NS6detail17trampoline_kernelINS0_14default_configENS1_25partition_config_selectorILNS1_17partition_subalgoE5ElNS0_10empty_typeEbEEZZNS1_14partition_implILS5_5ELb0ES3_mN6hipcub16HIPCUB_304000_NS21CountingInputIteratorIllEEPS6_NSA_22TransformInputIteratorIb7NonZeroIsEPslEENS0_5tupleIJPlS6_EEENSJ_IJSD_SD_EEES6_SK_JS6_EEE10hipError_tPvRmT3_T4_T5_T6_T7_T9_mT8_P12ihipStream_tbDpT10_ENKUlT_T0_E_clISt17integral_constantIbLb0EES15_IbLb1EEEEDaS11_S12_EUlS11_E_NS1_11comp_targetILNS1_3genE9ELNS1_11target_archE1100ELNS1_3gpuE3ELNS1_3repE0EEENS1_30default_config_static_selectorELNS0_4arch9wavefront6targetE1EEEvT1_,comdat
.Lfunc_end147:
	.size	_ZN7rocprim17ROCPRIM_400000_NS6detail17trampoline_kernelINS0_14default_configENS1_25partition_config_selectorILNS1_17partition_subalgoE5ElNS0_10empty_typeEbEEZZNS1_14partition_implILS5_5ELb0ES3_mN6hipcub16HIPCUB_304000_NS21CountingInputIteratorIllEEPS6_NSA_22TransformInputIteratorIb7NonZeroIsEPslEENS0_5tupleIJPlS6_EEENSJ_IJSD_SD_EEES6_SK_JS6_EEE10hipError_tPvRmT3_T4_T5_T6_T7_T9_mT8_P12ihipStream_tbDpT10_ENKUlT_T0_E_clISt17integral_constantIbLb0EES15_IbLb1EEEEDaS11_S12_EUlS11_E_NS1_11comp_targetILNS1_3genE9ELNS1_11target_archE1100ELNS1_3gpuE3ELNS1_3repE0EEENS1_30default_config_static_selectorELNS0_4arch9wavefront6targetE1EEEvT1_, .Lfunc_end147-_ZN7rocprim17ROCPRIM_400000_NS6detail17trampoline_kernelINS0_14default_configENS1_25partition_config_selectorILNS1_17partition_subalgoE5ElNS0_10empty_typeEbEEZZNS1_14partition_implILS5_5ELb0ES3_mN6hipcub16HIPCUB_304000_NS21CountingInputIteratorIllEEPS6_NSA_22TransformInputIteratorIb7NonZeroIsEPslEENS0_5tupleIJPlS6_EEENSJ_IJSD_SD_EEES6_SK_JS6_EEE10hipError_tPvRmT3_T4_T5_T6_T7_T9_mT8_P12ihipStream_tbDpT10_ENKUlT_T0_E_clISt17integral_constantIbLb0EES15_IbLb1EEEEDaS11_S12_EUlS11_E_NS1_11comp_targetILNS1_3genE9ELNS1_11target_archE1100ELNS1_3gpuE3ELNS1_3repE0EEENS1_30default_config_static_selectorELNS0_4arch9wavefront6targetE1EEEvT1_
                                        ; -- End function
	.set _ZN7rocprim17ROCPRIM_400000_NS6detail17trampoline_kernelINS0_14default_configENS1_25partition_config_selectorILNS1_17partition_subalgoE5ElNS0_10empty_typeEbEEZZNS1_14partition_implILS5_5ELb0ES3_mN6hipcub16HIPCUB_304000_NS21CountingInputIteratorIllEEPS6_NSA_22TransformInputIteratorIb7NonZeroIsEPslEENS0_5tupleIJPlS6_EEENSJ_IJSD_SD_EEES6_SK_JS6_EEE10hipError_tPvRmT3_T4_T5_T6_T7_T9_mT8_P12ihipStream_tbDpT10_ENKUlT_T0_E_clISt17integral_constantIbLb0EES15_IbLb1EEEEDaS11_S12_EUlS11_E_NS1_11comp_targetILNS1_3genE9ELNS1_11target_archE1100ELNS1_3gpuE3ELNS1_3repE0EEENS1_30default_config_static_selectorELNS0_4arch9wavefront6targetE1EEEvT1_.num_vgpr, 0
	.set _ZN7rocprim17ROCPRIM_400000_NS6detail17trampoline_kernelINS0_14default_configENS1_25partition_config_selectorILNS1_17partition_subalgoE5ElNS0_10empty_typeEbEEZZNS1_14partition_implILS5_5ELb0ES3_mN6hipcub16HIPCUB_304000_NS21CountingInputIteratorIllEEPS6_NSA_22TransformInputIteratorIb7NonZeroIsEPslEENS0_5tupleIJPlS6_EEENSJ_IJSD_SD_EEES6_SK_JS6_EEE10hipError_tPvRmT3_T4_T5_T6_T7_T9_mT8_P12ihipStream_tbDpT10_ENKUlT_T0_E_clISt17integral_constantIbLb0EES15_IbLb1EEEEDaS11_S12_EUlS11_E_NS1_11comp_targetILNS1_3genE9ELNS1_11target_archE1100ELNS1_3gpuE3ELNS1_3repE0EEENS1_30default_config_static_selectorELNS0_4arch9wavefront6targetE1EEEvT1_.num_agpr, 0
	.set _ZN7rocprim17ROCPRIM_400000_NS6detail17trampoline_kernelINS0_14default_configENS1_25partition_config_selectorILNS1_17partition_subalgoE5ElNS0_10empty_typeEbEEZZNS1_14partition_implILS5_5ELb0ES3_mN6hipcub16HIPCUB_304000_NS21CountingInputIteratorIllEEPS6_NSA_22TransformInputIteratorIb7NonZeroIsEPslEENS0_5tupleIJPlS6_EEENSJ_IJSD_SD_EEES6_SK_JS6_EEE10hipError_tPvRmT3_T4_T5_T6_T7_T9_mT8_P12ihipStream_tbDpT10_ENKUlT_T0_E_clISt17integral_constantIbLb0EES15_IbLb1EEEEDaS11_S12_EUlS11_E_NS1_11comp_targetILNS1_3genE9ELNS1_11target_archE1100ELNS1_3gpuE3ELNS1_3repE0EEENS1_30default_config_static_selectorELNS0_4arch9wavefront6targetE1EEEvT1_.numbered_sgpr, 0
	.set _ZN7rocprim17ROCPRIM_400000_NS6detail17trampoline_kernelINS0_14default_configENS1_25partition_config_selectorILNS1_17partition_subalgoE5ElNS0_10empty_typeEbEEZZNS1_14partition_implILS5_5ELb0ES3_mN6hipcub16HIPCUB_304000_NS21CountingInputIteratorIllEEPS6_NSA_22TransformInputIteratorIb7NonZeroIsEPslEENS0_5tupleIJPlS6_EEENSJ_IJSD_SD_EEES6_SK_JS6_EEE10hipError_tPvRmT3_T4_T5_T6_T7_T9_mT8_P12ihipStream_tbDpT10_ENKUlT_T0_E_clISt17integral_constantIbLb0EES15_IbLb1EEEEDaS11_S12_EUlS11_E_NS1_11comp_targetILNS1_3genE9ELNS1_11target_archE1100ELNS1_3gpuE3ELNS1_3repE0EEENS1_30default_config_static_selectorELNS0_4arch9wavefront6targetE1EEEvT1_.num_named_barrier, 0
	.set _ZN7rocprim17ROCPRIM_400000_NS6detail17trampoline_kernelINS0_14default_configENS1_25partition_config_selectorILNS1_17partition_subalgoE5ElNS0_10empty_typeEbEEZZNS1_14partition_implILS5_5ELb0ES3_mN6hipcub16HIPCUB_304000_NS21CountingInputIteratorIllEEPS6_NSA_22TransformInputIteratorIb7NonZeroIsEPslEENS0_5tupleIJPlS6_EEENSJ_IJSD_SD_EEES6_SK_JS6_EEE10hipError_tPvRmT3_T4_T5_T6_T7_T9_mT8_P12ihipStream_tbDpT10_ENKUlT_T0_E_clISt17integral_constantIbLb0EES15_IbLb1EEEEDaS11_S12_EUlS11_E_NS1_11comp_targetILNS1_3genE9ELNS1_11target_archE1100ELNS1_3gpuE3ELNS1_3repE0EEENS1_30default_config_static_selectorELNS0_4arch9wavefront6targetE1EEEvT1_.private_seg_size, 0
	.set _ZN7rocprim17ROCPRIM_400000_NS6detail17trampoline_kernelINS0_14default_configENS1_25partition_config_selectorILNS1_17partition_subalgoE5ElNS0_10empty_typeEbEEZZNS1_14partition_implILS5_5ELb0ES3_mN6hipcub16HIPCUB_304000_NS21CountingInputIteratorIllEEPS6_NSA_22TransformInputIteratorIb7NonZeroIsEPslEENS0_5tupleIJPlS6_EEENSJ_IJSD_SD_EEES6_SK_JS6_EEE10hipError_tPvRmT3_T4_T5_T6_T7_T9_mT8_P12ihipStream_tbDpT10_ENKUlT_T0_E_clISt17integral_constantIbLb0EES15_IbLb1EEEEDaS11_S12_EUlS11_E_NS1_11comp_targetILNS1_3genE9ELNS1_11target_archE1100ELNS1_3gpuE3ELNS1_3repE0EEENS1_30default_config_static_selectorELNS0_4arch9wavefront6targetE1EEEvT1_.uses_vcc, 0
	.set _ZN7rocprim17ROCPRIM_400000_NS6detail17trampoline_kernelINS0_14default_configENS1_25partition_config_selectorILNS1_17partition_subalgoE5ElNS0_10empty_typeEbEEZZNS1_14partition_implILS5_5ELb0ES3_mN6hipcub16HIPCUB_304000_NS21CountingInputIteratorIllEEPS6_NSA_22TransformInputIteratorIb7NonZeroIsEPslEENS0_5tupleIJPlS6_EEENSJ_IJSD_SD_EEES6_SK_JS6_EEE10hipError_tPvRmT3_T4_T5_T6_T7_T9_mT8_P12ihipStream_tbDpT10_ENKUlT_T0_E_clISt17integral_constantIbLb0EES15_IbLb1EEEEDaS11_S12_EUlS11_E_NS1_11comp_targetILNS1_3genE9ELNS1_11target_archE1100ELNS1_3gpuE3ELNS1_3repE0EEENS1_30default_config_static_selectorELNS0_4arch9wavefront6targetE1EEEvT1_.uses_flat_scratch, 0
	.set _ZN7rocprim17ROCPRIM_400000_NS6detail17trampoline_kernelINS0_14default_configENS1_25partition_config_selectorILNS1_17partition_subalgoE5ElNS0_10empty_typeEbEEZZNS1_14partition_implILS5_5ELb0ES3_mN6hipcub16HIPCUB_304000_NS21CountingInputIteratorIllEEPS6_NSA_22TransformInputIteratorIb7NonZeroIsEPslEENS0_5tupleIJPlS6_EEENSJ_IJSD_SD_EEES6_SK_JS6_EEE10hipError_tPvRmT3_T4_T5_T6_T7_T9_mT8_P12ihipStream_tbDpT10_ENKUlT_T0_E_clISt17integral_constantIbLb0EES15_IbLb1EEEEDaS11_S12_EUlS11_E_NS1_11comp_targetILNS1_3genE9ELNS1_11target_archE1100ELNS1_3gpuE3ELNS1_3repE0EEENS1_30default_config_static_selectorELNS0_4arch9wavefront6targetE1EEEvT1_.has_dyn_sized_stack, 0
	.set _ZN7rocprim17ROCPRIM_400000_NS6detail17trampoline_kernelINS0_14default_configENS1_25partition_config_selectorILNS1_17partition_subalgoE5ElNS0_10empty_typeEbEEZZNS1_14partition_implILS5_5ELb0ES3_mN6hipcub16HIPCUB_304000_NS21CountingInputIteratorIllEEPS6_NSA_22TransformInputIteratorIb7NonZeroIsEPslEENS0_5tupleIJPlS6_EEENSJ_IJSD_SD_EEES6_SK_JS6_EEE10hipError_tPvRmT3_T4_T5_T6_T7_T9_mT8_P12ihipStream_tbDpT10_ENKUlT_T0_E_clISt17integral_constantIbLb0EES15_IbLb1EEEEDaS11_S12_EUlS11_E_NS1_11comp_targetILNS1_3genE9ELNS1_11target_archE1100ELNS1_3gpuE3ELNS1_3repE0EEENS1_30default_config_static_selectorELNS0_4arch9wavefront6targetE1EEEvT1_.has_recursion, 0
	.set _ZN7rocprim17ROCPRIM_400000_NS6detail17trampoline_kernelINS0_14default_configENS1_25partition_config_selectorILNS1_17partition_subalgoE5ElNS0_10empty_typeEbEEZZNS1_14partition_implILS5_5ELb0ES3_mN6hipcub16HIPCUB_304000_NS21CountingInputIteratorIllEEPS6_NSA_22TransformInputIteratorIb7NonZeroIsEPslEENS0_5tupleIJPlS6_EEENSJ_IJSD_SD_EEES6_SK_JS6_EEE10hipError_tPvRmT3_T4_T5_T6_T7_T9_mT8_P12ihipStream_tbDpT10_ENKUlT_T0_E_clISt17integral_constantIbLb0EES15_IbLb1EEEEDaS11_S12_EUlS11_E_NS1_11comp_targetILNS1_3genE9ELNS1_11target_archE1100ELNS1_3gpuE3ELNS1_3repE0EEENS1_30default_config_static_selectorELNS0_4arch9wavefront6targetE1EEEvT1_.has_indirect_call, 0
	.section	.AMDGPU.csdata,"",@progbits
; Kernel info:
; codeLenInByte = 0
; TotalNumSgprs: 6
; NumVgprs: 0
; NumAgprs: 0
; TotalNumVgprs: 0
; ScratchSize: 0
; MemoryBound: 0
; FloatMode: 240
; IeeeMode: 1
; LDSByteSize: 0 bytes/workgroup (compile time only)
; SGPRBlocks: 0
; VGPRBlocks: 0
; NumSGPRsForWavesPerEU: 6
; NumVGPRsForWavesPerEU: 1
; AccumOffset: 4
; Occupancy: 8
; WaveLimiterHint : 0
; COMPUTE_PGM_RSRC2:SCRATCH_EN: 0
; COMPUTE_PGM_RSRC2:USER_SGPR: 2
; COMPUTE_PGM_RSRC2:TRAP_HANDLER: 0
; COMPUTE_PGM_RSRC2:TGID_X_EN: 1
; COMPUTE_PGM_RSRC2:TGID_Y_EN: 0
; COMPUTE_PGM_RSRC2:TGID_Z_EN: 0
; COMPUTE_PGM_RSRC2:TIDIG_COMP_CNT: 0
; COMPUTE_PGM_RSRC3_GFX90A:ACCUM_OFFSET: 0
; COMPUTE_PGM_RSRC3_GFX90A:TG_SPLIT: 0
	.section	.text._ZN7rocprim17ROCPRIM_400000_NS6detail17trampoline_kernelINS0_14default_configENS1_25partition_config_selectorILNS1_17partition_subalgoE5ElNS0_10empty_typeEbEEZZNS1_14partition_implILS5_5ELb0ES3_mN6hipcub16HIPCUB_304000_NS21CountingInputIteratorIllEEPS6_NSA_22TransformInputIteratorIb7NonZeroIsEPslEENS0_5tupleIJPlS6_EEENSJ_IJSD_SD_EEES6_SK_JS6_EEE10hipError_tPvRmT3_T4_T5_T6_T7_T9_mT8_P12ihipStream_tbDpT10_ENKUlT_T0_E_clISt17integral_constantIbLb0EES15_IbLb1EEEEDaS11_S12_EUlS11_E_NS1_11comp_targetILNS1_3genE8ELNS1_11target_archE1030ELNS1_3gpuE2ELNS1_3repE0EEENS1_30default_config_static_selectorELNS0_4arch9wavefront6targetE1EEEvT1_,"axG",@progbits,_ZN7rocprim17ROCPRIM_400000_NS6detail17trampoline_kernelINS0_14default_configENS1_25partition_config_selectorILNS1_17partition_subalgoE5ElNS0_10empty_typeEbEEZZNS1_14partition_implILS5_5ELb0ES3_mN6hipcub16HIPCUB_304000_NS21CountingInputIteratorIllEEPS6_NSA_22TransformInputIteratorIb7NonZeroIsEPslEENS0_5tupleIJPlS6_EEENSJ_IJSD_SD_EEES6_SK_JS6_EEE10hipError_tPvRmT3_T4_T5_T6_T7_T9_mT8_P12ihipStream_tbDpT10_ENKUlT_T0_E_clISt17integral_constantIbLb0EES15_IbLb1EEEEDaS11_S12_EUlS11_E_NS1_11comp_targetILNS1_3genE8ELNS1_11target_archE1030ELNS1_3gpuE2ELNS1_3repE0EEENS1_30default_config_static_selectorELNS0_4arch9wavefront6targetE1EEEvT1_,comdat
	.protected	_ZN7rocprim17ROCPRIM_400000_NS6detail17trampoline_kernelINS0_14default_configENS1_25partition_config_selectorILNS1_17partition_subalgoE5ElNS0_10empty_typeEbEEZZNS1_14partition_implILS5_5ELb0ES3_mN6hipcub16HIPCUB_304000_NS21CountingInputIteratorIllEEPS6_NSA_22TransformInputIteratorIb7NonZeroIsEPslEENS0_5tupleIJPlS6_EEENSJ_IJSD_SD_EEES6_SK_JS6_EEE10hipError_tPvRmT3_T4_T5_T6_T7_T9_mT8_P12ihipStream_tbDpT10_ENKUlT_T0_E_clISt17integral_constantIbLb0EES15_IbLb1EEEEDaS11_S12_EUlS11_E_NS1_11comp_targetILNS1_3genE8ELNS1_11target_archE1030ELNS1_3gpuE2ELNS1_3repE0EEENS1_30default_config_static_selectorELNS0_4arch9wavefront6targetE1EEEvT1_ ; -- Begin function _ZN7rocprim17ROCPRIM_400000_NS6detail17trampoline_kernelINS0_14default_configENS1_25partition_config_selectorILNS1_17partition_subalgoE5ElNS0_10empty_typeEbEEZZNS1_14partition_implILS5_5ELb0ES3_mN6hipcub16HIPCUB_304000_NS21CountingInputIteratorIllEEPS6_NSA_22TransformInputIteratorIb7NonZeroIsEPslEENS0_5tupleIJPlS6_EEENSJ_IJSD_SD_EEES6_SK_JS6_EEE10hipError_tPvRmT3_T4_T5_T6_T7_T9_mT8_P12ihipStream_tbDpT10_ENKUlT_T0_E_clISt17integral_constantIbLb0EES15_IbLb1EEEEDaS11_S12_EUlS11_E_NS1_11comp_targetILNS1_3genE8ELNS1_11target_archE1030ELNS1_3gpuE2ELNS1_3repE0EEENS1_30default_config_static_selectorELNS0_4arch9wavefront6targetE1EEEvT1_
	.globl	_ZN7rocprim17ROCPRIM_400000_NS6detail17trampoline_kernelINS0_14default_configENS1_25partition_config_selectorILNS1_17partition_subalgoE5ElNS0_10empty_typeEbEEZZNS1_14partition_implILS5_5ELb0ES3_mN6hipcub16HIPCUB_304000_NS21CountingInputIteratorIllEEPS6_NSA_22TransformInputIteratorIb7NonZeroIsEPslEENS0_5tupleIJPlS6_EEENSJ_IJSD_SD_EEES6_SK_JS6_EEE10hipError_tPvRmT3_T4_T5_T6_T7_T9_mT8_P12ihipStream_tbDpT10_ENKUlT_T0_E_clISt17integral_constantIbLb0EES15_IbLb1EEEEDaS11_S12_EUlS11_E_NS1_11comp_targetILNS1_3genE8ELNS1_11target_archE1030ELNS1_3gpuE2ELNS1_3repE0EEENS1_30default_config_static_selectorELNS0_4arch9wavefront6targetE1EEEvT1_
	.p2align	8
	.type	_ZN7rocprim17ROCPRIM_400000_NS6detail17trampoline_kernelINS0_14default_configENS1_25partition_config_selectorILNS1_17partition_subalgoE5ElNS0_10empty_typeEbEEZZNS1_14partition_implILS5_5ELb0ES3_mN6hipcub16HIPCUB_304000_NS21CountingInputIteratorIllEEPS6_NSA_22TransformInputIteratorIb7NonZeroIsEPslEENS0_5tupleIJPlS6_EEENSJ_IJSD_SD_EEES6_SK_JS6_EEE10hipError_tPvRmT3_T4_T5_T6_T7_T9_mT8_P12ihipStream_tbDpT10_ENKUlT_T0_E_clISt17integral_constantIbLb0EES15_IbLb1EEEEDaS11_S12_EUlS11_E_NS1_11comp_targetILNS1_3genE8ELNS1_11target_archE1030ELNS1_3gpuE2ELNS1_3repE0EEENS1_30default_config_static_selectorELNS0_4arch9wavefront6targetE1EEEvT1_,@function
_ZN7rocprim17ROCPRIM_400000_NS6detail17trampoline_kernelINS0_14default_configENS1_25partition_config_selectorILNS1_17partition_subalgoE5ElNS0_10empty_typeEbEEZZNS1_14partition_implILS5_5ELb0ES3_mN6hipcub16HIPCUB_304000_NS21CountingInputIteratorIllEEPS6_NSA_22TransformInputIteratorIb7NonZeroIsEPslEENS0_5tupleIJPlS6_EEENSJ_IJSD_SD_EEES6_SK_JS6_EEE10hipError_tPvRmT3_T4_T5_T6_T7_T9_mT8_P12ihipStream_tbDpT10_ENKUlT_T0_E_clISt17integral_constantIbLb0EES15_IbLb1EEEEDaS11_S12_EUlS11_E_NS1_11comp_targetILNS1_3genE8ELNS1_11target_archE1030ELNS1_3gpuE2ELNS1_3repE0EEENS1_30default_config_static_selectorELNS0_4arch9wavefront6targetE1EEEvT1_: ; @_ZN7rocprim17ROCPRIM_400000_NS6detail17trampoline_kernelINS0_14default_configENS1_25partition_config_selectorILNS1_17partition_subalgoE5ElNS0_10empty_typeEbEEZZNS1_14partition_implILS5_5ELb0ES3_mN6hipcub16HIPCUB_304000_NS21CountingInputIteratorIllEEPS6_NSA_22TransformInputIteratorIb7NonZeroIsEPslEENS0_5tupleIJPlS6_EEENSJ_IJSD_SD_EEES6_SK_JS6_EEE10hipError_tPvRmT3_T4_T5_T6_T7_T9_mT8_P12ihipStream_tbDpT10_ENKUlT_T0_E_clISt17integral_constantIbLb0EES15_IbLb1EEEEDaS11_S12_EUlS11_E_NS1_11comp_targetILNS1_3genE8ELNS1_11target_archE1030ELNS1_3gpuE2ELNS1_3repE0EEENS1_30default_config_static_selectorELNS0_4arch9wavefront6targetE1EEEvT1_
; %bb.0:
	.section	.rodata,"a",@progbits
	.p2align	6, 0x0
	.amdhsa_kernel _ZN7rocprim17ROCPRIM_400000_NS6detail17trampoline_kernelINS0_14default_configENS1_25partition_config_selectorILNS1_17partition_subalgoE5ElNS0_10empty_typeEbEEZZNS1_14partition_implILS5_5ELb0ES3_mN6hipcub16HIPCUB_304000_NS21CountingInputIteratorIllEEPS6_NSA_22TransformInputIteratorIb7NonZeroIsEPslEENS0_5tupleIJPlS6_EEENSJ_IJSD_SD_EEES6_SK_JS6_EEE10hipError_tPvRmT3_T4_T5_T6_T7_T9_mT8_P12ihipStream_tbDpT10_ENKUlT_T0_E_clISt17integral_constantIbLb0EES15_IbLb1EEEEDaS11_S12_EUlS11_E_NS1_11comp_targetILNS1_3genE8ELNS1_11target_archE1030ELNS1_3gpuE2ELNS1_3repE0EEENS1_30default_config_static_selectorELNS0_4arch9wavefront6targetE1EEEvT1_
		.amdhsa_group_segment_fixed_size 0
		.amdhsa_private_segment_fixed_size 0
		.amdhsa_kernarg_size 136
		.amdhsa_user_sgpr_count 2
		.amdhsa_user_sgpr_dispatch_ptr 0
		.amdhsa_user_sgpr_queue_ptr 0
		.amdhsa_user_sgpr_kernarg_segment_ptr 1
		.amdhsa_user_sgpr_dispatch_id 0
		.amdhsa_user_sgpr_kernarg_preload_length 0
		.amdhsa_user_sgpr_kernarg_preload_offset 0
		.amdhsa_user_sgpr_private_segment_size 0
		.amdhsa_uses_dynamic_stack 0
		.amdhsa_enable_private_segment 0
		.amdhsa_system_sgpr_workgroup_id_x 1
		.amdhsa_system_sgpr_workgroup_id_y 0
		.amdhsa_system_sgpr_workgroup_id_z 0
		.amdhsa_system_sgpr_workgroup_info 0
		.amdhsa_system_vgpr_workitem_id 0
		.amdhsa_next_free_vgpr 1
		.amdhsa_next_free_sgpr 0
		.amdhsa_accum_offset 4
		.amdhsa_reserve_vcc 0
		.amdhsa_float_round_mode_32 0
		.amdhsa_float_round_mode_16_64 0
		.amdhsa_float_denorm_mode_32 3
		.amdhsa_float_denorm_mode_16_64 3
		.amdhsa_dx10_clamp 1
		.amdhsa_ieee_mode 1
		.amdhsa_fp16_overflow 0
		.amdhsa_tg_split 0
		.amdhsa_exception_fp_ieee_invalid_op 0
		.amdhsa_exception_fp_denorm_src 0
		.amdhsa_exception_fp_ieee_div_zero 0
		.amdhsa_exception_fp_ieee_overflow 0
		.amdhsa_exception_fp_ieee_underflow 0
		.amdhsa_exception_fp_ieee_inexact 0
		.amdhsa_exception_int_div_zero 0
	.end_amdhsa_kernel
	.section	.text._ZN7rocprim17ROCPRIM_400000_NS6detail17trampoline_kernelINS0_14default_configENS1_25partition_config_selectorILNS1_17partition_subalgoE5ElNS0_10empty_typeEbEEZZNS1_14partition_implILS5_5ELb0ES3_mN6hipcub16HIPCUB_304000_NS21CountingInputIteratorIllEEPS6_NSA_22TransformInputIteratorIb7NonZeroIsEPslEENS0_5tupleIJPlS6_EEENSJ_IJSD_SD_EEES6_SK_JS6_EEE10hipError_tPvRmT3_T4_T5_T6_T7_T9_mT8_P12ihipStream_tbDpT10_ENKUlT_T0_E_clISt17integral_constantIbLb0EES15_IbLb1EEEEDaS11_S12_EUlS11_E_NS1_11comp_targetILNS1_3genE8ELNS1_11target_archE1030ELNS1_3gpuE2ELNS1_3repE0EEENS1_30default_config_static_selectorELNS0_4arch9wavefront6targetE1EEEvT1_,"axG",@progbits,_ZN7rocprim17ROCPRIM_400000_NS6detail17trampoline_kernelINS0_14default_configENS1_25partition_config_selectorILNS1_17partition_subalgoE5ElNS0_10empty_typeEbEEZZNS1_14partition_implILS5_5ELb0ES3_mN6hipcub16HIPCUB_304000_NS21CountingInputIteratorIllEEPS6_NSA_22TransformInputIteratorIb7NonZeroIsEPslEENS0_5tupleIJPlS6_EEENSJ_IJSD_SD_EEES6_SK_JS6_EEE10hipError_tPvRmT3_T4_T5_T6_T7_T9_mT8_P12ihipStream_tbDpT10_ENKUlT_T0_E_clISt17integral_constantIbLb0EES15_IbLb1EEEEDaS11_S12_EUlS11_E_NS1_11comp_targetILNS1_3genE8ELNS1_11target_archE1030ELNS1_3gpuE2ELNS1_3repE0EEENS1_30default_config_static_selectorELNS0_4arch9wavefront6targetE1EEEvT1_,comdat
.Lfunc_end148:
	.size	_ZN7rocprim17ROCPRIM_400000_NS6detail17trampoline_kernelINS0_14default_configENS1_25partition_config_selectorILNS1_17partition_subalgoE5ElNS0_10empty_typeEbEEZZNS1_14partition_implILS5_5ELb0ES3_mN6hipcub16HIPCUB_304000_NS21CountingInputIteratorIllEEPS6_NSA_22TransformInputIteratorIb7NonZeroIsEPslEENS0_5tupleIJPlS6_EEENSJ_IJSD_SD_EEES6_SK_JS6_EEE10hipError_tPvRmT3_T4_T5_T6_T7_T9_mT8_P12ihipStream_tbDpT10_ENKUlT_T0_E_clISt17integral_constantIbLb0EES15_IbLb1EEEEDaS11_S12_EUlS11_E_NS1_11comp_targetILNS1_3genE8ELNS1_11target_archE1030ELNS1_3gpuE2ELNS1_3repE0EEENS1_30default_config_static_selectorELNS0_4arch9wavefront6targetE1EEEvT1_, .Lfunc_end148-_ZN7rocprim17ROCPRIM_400000_NS6detail17trampoline_kernelINS0_14default_configENS1_25partition_config_selectorILNS1_17partition_subalgoE5ElNS0_10empty_typeEbEEZZNS1_14partition_implILS5_5ELb0ES3_mN6hipcub16HIPCUB_304000_NS21CountingInputIteratorIllEEPS6_NSA_22TransformInputIteratorIb7NonZeroIsEPslEENS0_5tupleIJPlS6_EEENSJ_IJSD_SD_EEES6_SK_JS6_EEE10hipError_tPvRmT3_T4_T5_T6_T7_T9_mT8_P12ihipStream_tbDpT10_ENKUlT_T0_E_clISt17integral_constantIbLb0EES15_IbLb1EEEEDaS11_S12_EUlS11_E_NS1_11comp_targetILNS1_3genE8ELNS1_11target_archE1030ELNS1_3gpuE2ELNS1_3repE0EEENS1_30default_config_static_selectorELNS0_4arch9wavefront6targetE1EEEvT1_
                                        ; -- End function
	.set _ZN7rocprim17ROCPRIM_400000_NS6detail17trampoline_kernelINS0_14default_configENS1_25partition_config_selectorILNS1_17partition_subalgoE5ElNS0_10empty_typeEbEEZZNS1_14partition_implILS5_5ELb0ES3_mN6hipcub16HIPCUB_304000_NS21CountingInputIteratorIllEEPS6_NSA_22TransformInputIteratorIb7NonZeroIsEPslEENS0_5tupleIJPlS6_EEENSJ_IJSD_SD_EEES6_SK_JS6_EEE10hipError_tPvRmT3_T4_T5_T6_T7_T9_mT8_P12ihipStream_tbDpT10_ENKUlT_T0_E_clISt17integral_constantIbLb0EES15_IbLb1EEEEDaS11_S12_EUlS11_E_NS1_11comp_targetILNS1_3genE8ELNS1_11target_archE1030ELNS1_3gpuE2ELNS1_3repE0EEENS1_30default_config_static_selectorELNS0_4arch9wavefront6targetE1EEEvT1_.num_vgpr, 0
	.set _ZN7rocprim17ROCPRIM_400000_NS6detail17trampoline_kernelINS0_14default_configENS1_25partition_config_selectorILNS1_17partition_subalgoE5ElNS0_10empty_typeEbEEZZNS1_14partition_implILS5_5ELb0ES3_mN6hipcub16HIPCUB_304000_NS21CountingInputIteratorIllEEPS6_NSA_22TransformInputIteratorIb7NonZeroIsEPslEENS0_5tupleIJPlS6_EEENSJ_IJSD_SD_EEES6_SK_JS6_EEE10hipError_tPvRmT3_T4_T5_T6_T7_T9_mT8_P12ihipStream_tbDpT10_ENKUlT_T0_E_clISt17integral_constantIbLb0EES15_IbLb1EEEEDaS11_S12_EUlS11_E_NS1_11comp_targetILNS1_3genE8ELNS1_11target_archE1030ELNS1_3gpuE2ELNS1_3repE0EEENS1_30default_config_static_selectorELNS0_4arch9wavefront6targetE1EEEvT1_.num_agpr, 0
	.set _ZN7rocprim17ROCPRIM_400000_NS6detail17trampoline_kernelINS0_14default_configENS1_25partition_config_selectorILNS1_17partition_subalgoE5ElNS0_10empty_typeEbEEZZNS1_14partition_implILS5_5ELb0ES3_mN6hipcub16HIPCUB_304000_NS21CountingInputIteratorIllEEPS6_NSA_22TransformInputIteratorIb7NonZeroIsEPslEENS0_5tupleIJPlS6_EEENSJ_IJSD_SD_EEES6_SK_JS6_EEE10hipError_tPvRmT3_T4_T5_T6_T7_T9_mT8_P12ihipStream_tbDpT10_ENKUlT_T0_E_clISt17integral_constantIbLb0EES15_IbLb1EEEEDaS11_S12_EUlS11_E_NS1_11comp_targetILNS1_3genE8ELNS1_11target_archE1030ELNS1_3gpuE2ELNS1_3repE0EEENS1_30default_config_static_selectorELNS0_4arch9wavefront6targetE1EEEvT1_.numbered_sgpr, 0
	.set _ZN7rocprim17ROCPRIM_400000_NS6detail17trampoline_kernelINS0_14default_configENS1_25partition_config_selectorILNS1_17partition_subalgoE5ElNS0_10empty_typeEbEEZZNS1_14partition_implILS5_5ELb0ES3_mN6hipcub16HIPCUB_304000_NS21CountingInputIteratorIllEEPS6_NSA_22TransformInputIteratorIb7NonZeroIsEPslEENS0_5tupleIJPlS6_EEENSJ_IJSD_SD_EEES6_SK_JS6_EEE10hipError_tPvRmT3_T4_T5_T6_T7_T9_mT8_P12ihipStream_tbDpT10_ENKUlT_T0_E_clISt17integral_constantIbLb0EES15_IbLb1EEEEDaS11_S12_EUlS11_E_NS1_11comp_targetILNS1_3genE8ELNS1_11target_archE1030ELNS1_3gpuE2ELNS1_3repE0EEENS1_30default_config_static_selectorELNS0_4arch9wavefront6targetE1EEEvT1_.num_named_barrier, 0
	.set _ZN7rocprim17ROCPRIM_400000_NS6detail17trampoline_kernelINS0_14default_configENS1_25partition_config_selectorILNS1_17partition_subalgoE5ElNS0_10empty_typeEbEEZZNS1_14partition_implILS5_5ELb0ES3_mN6hipcub16HIPCUB_304000_NS21CountingInputIteratorIllEEPS6_NSA_22TransformInputIteratorIb7NonZeroIsEPslEENS0_5tupleIJPlS6_EEENSJ_IJSD_SD_EEES6_SK_JS6_EEE10hipError_tPvRmT3_T4_T5_T6_T7_T9_mT8_P12ihipStream_tbDpT10_ENKUlT_T0_E_clISt17integral_constantIbLb0EES15_IbLb1EEEEDaS11_S12_EUlS11_E_NS1_11comp_targetILNS1_3genE8ELNS1_11target_archE1030ELNS1_3gpuE2ELNS1_3repE0EEENS1_30default_config_static_selectorELNS0_4arch9wavefront6targetE1EEEvT1_.private_seg_size, 0
	.set _ZN7rocprim17ROCPRIM_400000_NS6detail17trampoline_kernelINS0_14default_configENS1_25partition_config_selectorILNS1_17partition_subalgoE5ElNS0_10empty_typeEbEEZZNS1_14partition_implILS5_5ELb0ES3_mN6hipcub16HIPCUB_304000_NS21CountingInputIteratorIllEEPS6_NSA_22TransformInputIteratorIb7NonZeroIsEPslEENS0_5tupleIJPlS6_EEENSJ_IJSD_SD_EEES6_SK_JS6_EEE10hipError_tPvRmT3_T4_T5_T6_T7_T9_mT8_P12ihipStream_tbDpT10_ENKUlT_T0_E_clISt17integral_constantIbLb0EES15_IbLb1EEEEDaS11_S12_EUlS11_E_NS1_11comp_targetILNS1_3genE8ELNS1_11target_archE1030ELNS1_3gpuE2ELNS1_3repE0EEENS1_30default_config_static_selectorELNS0_4arch9wavefront6targetE1EEEvT1_.uses_vcc, 0
	.set _ZN7rocprim17ROCPRIM_400000_NS6detail17trampoline_kernelINS0_14default_configENS1_25partition_config_selectorILNS1_17partition_subalgoE5ElNS0_10empty_typeEbEEZZNS1_14partition_implILS5_5ELb0ES3_mN6hipcub16HIPCUB_304000_NS21CountingInputIteratorIllEEPS6_NSA_22TransformInputIteratorIb7NonZeroIsEPslEENS0_5tupleIJPlS6_EEENSJ_IJSD_SD_EEES6_SK_JS6_EEE10hipError_tPvRmT3_T4_T5_T6_T7_T9_mT8_P12ihipStream_tbDpT10_ENKUlT_T0_E_clISt17integral_constantIbLb0EES15_IbLb1EEEEDaS11_S12_EUlS11_E_NS1_11comp_targetILNS1_3genE8ELNS1_11target_archE1030ELNS1_3gpuE2ELNS1_3repE0EEENS1_30default_config_static_selectorELNS0_4arch9wavefront6targetE1EEEvT1_.uses_flat_scratch, 0
	.set _ZN7rocprim17ROCPRIM_400000_NS6detail17trampoline_kernelINS0_14default_configENS1_25partition_config_selectorILNS1_17partition_subalgoE5ElNS0_10empty_typeEbEEZZNS1_14partition_implILS5_5ELb0ES3_mN6hipcub16HIPCUB_304000_NS21CountingInputIteratorIllEEPS6_NSA_22TransformInputIteratorIb7NonZeroIsEPslEENS0_5tupleIJPlS6_EEENSJ_IJSD_SD_EEES6_SK_JS6_EEE10hipError_tPvRmT3_T4_T5_T6_T7_T9_mT8_P12ihipStream_tbDpT10_ENKUlT_T0_E_clISt17integral_constantIbLb0EES15_IbLb1EEEEDaS11_S12_EUlS11_E_NS1_11comp_targetILNS1_3genE8ELNS1_11target_archE1030ELNS1_3gpuE2ELNS1_3repE0EEENS1_30default_config_static_selectorELNS0_4arch9wavefront6targetE1EEEvT1_.has_dyn_sized_stack, 0
	.set _ZN7rocprim17ROCPRIM_400000_NS6detail17trampoline_kernelINS0_14default_configENS1_25partition_config_selectorILNS1_17partition_subalgoE5ElNS0_10empty_typeEbEEZZNS1_14partition_implILS5_5ELb0ES3_mN6hipcub16HIPCUB_304000_NS21CountingInputIteratorIllEEPS6_NSA_22TransformInputIteratorIb7NonZeroIsEPslEENS0_5tupleIJPlS6_EEENSJ_IJSD_SD_EEES6_SK_JS6_EEE10hipError_tPvRmT3_T4_T5_T6_T7_T9_mT8_P12ihipStream_tbDpT10_ENKUlT_T0_E_clISt17integral_constantIbLb0EES15_IbLb1EEEEDaS11_S12_EUlS11_E_NS1_11comp_targetILNS1_3genE8ELNS1_11target_archE1030ELNS1_3gpuE2ELNS1_3repE0EEENS1_30default_config_static_selectorELNS0_4arch9wavefront6targetE1EEEvT1_.has_recursion, 0
	.set _ZN7rocprim17ROCPRIM_400000_NS6detail17trampoline_kernelINS0_14default_configENS1_25partition_config_selectorILNS1_17partition_subalgoE5ElNS0_10empty_typeEbEEZZNS1_14partition_implILS5_5ELb0ES3_mN6hipcub16HIPCUB_304000_NS21CountingInputIteratorIllEEPS6_NSA_22TransformInputIteratorIb7NonZeroIsEPslEENS0_5tupleIJPlS6_EEENSJ_IJSD_SD_EEES6_SK_JS6_EEE10hipError_tPvRmT3_T4_T5_T6_T7_T9_mT8_P12ihipStream_tbDpT10_ENKUlT_T0_E_clISt17integral_constantIbLb0EES15_IbLb1EEEEDaS11_S12_EUlS11_E_NS1_11comp_targetILNS1_3genE8ELNS1_11target_archE1030ELNS1_3gpuE2ELNS1_3repE0EEENS1_30default_config_static_selectorELNS0_4arch9wavefront6targetE1EEEvT1_.has_indirect_call, 0
	.section	.AMDGPU.csdata,"",@progbits
; Kernel info:
; codeLenInByte = 0
; TotalNumSgprs: 6
; NumVgprs: 0
; NumAgprs: 0
; TotalNumVgprs: 0
; ScratchSize: 0
; MemoryBound: 0
; FloatMode: 240
; IeeeMode: 1
; LDSByteSize: 0 bytes/workgroup (compile time only)
; SGPRBlocks: 0
; VGPRBlocks: 0
; NumSGPRsForWavesPerEU: 6
; NumVGPRsForWavesPerEU: 1
; AccumOffset: 4
; Occupancy: 8
; WaveLimiterHint : 0
; COMPUTE_PGM_RSRC2:SCRATCH_EN: 0
; COMPUTE_PGM_RSRC2:USER_SGPR: 2
; COMPUTE_PGM_RSRC2:TRAP_HANDLER: 0
; COMPUTE_PGM_RSRC2:TGID_X_EN: 1
; COMPUTE_PGM_RSRC2:TGID_Y_EN: 0
; COMPUTE_PGM_RSRC2:TGID_Z_EN: 0
; COMPUTE_PGM_RSRC2:TIDIG_COMP_CNT: 0
; COMPUTE_PGM_RSRC3_GFX90A:ACCUM_OFFSET: 0
; COMPUTE_PGM_RSRC3_GFX90A:TG_SPLIT: 0
	.section	.text._ZN7rocprim17ROCPRIM_400000_NS6detail17trampoline_kernelINS0_14default_configENS1_22reduce_config_selectorIlEEZNS1_11reduce_implILb1ES3_PlS7_lN6hipcub16HIPCUB_304000_NS6detail34convert_binary_result_type_wrapperINS9_3SumENS9_22TransformInputIteratorIb7NonZeroIiEPilEElEEEE10hipError_tPvRmT1_T2_T3_mT4_P12ihipStream_tbEUlT_E0_NS1_11comp_targetILNS1_3genE0ELNS1_11target_archE4294967295ELNS1_3gpuE0ELNS1_3repE0EEENS1_30default_config_static_selectorELNS0_4arch9wavefront6targetE1EEEvSM_,"axG",@progbits,_ZN7rocprim17ROCPRIM_400000_NS6detail17trampoline_kernelINS0_14default_configENS1_22reduce_config_selectorIlEEZNS1_11reduce_implILb1ES3_PlS7_lN6hipcub16HIPCUB_304000_NS6detail34convert_binary_result_type_wrapperINS9_3SumENS9_22TransformInputIteratorIb7NonZeroIiEPilEElEEEE10hipError_tPvRmT1_T2_T3_mT4_P12ihipStream_tbEUlT_E0_NS1_11comp_targetILNS1_3genE0ELNS1_11target_archE4294967295ELNS1_3gpuE0ELNS1_3repE0EEENS1_30default_config_static_selectorELNS0_4arch9wavefront6targetE1EEEvSM_,comdat
	.protected	_ZN7rocprim17ROCPRIM_400000_NS6detail17trampoline_kernelINS0_14default_configENS1_22reduce_config_selectorIlEEZNS1_11reduce_implILb1ES3_PlS7_lN6hipcub16HIPCUB_304000_NS6detail34convert_binary_result_type_wrapperINS9_3SumENS9_22TransformInputIteratorIb7NonZeroIiEPilEElEEEE10hipError_tPvRmT1_T2_T3_mT4_P12ihipStream_tbEUlT_E0_NS1_11comp_targetILNS1_3genE0ELNS1_11target_archE4294967295ELNS1_3gpuE0ELNS1_3repE0EEENS1_30default_config_static_selectorELNS0_4arch9wavefront6targetE1EEEvSM_ ; -- Begin function _ZN7rocprim17ROCPRIM_400000_NS6detail17trampoline_kernelINS0_14default_configENS1_22reduce_config_selectorIlEEZNS1_11reduce_implILb1ES3_PlS7_lN6hipcub16HIPCUB_304000_NS6detail34convert_binary_result_type_wrapperINS9_3SumENS9_22TransformInputIteratorIb7NonZeroIiEPilEElEEEE10hipError_tPvRmT1_T2_T3_mT4_P12ihipStream_tbEUlT_E0_NS1_11comp_targetILNS1_3genE0ELNS1_11target_archE4294967295ELNS1_3gpuE0ELNS1_3repE0EEENS1_30default_config_static_selectorELNS0_4arch9wavefront6targetE1EEEvSM_
	.globl	_ZN7rocprim17ROCPRIM_400000_NS6detail17trampoline_kernelINS0_14default_configENS1_22reduce_config_selectorIlEEZNS1_11reduce_implILb1ES3_PlS7_lN6hipcub16HIPCUB_304000_NS6detail34convert_binary_result_type_wrapperINS9_3SumENS9_22TransformInputIteratorIb7NonZeroIiEPilEElEEEE10hipError_tPvRmT1_T2_T3_mT4_P12ihipStream_tbEUlT_E0_NS1_11comp_targetILNS1_3genE0ELNS1_11target_archE4294967295ELNS1_3gpuE0ELNS1_3repE0EEENS1_30default_config_static_selectorELNS0_4arch9wavefront6targetE1EEEvSM_
	.p2align	8
	.type	_ZN7rocprim17ROCPRIM_400000_NS6detail17trampoline_kernelINS0_14default_configENS1_22reduce_config_selectorIlEEZNS1_11reduce_implILb1ES3_PlS7_lN6hipcub16HIPCUB_304000_NS6detail34convert_binary_result_type_wrapperINS9_3SumENS9_22TransformInputIteratorIb7NonZeroIiEPilEElEEEE10hipError_tPvRmT1_T2_T3_mT4_P12ihipStream_tbEUlT_E0_NS1_11comp_targetILNS1_3genE0ELNS1_11target_archE4294967295ELNS1_3gpuE0ELNS1_3repE0EEENS1_30default_config_static_selectorELNS0_4arch9wavefront6targetE1EEEvSM_,@function
_ZN7rocprim17ROCPRIM_400000_NS6detail17trampoline_kernelINS0_14default_configENS1_22reduce_config_selectorIlEEZNS1_11reduce_implILb1ES3_PlS7_lN6hipcub16HIPCUB_304000_NS6detail34convert_binary_result_type_wrapperINS9_3SumENS9_22TransformInputIteratorIb7NonZeroIiEPilEElEEEE10hipError_tPvRmT1_T2_T3_mT4_P12ihipStream_tbEUlT_E0_NS1_11comp_targetILNS1_3genE0ELNS1_11target_archE4294967295ELNS1_3gpuE0ELNS1_3repE0EEENS1_30default_config_static_selectorELNS0_4arch9wavefront6targetE1EEEvSM_: ; @_ZN7rocprim17ROCPRIM_400000_NS6detail17trampoline_kernelINS0_14default_configENS1_22reduce_config_selectorIlEEZNS1_11reduce_implILb1ES3_PlS7_lN6hipcub16HIPCUB_304000_NS6detail34convert_binary_result_type_wrapperINS9_3SumENS9_22TransformInputIteratorIb7NonZeroIiEPilEElEEEE10hipError_tPvRmT1_T2_T3_mT4_P12ihipStream_tbEUlT_E0_NS1_11comp_targetILNS1_3genE0ELNS1_11target_archE4294967295ELNS1_3gpuE0ELNS1_3repE0EEENS1_30default_config_static_selectorELNS0_4arch9wavefront6targetE1EEEvSM_
; %bb.0:
	s_load_dwordx8 s[36:43], s[0:1], 0x0
	s_load_dwordx4 s[44:47], s[0:1], 0x20
	s_load_dwordx2 s[30:31], s[0:1], 0x30
	v_lshlrev_b32_e32 v34, 3, v0
	v_mbcnt_lo_u32_b32 v1, -1, 0
	s_waitcnt lgkmcnt(0)
	s_lshl_b64 s[0:1], s[38:39], 3
	s_add_u32 s8, s36, s0
	s_addc_u32 s9, s37, s1
	s_lshl_b32 s0, s2, 12
	s_mov_b32 s1, 0
	s_lshr_b64 s[4:5], s[40:41], 12
	s_lshl_b64 s[6:7], s[0:1], 3
	s_add_u32 s34, s8, s6
	s_mov_b32 s3, s1
	s_addc_u32 s35, s9, s7
	s_cmp_lg_u64 s[4:5], s[2:3]
	s_cbranch_scc0 .LBB149_6
; %bb.1:
	v_mov_b32_e32 v35, 0
	v_lshl_add_u64 v[2:3], s[34:35], 0, v[34:35]
	global_load_dwordx2 v[6:7], v34, s[34:35]
	global_load_dwordx2 v[8:9], v34, s[34:35] offset:2048
	v_add_co_u32_e32 v4, vcc, 0x1000, v2
	v_mov_b32_e32 v41, v35
	s_nop 0
	v_addc_co_u32_e32 v5, vcc, 0, v3, vcc
	v_add_co_u32_e32 v10, vcc, 0x2000, v2
	v_mov_b32_e32 v45, v35
	s_nop 0
	v_addc_co_u32_e32 v11, vcc, 0, v3, vcc
	global_load_dwordx2 v[12:13], v[4:5], off
	global_load_dwordx2 v[14:15], v[4:5], off offset:2048
	global_load_dwordx2 v[16:17], v[10:11], off
	global_load_dwordx2 v[18:19], v[10:11], off offset:2048
	v_add_co_u32_e32 v4, vcc, 0x3000, v2
	v_mov_b32_e32 v42, v35
	s_nop 0
	v_addc_co_u32_e32 v5, vcc, 0, v3, vcc
	v_add_co_u32_e32 v10, vcc, 0x4000, v2
	v_mov_b32_e32 v49, v35
	s_nop 0
	v_addc_co_u32_e32 v11, vcc, 0, v3, vcc
	global_load_dwordx2 v[20:21], v[4:5], off
	global_load_dwordx2 v[22:23], v[4:5], off offset:2048
	global_load_dwordx2 v[24:25], v[10:11], off
	global_load_dwordx2 v[26:27], v[10:11], off offset:2048
	;; [unrolled: 12-line block ×3, first 2 shown]
	v_add_co_u32_e32 v2, vcc, 0x7000, v2
	v_mov_b32_e32 v50, v35
	s_nop 0
	v_addc_co_u32_e32 v3, vcc, 0, v3, vcc
	global_load_dwordx2 v[10:11], v[2:3], off
	global_load_dwordx2 v[38:39], v[2:3], off offset:2048
	v_mov_b32_e32 v2, v35
	v_mov_b32_e32 v57, v35
	;; [unrolled: 1-line block ×3, first 2 shown]
	v_mbcnt_hi_u32_b32 v4, -1, v1
	v_mov_b32_e32 v59, v35
	v_lshlrev_b32_e32 v5, 2, v4
	v_or_b32_e32 v35, 0xfc, v5
	v_cmp_eq_u32_e32 vcc, 0, v4
	s_waitcnt vmcnt(14)
	v_lshl_add_u64 v[6:7], v[8:9], 0, v[6:7]
	s_waitcnt vmcnt(13)
	v_lshl_add_u64 v[6:7], v[6:7], 0, v[12:13]
	;; [unrolled: 2-line block ×15, first 2 shown]
	s_nop 1
	v_mov_b32_dpp v40, v6 quad_perm:[1,0,3,2] row_mask:0xf bank_mask:0xf bound_ctrl:1
	v_mov_b32_dpp v3, v7 quad_perm:[1,0,3,2] row_mask:0xf bank_mask:0xf bound_ctrl:1
	v_lshl_add_u64 v[6:7], v[6:7], 0, v[40:41]
	v_lshl_add_u64 v[2:3], v[2:3], 0, v[6:7]
	s_nop 0
	v_mov_b32_dpp v44, v6 quad_perm:[2,3,0,1] row_mask:0xf bank_mask:0xf bound_ctrl:1
	v_mov_b32_dpp v43, v3 quad_perm:[2,3,0,1] row_mask:0xf bank_mask:0xf bound_ctrl:1
	v_lshl_add_u64 v[2:3], v[2:3], 0, v[44:45]
	v_lshl_add_u64 v[6:7], v[2:3], 0, v[42:43]
	s_nop 0
	v_mov_b32_dpp v48, v2 row_ror:4 row_mask:0xf bank_mask:0xf bound_ctrl:1
	v_mov_b32_dpp v47, v7 row_ror:4 row_mask:0xf bank_mask:0xf bound_ctrl:1
	v_lshl_add_u64 v[2:3], v[6:7], 0, v[48:49]
	v_lshl_add_u64 v[6:7], v[2:3], 0, v[46:47]
	s_nop 0
	v_mov_b32_dpp v52, v2 row_ror:8 row_mask:0xf bank_mask:0xf bound_ctrl:1
	v_mov_b32_dpp v51, v7 row_ror:8 row_mask:0xf bank_mask:0xf bound_ctrl:1
	v_lshl_add_u64 v[2:3], v[6:7], 0, v[52:53]
	v_lshl_add_u64 v[6:7], v[2:3], 0, v[50:51]
	s_nop 0
	v_mov_b32_dpp v56, v2 row_bcast:15 row_mask:0xf bank_mask:0xf bound_ctrl:1
	v_mov_b32_dpp v55, v7 row_bcast:15 row_mask:0xf bank_mask:0xf bound_ctrl:1
	v_lshl_add_u64 v[2:3], v[6:7], 0, v[56:57]
	v_lshl_add_u64 v[6:7], v[2:3], 0, v[54:55]
	s_nop 0
	v_mov_b32_dpp v58, v2 row_bcast:31 row_mask:0xf bank_mask:0xf bound_ctrl:1
	v_lshl_add_u64 v[2:3], v[6:7], 0, v[58:59]
	ds_bpermute_b32 v2, v35, v2
	s_nop 0
	v_add_u32_dpp v3, v7, v3 row_bcast:31 row_mask:0xf bank_mask:0xf bound_ctrl:1
	ds_bpermute_b32 v3, v35, v3
	s_and_saveexec_b64 s[4:5], vcc
	s_cbranch_execz .LBB149_3
; %bb.2:
	v_lshrrev_b32_e32 v6, 3, v0
	v_and_b32_e32 v6, 24, v6
	s_waitcnt lgkmcnt(0)
	ds_write_b64 v6, v[2:3]
.LBB149_3:
	s_or_b64 exec, exec, s[4:5]
	v_cmp_gt_u32_e32 vcc, 64, v0
	s_waitcnt lgkmcnt(0)
	s_barrier
	s_and_saveexec_b64 s[4:5], vcc
	s_cbranch_execz .LBB149_5
; %bb.4:
	v_and_b32_e32 v6, 3, v4
	v_lshlrev_b32_e32 v2, 3, v6
	ds_read_b64 v[2:3], v2
	v_cmp_ne_u32_e32 vcc, 3, v6
	v_or_b32_e32 v8, 8, v5
	s_nop 0
	v_addc_co_u32_e32 v4, vcc, 0, v4, vcc
	v_lshlrev_b32_e32 v6, 2, v4
	s_waitcnt lgkmcnt(0)
	ds_bpermute_b32 v4, v6, v2
	ds_bpermute_b32 v7, v6, v3
	v_mov_b32_e32 v6, 0
	v_mov_b32_e32 v5, v6
	s_waitcnt lgkmcnt(1)
	v_lshl_add_u64 v[2:3], v[2:3], 0, v[4:5]
	s_waitcnt lgkmcnt(0)
	v_lshl_add_u64 v[4:5], v[6:7], 0, v[2:3]
	ds_bpermute_b32 v2, v8, v2
	ds_bpermute_b32 v7, v8, v5
	v_mov_b32_e32 v3, v6
	s_waitcnt lgkmcnt(1)
	v_lshl_add_u64 v[2:3], v[4:5], 0, v[2:3]
	s_waitcnt lgkmcnt(0)
	v_lshl_add_u64 v[2:3], v[2:3], 0, v[6:7]
.LBB149_5:
	s_or_b64 exec, exec, s[4:5]
	s_branch .LBB149_48
.LBB149_6:
                                        ; implicit-def: $vgpr2_vgpr3
	s_cbranch_execz .LBB149_48
; %bb.7:
	s_sub_i32 s33, s40, s0
	v_mov_b32_e32 v2, 0
	v_cmp_gt_u32_e32 vcc, s33, v0
	v_mov_b32_e32 v3, v2
	v_mov_b32_e32 v4, v2
	;; [unrolled: 1-line block ×31, first 2 shown]
	s_and_saveexec_b64 s[0:1], vcc
	s_cbranch_execz .LBB149_9
; %bb.8:
	global_load_dwordx2 v[36:37], v34, s[34:35]
	v_mov_b32_e32 v38, v2
	v_mov_b32_e32 v39, v2
	v_mov_b32_e32 v40, v2
	v_mov_b32_e32 v41, v2
	v_mov_b32_e32 v42, v2
	v_mov_b32_e32 v43, v2
	v_mov_b32_e32 v44, v2
	v_mov_b32_e32 v45, v2
	v_mov_b32_e32 v46, v2
	v_mov_b32_e32 v47, v2
	v_mov_b32_e32 v48, v2
	v_mov_b32_e32 v49, v2
	v_mov_b32_e32 v50, v2
	v_mov_b32_e32 v51, v2
	v_mov_b32_e32 v52, v2
	v_mov_b32_e32 v53, v2
	v_mov_b32_e32 v54, v2
	v_mov_b32_e32 v55, v2
	v_mov_b32_e32 v56, v2
	v_mov_b32_e32 v57, v2
	v_mov_b32_e32 v58, v2
	v_mov_b32_e32 v59, v2
	v_mov_b32_e32 v60, v2
	v_mov_b32_e32 v61, v2
	v_mov_b32_e32 v62, v2
	v_mov_b32_e32 v63, v2
	v_mov_b32_e32 v64, v2
	v_mov_b32_e32 v65, v2
	v_mov_b32_e32 v66, v2
	v_mov_b32_e32 v67, v2
	s_waitcnt vmcnt(0)
	v_mov_b64_e32 v[2:3], v[36:37]
	v_mov_b64_e32 v[4:5], v[38:39]
	v_mov_b64_e32 v[6:7], v[40:41]
	v_mov_b64_e32 v[8:9], v[42:43]
	v_mov_b64_e32 v[10:11], v[44:45]
	v_mov_b64_e32 v[12:13], v[46:47]
	v_mov_b64_e32 v[14:15], v[48:49]
	v_mov_b64_e32 v[16:17], v[50:51]
	v_mov_b64_e32 v[18:19], v[52:53]
	v_mov_b64_e32 v[20:21], v[54:55]
	v_mov_b64_e32 v[22:23], v[56:57]
	v_mov_b64_e32 v[24:25], v[58:59]
	v_mov_b64_e32 v[26:27], v[60:61]
	v_mov_b64_e32 v[28:29], v[62:63]
	v_mov_b64_e32 v[30:31], v[64:65]
	v_mov_b64_e32 v[32:33], v[66:67]
.LBB149_9:
	s_or_b64 exec, exec, s[0:1]
	v_or_b32_e32 v35, 0x100, v0
	v_cmp_gt_u32_e32 vcc, s33, v35
	s_and_saveexec_b64 s[0:1], vcc
	s_cbranch_execz .LBB149_11
; %bb.10:
	global_load_dwordx2 v[4:5], v34, s[34:35] offset:2048
.LBB149_11:
	s_or_b64 exec, exec, s[0:1]
	v_or_b32_e32 v34, 0x200, v0
	v_cmp_gt_u32_e64 s[0:1], s33, v34
	s_and_saveexec_b64 s[4:5], s[0:1]
	s_cbranch_execz .LBB149_13
; %bb.12:
	v_lshlrev_b32_e32 v6, 3, v34
	global_load_dwordx2 v[6:7], v6, s[34:35]
.LBB149_13:
	s_or_b64 exec, exec, s[4:5]
	v_or_b32_e32 v34, 0x300, v0
	v_cmp_gt_u32_e64 s[4:5], s33, v34
	s_and_saveexec_b64 s[6:7], s[4:5]
	s_cbranch_execz .LBB149_15
; %bb.14:
	v_lshlrev_b32_e32 v8, 3, v34
	global_load_dwordx2 v[8:9], v8, s[34:35]
.LBB149_15:
	;; [unrolled: 9-line block ×14, first 2 shown]
	s_or_b64 exec, exec, s[36:37]
	s_waitcnt vmcnt(0)
	v_cndmask_b32_e32 v5, 0, v5, vcc
	v_cndmask_b32_e32 v4, 0, v4, vcc
	v_lshl_add_u64 v[2:3], v[4:5], 0, v[2:3]
	v_cndmask_b32_e64 v5, 0, v7, s[0:1]
	v_cndmask_b32_e64 v4, 0, v6, s[0:1]
	v_lshl_add_u64 v[2:3], v[2:3], 0, v[4:5]
	v_cndmask_b32_e64 v5, 0, v9, s[4:5]
	v_cndmask_b32_e64 v4, 0, v8, s[4:5]
	;; [unrolled: 3-line block ×13, first 2 shown]
	v_mbcnt_hi_u32_b32 v1, -1, v1
	v_lshl_add_u64 v[2:3], v[2:3], 0, v[4:5]
	v_cndmask_b32_e64 v5, 0, v33, s[28:29]
	v_cndmask_b32_e64 v4, 0, v32, s[28:29]
	v_and_b32_e32 v9, 63, v1
	v_lshl_add_u64 v[2:3], v[2:3], 0, v[4:5]
	s_min_u32 s6, s33, 0x100
	v_and_b32_e32 v4, 0xc0, v0
	v_cmp_ne_u32_e32 vcc, 63, v9
	v_sub_u32_e64 v8, s6, v4 clamp
	v_mov_b32_e32 v6, 0
	v_addc_co_u32_e32 v4, vcc, 0, v1, vcc
	v_lshlrev_b32_e32 v5, 2, v4
	ds_bpermute_b32 v4, v5, v2
	ds_bpermute_b32 v7, v5, v3
	v_add_u32_e32 v10, 1, v9
	v_mov_b32_e32 v5, v6
	v_cmp_lt_u32_e64 s[0:1], v10, v8
	s_waitcnt lgkmcnt(1)
	v_lshl_add_u64 v[4:5], v[2:3], 0, v[4:5]
	v_cmp_gt_u32_e32 vcc, 62, v9
	s_waitcnt lgkmcnt(0)
	v_lshl_add_u64 v[6:7], v[4:5], 0, v[6:7]
	v_cndmask_b32_e64 v12, v2, v4, s[0:1]
	v_cndmask_b32_e64 v4, 0, 2, vcc
	v_cndmask_b32_e64 v5, v3, v7, s[0:1]
	v_add_lshl_u32 v4, v4, v1, 2
	ds_bpermute_b32 v10, v4, v12
	ds_bpermute_b32 v11, v4, v5
	v_cndmask_b32_e64 v4, v2, v6, s[0:1]
	v_add_u32_e32 v13, 2, v9
	v_cmp_lt_u32_e32 vcc, v13, v8
	v_cmp_gt_u32_e64 s[4:5], 60, v9
	s_waitcnt lgkmcnt(0)
	v_lshl_add_u64 v[6:7], v[10:11], 0, v[4:5]
	v_cndmask_b32_e32 v5, v5, v7, vcc
	v_cndmask_b32_e64 v7, 0, 4, s[4:5]
	v_cndmask_b32_e32 v12, v12, v6, vcc
	v_add_lshl_u32 v7, v7, v1, 2
	ds_bpermute_b32 v10, v7, v12
	ds_bpermute_b32 v11, v7, v5
	v_cndmask_b32_e32 v4, v4, v6, vcc
	v_add_u32_e32 v13, 4, v9
	v_cmp_lt_u32_e32 vcc, v13, v8
	v_cmp_gt_u32_e64 s[4:5], 56, v9
	s_waitcnt lgkmcnt(0)
	v_lshl_add_u64 v[6:7], v[10:11], 0, v[4:5]
	v_cndmask_b32_e32 v5, v5, v7, vcc
	v_cndmask_b32_e64 v7, 0, 8, s[4:5]
	v_cndmask_b32_e32 v12, v12, v6, vcc
	v_add_lshl_u32 v7, v7, v1, 2
	ds_bpermute_b32 v10, v7, v12
	ds_bpermute_b32 v11, v7, v5
	v_cndmask_b32_e32 v4, v4, v6, vcc
	;; [unrolled: 12-line block ×3, first 2 shown]
	v_add_u32_e32 v13, 16, v9
	v_cmp_lt_u32_e32 vcc, v13, v8
	s_waitcnt lgkmcnt(0)
	v_lshl_add_u64 v[6:7], v[10:11], 0, v[4:5]
	v_lshlrev_b32_e32 v10, 2, v1
	v_cndmask_b32_e32 v13, v5, v7, vcc
	v_cndmask_b32_e32 v11, v12, v6, vcc
	v_or_b32_e32 v12, 0x80, v10
	ds_bpermute_b32 v11, v12, v11
	ds_bpermute_b32 v12, v12, v13
	s_and_saveexec_b64 s[4:5], s[0:1]
	s_cbranch_execz .LBB149_41
; %bb.40:
	v_add_u32_e32 v9, 32, v9
	v_cndmask_b32_e32 v3, v5, v7, vcc
	v_cndmask_b32_e32 v2, v4, v6, vcc
	v_cmp_lt_u32_e32 vcc, v9, v8
	s_waitcnt lgkmcnt(0)
	s_nop 0
	v_cndmask_b32_e32 v5, 0, v12, vcc
	v_cndmask_b32_e32 v4, 0, v11, vcc
	v_lshl_add_u64 v[2:3], v[2:3], 0, v[4:5]
.LBB149_41:
	s_or_b64 exec, exec, s[4:5]
	v_cmp_eq_u32_e32 vcc, 0, v1
	s_and_saveexec_b64 s[0:1], vcc
; %bb.42:
	v_lshrrev_b32_e32 v4, 3, v0
	v_and_b32_e32 v4, 24, v4
	ds_write_b64 v4, v[2:3] offset:32
; %bb.43:
	s_or_b64 exec, exec, s[0:1]
	v_cmp_gt_u32_e32 vcc, 4, v0
	s_waitcnt lgkmcnt(0)
	s_barrier
	s_and_saveexec_b64 s[0:1], vcc
	s_cbranch_execz .LBB149_47
; %bb.44:
	v_lshlrev_b32_e32 v2, 3, v1
	ds_read_b64 v[2:3], v2 offset:32
	v_and_b32_e32 v6, 3, v1
	v_cmp_ne_u32_e32 vcc, 3, v6
	v_mov_b32_e32 v8, 0
	s_add_i32 s6, s6, 63
	v_addc_co_u32_e32 v1, vcc, 0, v1, vcc
	v_lshlrev_b32_e32 v1, 2, v1
	s_waitcnt lgkmcnt(0)
	ds_bpermute_b32 v4, v1, v2
	ds_bpermute_b32 v9, v1, v3
	v_mov_b32_e32 v5, v8
	s_lshr_b32 s6, s6, 6
	v_add_u32_e32 v1, 1, v6
	s_waitcnt lgkmcnt(1)
	v_lshl_add_u64 v[12:13], v[2:3], 0, v[4:5]
	s_waitcnt lgkmcnt(0)
	v_lshl_add_u64 v[4:5], v[8:9], 0, v[12:13]
	v_cmp_gt_u32_e32 vcc, s6, v1
	v_or_b32_e32 v8, 8, v10
	s_nop 0
	v_cndmask_b32_e32 v7, v3, v5, vcc
	v_cndmask_b32_e32 v1, v2, v12, vcc
	ds_bpermute_b32 v1, v8, v1
	ds_bpermute_b32 v7, v8, v7
	s_and_saveexec_b64 s[4:5], vcc
	s_cbranch_execz .LBB149_46
; %bb.45:
	v_add_u32_e32 v2, 2, v6
	v_cmp_gt_u32_e32 vcc, s6, v2
	s_waitcnt lgkmcnt(0)
	s_nop 0
	v_cndmask_b32_e32 v3, 0, v7, vcc
	v_cndmask_b32_e32 v2, 0, v1, vcc
	v_lshl_add_u64 v[2:3], v[2:3], 0, v[4:5]
.LBB149_46:
	s_or_b64 exec, exec, s[4:5]
.LBB149_47:
	s_or_b64 exec, exec, s[0:1]
.LBB149_48:
	v_cmp_eq_u32_e32 vcc, 0, v0
	s_and_saveexec_b64 s[0:1], vcc
	s_cbranch_execnz .LBB149_50
; %bb.49:
	s_endpgm
.LBB149_50:
	s_mul_i32 s0, s46, s45
	s_mul_hi_u32 s1, s46, s44
	s_add_i32 s0, s1, s0
	s_mul_i32 s1, s47, s44
	s_add_i32 s1, s0, s1
	s_mul_i32 s0, s46, s44
	s_lshl_b64 s[0:1], s[0:1], 3
	s_add_u32 s4, s42, s0
	s_addc_u32 s5, s43, s1
	s_cmp_eq_u64 s[40:41], 0
	v_mov_b32_e32 v0, s31
	s_cselect_b64 vcc, -1, 0
	s_lshl_b64 s[0:1], s[2:3], 3
	s_waitcnt lgkmcnt(1)
	v_cndmask_b32_e32 v1, v3, v0, vcc
	v_mov_b32_e32 v0, s30
	s_add_u32 s0, s4, s0
	v_cndmask_b32_e32 v0, v2, v0, vcc
	s_addc_u32 s1, s5, s1
	v_mov_b32_e32 v2, 0
	global_store_dwordx2 v2, v[0:1], s[0:1]
	s_endpgm
	.section	.rodata,"a",@progbits
	.p2align	6, 0x0
	.amdhsa_kernel _ZN7rocprim17ROCPRIM_400000_NS6detail17trampoline_kernelINS0_14default_configENS1_22reduce_config_selectorIlEEZNS1_11reduce_implILb1ES3_PlS7_lN6hipcub16HIPCUB_304000_NS6detail34convert_binary_result_type_wrapperINS9_3SumENS9_22TransformInputIteratorIb7NonZeroIiEPilEElEEEE10hipError_tPvRmT1_T2_T3_mT4_P12ihipStream_tbEUlT_E0_NS1_11comp_targetILNS1_3genE0ELNS1_11target_archE4294967295ELNS1_3gpuE0ELNS1_3repE0EEENS1_30default_config_static_selectorELNS0_4arch9wavefront6targetE1EEEvSM_
		.amdhsa_group_segment_fixed_size 64
		.amdhsa_private_segment_fixed_size 0
		.amdhsa_kernarg_size 64
		.amdhsa_user_sgpr_count 2
		.amdhsa_user_sgpr_dispatch_ptr 0
		.amdhsa_user_sgpr_queue_ptr 0
		.amdhsa_user_sgpr_kernarg_segment_ptr 1
		.amdhsa_user_sgpr_dispatch_id 0
		.amdhsa_user_sgpr_kernarg_preload_length 0
		.amdhsa_user_sgpr_kernarg_preload_offset 0
		.amdhsa_user_sgpr_private_segment_size 0
		.amdhsa_uses_dynamic_stack 0
		.amdhsa_enable_private_segment 0
		.amdhsa_system_sgpr_workgroup_id_x 1
		.amdhsa_system_sgpr_workgroup_id_y 0
		.amdhsa_system_sgpr_workgroup_id_z 0
		.amdhsa_system_sgpr_workgroup_info 0
		.amdhsa_system_vgpr_workitem_id 0
		.amdhsa_next_free_vgpr 68
		.amdhsa_next_free_sgpr 48
		.amdhsa_accum_offset 68
		.amdhsa_reserve_vcc 1
		.amdhsa_float_round_mode_32 0
		.amdhsa_float_round_mode_16_64 0
		.amdhsa_float_denorm_mode_32 3
		.amdhsa_float_denorm_mode_16_64 3
		.amdhsa_dx10_clamp 1
		.amdhsa_ieee_mode 1
		.amdhsa_fp16_overflow 0
		.amdhsa_tg_split 0
		.amdhsa_exception_fp_ieee_invalid_op 0
		.amdhsa_exception_fp_denorm_src 0
		.amdhsa_exception_fp_ieee_div_zero 0
		.amdhsa_exception_fp_ieee_overflow 0
		.amdhsa_exception_fp_ieee_underflow 0
		.amdhsa_exception_fp_ieee_inexact 0
		.amdhsa_exception_int_div_zero 0
	.end_amdhsa_kernel
	.section	.text._ZN7rocprim17ROCPRIM_400000_NS6detail17trampoline_kernelINS0_14default_configENS1_22reduce_config_selectorIlEEZNS1_11reduce_implILb1ES3_PlS7_lN6hipcub16HIPCUB_304000_NS6detail34convert_binary_result_type_wrapperINS9_3SumENS9_22TransformInputIteratorIb7NonZeroIiEPilEElEEEE10hipError_tPvRmT1_T2_T3_mT4_P12ihipStream_tbEUlT_E0_NS1_11comp_targetILNS1_3genE0ELNS1_11target_archE4294967295ELNS1_3gpuE0ELNS1_3repE0EEENS1_30default_config_static_selectorELNS0_4arch9wavefront6targetE1EEEvSM_,"axG",@progbits,_ZN7rocprim17ROCPRIM_400000_NS6detail17trampoline_kernelINS0_14default_configENS1_22reduce_config_selectorIlEEZNS1_11reduce_implILb1ES3_PlS7_lN6hipcub16HIPCUB_304000_NS6detail34convert_binary_result_type_wrapperINS9_3SumENS9_22TransformInputIteratorIb7NonZeroIiEPilEElEEEE10hipError_tPvRmT1_T2_T3_mT4_P12ihipStream_tbEUlT_E0_NS1_11comp_targetILNS1_3genE0ELNS1_11target_archE4294967295ELNS1_3gpuE0ELNS1_3repE0EEENS1_30default_config_static_selectorELNS0_4arch9wavefront6targetE1EEEvSM_,comdat
.Lfunc_end149:
	.size	_ZN7rocprim17ROCPRIM_400000_NS6detail17trampoline_kernelINS0_14default_configENS1_22reduce_config_selectorIlEEZNS1_11reduce_implILb1ES3_PlS7_lN6hipcub16HIPCUB_304000_NS6detail34convert_binary_result_type_wrapperINS9_3SumENS9_22TransformInputIteratorIb7NonZeroIiEPilEElEEEE10hipError_tPvRmT1_T2_T3_mT4_P12ihipStream_tbEUlT_E0_NS1_11comp_targetILNS1_3genE0ELNS1_11target_archE4294967295ELNS1_3gpuE0ELNS1_3repE0EEENS1_30default_config_static_selectorELNS0_4arch9wavefront6targetE1EEEvSM_, .Lfunc_end149-_ZN7rocprim17ROCPRIM_400000_NS6detail17trampoline_kernelINS0_14default_configENS1_22reduce_config_selectorIlEEZNS1_11reduce_implILb1ES3_PlS7_lN6hipcub16HIPCUB_304000_NS6detail34convert_binary_result_type_wrapperINS9_3SumENS9_22TransformInputIteratorIb7NonZeroIiEPilEElEEEE10hipError_tPvRmT1_T2_T3_mT4_P12ihipStream_tbEUlT_E0_NS1_11comp_targetILNS1_3genE0ELNS1_11target_archE4294967295ELNS1_3gpuE0ELNS1_3repE0EEENS1_30default_config_static_selectorELNS0_4arch9wavefront6targetE1EEEvSM_
                                        ; -- End function
	.set _ZN7rocprim17ROCPRIM_400000_NS6detail17trampoline_kernelINS0_14default_configENS1_22reduce_config_selectorIlEEZNS1_11reduce_implILb1ES3_PlS7_lN6hipcub16HIPCUB_304000_NS6detail34convert_binary_result_type_wrapperINS9_3SumENS9_22TransformInputIteratorIb7NonZeroIiEPilEElEEEE10hipError_tPvRmT1_T2_T3_mT4_P12ihipStream_tbEUlT_E0_NS1_11comp_targetILNS1_3genE0ELNS1_11target_archE4294967295ELNS1_3gpuE0ELNS1_3repE0EEENS1_30default_config_static_selectorELNS0_4arch9wavefront6targetE1EEEvSM_.num_vgpr, 68
	.set _ZN7rocprim17ROCPRIM_400000_NS6detail17trampoline_kernelINS0_14default_configENS1_22reduce_config_selectorIlEEZNS1_11reduce_implILb1ES3_PlS7_lN6hipcub16HIPCUB_304000_NS6detail34convert_binary_result_type_wrapperINS9_3SumENS9_22TransformInputIteratorIb7NonZeroIiEPilEElEEEE10hipError_tPvRmT1_T2_T3_mT4_P12ihipStream_tbEUlT_E0_NS1_11comp_targetILNS1_3genE0ELNS1_11target_archE4294967295ELNS1_3gpuE0ELNS1_3repE0EEENS1_30default_config_static_selectorELNS0_4arch9wavefront6targetE1EEEvSM_.num_agpr, 0
	.set _ZN7rocprim17ROCPRIM_400000_NS6detail17trampoline_kernelINS0_14default_configENS1_22reduce_config_selectorIlEEZNS1_11reduce_implILb1ES3_PlS7_lN6hipcub16HIPCUB_304000_NS6detail34convert_binary_result_type_wrapperINS9_3SumENS9_22TransformInputIteratorIb7NonZeroIiEPilEElEEEE10hipError_tPvRmT1_T2_T3_mT4_P12ihipStream_tbEUlT_E0_NS1_11comp_targetILNS1_3genE0ELNS1_11target_archE4294967295ELNS1_3gpuE0ELNS1_3repE0EEENS1_30default_config_static_selectorELNS0_4arch9wavefront6targetE1EEEvSM_.numbered_sgpr, 48
	.set _ZN7rocprim17ROCPRIM_400000_NS6detail17trampoline_kernelINS0_14default_configENS1_22reduce_config_selectorIlEEZNS1_11reduce_implILb1ES3_PlS7_lN6hipcub16HIPCUB_304000_NS6detail34convert_binary_result_type_wrapperINS9_3SumENS9_22TransformInputIteratorIb7NonZeroIiEPilEElEEEE10hipError_tPvRmT1_T2_T3_mT4_P12ihipStream_tbEUlT_E0_NS1_11comp_targetILNS1_3genE0ELNS1_11target_archE4294967295ELNS1_3gpuE0ELNS1_3repE0EEENS1_30default_config_static_selectorELNS0_4arch9wavefront6targetE1EEEvSM_.num_named_barrier, 0
	.set _ZN7rocprim17ROCPRIM_400000_NS6detail17trampoline_kernelINS0_14default_configENS1_22reduce_config_selectorIlEEZNS1_11reduce_implILb1ES3_PlS7_lN6hipcub16HIPCUB_304000_NS6detail34convert_binary_result_type_wrapperINS9_3SumENS9_22TransformInputIteratorIb7NonZeroIiEPilEElEEEE10hipError_tPvRmT1_T2_T3_mT4_P12ihipStream_tbEUlT_E0_NS1_11comp_targetILNS1_3genE0ELNS1_11target_archE4294967295ELNS1_3gpuE0ELNS1_3repE0EEENS1_30default_config_static_selectorELNS0_4arch9wavefront6targetE1EEEvSM_.private_seg_size, 0
	.set _ZN7rocprim17ROCPRIM_400000_NS6detail17trampoline_kernelINS0_14default_configENS1_22reduce_config_selectorIlEEZNS1_11reduce_implILb1ES3_PlS7_lN6hipcub16HIPCUB_304000_NS6detail34convert_binary_result_type_wrapperINS9_3SumENS9_22TransformInputIteratorIb7NonZeroIiEPilEElEEEE10hipError_tPvRmT1_T2_T3_mT4_P12ihipStream_tbEUlT_E0_NS1_11comp_targetILNS1_3genE0ELNS1_11target_archE4294967295ELNS1_3gpuE0ELNS1_3repE0EEENS1_30default_config_static_selectorELNS0_4arch9wavefront6targetE1EEEvSM_.uses_vcc, 1
	.set _ZN7rocprim17ROCPRIM_400000_NS6detail17trampoline_kernelINS0_14default_configENS1_22reduce_config_selectorIlEEZNS1_11reduce_implILb1ES3_PlS7_lN6hipcub16HIPCUB_304000_NS6detail34convert_binary_result_type_wrapperINS9_3SumENS9_22TransformInputIteratorIb7NonZeroIiEPilEElEEEE10hipError_tPvRmT1_T2_T3_mT4_P12ihipStream_tbEUlT_E0_NS1_11comp_targetILNS1_3genE0ELNS1_11target_archE4294967295ELNS1_3gpuE0ELNS1_3repE0EEENS1_30default_config_static_selectorELNS0_4arch9wavefront6targetE1EEEvSM_.uses_flat_scratch, 0
	.set _ZN7rocprim17ROCPRIM_400000_NS6detail17trampoline_kernelINS0_14default_configENS1_22reduce_config_selectorIlEEZNS1_11reduce_implILb1ES3_PlS7_lN6hipcub16HIPCUB_304000_NS6detail34convert_binary_result_type_wrapperINS9_3SumENS9_22TransformInputIteratorIb7NonZeroIiEPilEElEEEE10hipError_tPvRmT1_T2_T3_mT4_P12ihipStream_tbEUlT_E0_NS1_11comp_targetILNS1_3genE0ELNS1_11target_archE4294967295ELNS1_3gpuE0ELNS1_3repE0EEENS1_30default_config_static_selectorELNS0_4arch9wavefront6targetE1EEEvSM_.has_dyn_sized_stack, 0
	.set _ZN7rocprim17ROCPRIM_400000_NS6detail17trampoline_kernelINS0_14default_configENS1_22reduce_config_selectorIlEEZNS1_11reduce_implILb1ES3_PlS7_lN6hipcub16HIPCUB_304000_NS6detail34convert_binary_result_type_wrapperINS9_3SumENS9_22TransformInputIteratorIb7NonZeroIiEPilEElEEEE10hipError_tPvRmT1_T2_T3_mT4_P12ihipStream_tbEUlT_E0_NS1_11comp_targetILNS1_3genE0ELNS1_11target_archE4294967295ELNS1_3gpuE0ELNS1_3repE0EEENS1_30default_config_static_selectorELNS0_4arch9wavefront6targetE1EEEvSM_.has_recursion, 0
	.set _ZN7rocprim17ROCPRIM_400000_NS6detail17trampoline_kernelINS0_14default_configENS1_22reduce_config_selectorIlEEZNS1_11reduce_implILb1ES3_PlS7_lN6hipcub16HIPCUB_304000_NS6detail34convert_binary_result_type_wrapperINS9_3SumENS9_22TransformInputIteratorIb7NonZeroIiEPilEElEEEE10hipError_tPvRmT1_T2_T3_mT4_P12ihipStream_tbEUlT_E0_NS1_11comp_targetILNS1_3genE0ELNS1_11target_archE4294967295ELNS1_3gpuE0ELNS1_3repE0EEENS1_30default_config_static_selectorELNS0_4arch9wavefront6targetE1EEEvSM_.has_indirect_call, 0
	.section	.AMDGPU.csdata,"",@progbits
; Kernel info:
; codeLenInByte = 3128
; TotalNumSgprs: 54
; NumVgprs: 68
; NumAgprs: 0
; TotalNumVgprs: 68
; ScratchSize: 0
; MemoryBound: 0
; FloatMode: 240
; IeeeMode: 1
; LDSByteSize: 64 bytes/workgroup (compile time only)
; SGPRBlocks: 6
; VGPRBlocks: 8
; NumSGPRsForWavesPerEU: 54
; NumVGPRsForWavesPerEU: 68
; AccumOffset: 68
; Occupancy: 7
; WaveLimiterHint : 1
; COMPUTE_PGM_RSRC2:SCRATCH_EN: 0
; COMPUTE_PGM_RSRC2:USER_SGPR: 2
; COMPUTE_PGM_RSRC2:TRAP_HANDLER: 0
; COMPUTE_PGM_RSRC2:TGID_X_EN: 1
; COMPUTE_PGM_RSRC2:TGID_Y_EN: 0
; COMPUTE_PGM_RSRC2:TGID_Z_EN: 0
; COMPUTE_PGM_RSRC2:TIDIG_COMP_CNT: 0
; COMPUTE_PGM_RSRC3_GFX90A:ACCUM_OFFSET: 16
; COMPUTE_PGM_RSRC3_GFX90A:TG_SPLIT: 0
	.section	.text._ZN7rocprim17ROCPRIM_400000_NS6detail17trampoline_kernelINS0_14default_configENS1_22reduce_config_selectorIlEEZNS1_11reduce_implILb1ES3_PlS7_lN6hipcub16HIPCUB_304000_NS6detail34convert_binary_result_type_wrapperINS9_3SumENS9_22TransformInputIteratorIb7NonZeroIiEPilEElEEEE10hipError_tPvRmT1_T2_T3_mT4_P12ihipStream_tbEUlT_E0_NS1_11comp_targetILNS1_3genE5ELNS1_11target_archE942ELNS1_3gpuE9ELNS1_3repE0EEENS1_30default_config_static_selectorELNS0_4arch9wavefront6targetE1EEEvSM_,"axG",@progbits,_ZN7rocprim17ROCPRIM_400000_NS6detail17trampoline_kernelINS0_14default_configENS1_22reduce_config_selectorIlEEZNS1_11reduce_implILb1ES3_PlS7_lN6hipcub16HIPCUB_304000_NS6detail34convert_binary_result_type_wrapperINS9_3SumENS9_22TransformInputIteratorIb7NonZeroIiEPilEElEEEE10hipError_tPvRmT1_T2_T3_mT4_P12ihipStream_tbEUlT_E0_NS1_11comp_targetILNS1_3genE5ELNS1_11target_archE942ELNS1_3gpuE9ELNS1_3repE0EEENS1_30default_config_static_selectorELNS0_4arch9wavefront6targetE1EEEvSM_,comdat
	.protected	_ZN7rocprim17ROCPRIM_400000_NS6detail17trampoline_kernelINS0_14default_configENS1_22reduce_config_selectorIlEEZNS1_11reduce_implILb1ES3_PlS7_lN6hipcub16HIPCUB_304000_NS6detail34convert_binary_result_type_wrapperINS9_3SumENS9_22TransformInputIteratorIb7NonZeroIiEPilEElEEEE10hipError_tPvRmT1_T2_T3_mT4_P12ihipStream_tbEUlT_E0_NS1_11comp_targetILNS1_3genE5ELNS1_11target_archE942ELNS1_3gpuE9ELNS1_3repE0EEENS1_30default_config_static_selectorELNS0_4arch9wavefront6targetE1EEEvSM_ ; -- Begin function _ZN7rocprim17ROCPRIM_400000_NS6detail17trampoline_kernelINS0_14default_configENS1_22reduce_config_selectorIlEEZNS1_11reduce_implILb1ES3_PlS7_lN6hipcub16HIPCUB_304000_NS6detail34convert_binary_result_type_wrapperINS9_3SumENS9_22TransformInputIteratorIb7NonZeroIiEPilEElEEEE10hipError_tPvRmT1_T2_T3_mT4_P12ihipStream_tbEUlT_E0_NS1_11comp_targetILNS1_3genE5ELNS1_11target_archE942ELNS1_3gpuE9ELNS1_3repE0EEENS1_30default_config_static_selectorELNS0_4arch9wavefront6targetE1EEEvSM_
	.globl	_ZN7rocprim17ROCPRIM_400000_NS6detail17trampoline_kernelINS0_14default_configENS1_22reduce_config_selectorIlEEZNS1_11reduce_implILb1ES3_PlS7_lN6hipcub16HIPCUB_304000_NS6detail34convert_binary_result_type_wrapperINS9_3SumENS9_22TransformInputIteratorIb7NonZeroIiEPilEElEEEE10hipError_tPvRmT1_T2_T3_mT4_P12ihipStream_tbEUlT_E0_NS1_11comp_targetILNS1_3genE5ELNS1_11target_archE942ELNS1_3gpuE9ELNS1_3repE0EEENS1_30default_config_static_selectorELNS0_4arch9wavefront6targetE1EEEvSM_
	.p2align	8
	.type	_ZN7rocprim17ROCPRIM_400000_NS6detail17trampoline_kernelINS0_14default_configENS1_22reduce_config_selectorIlEEZNS1_11reduce_implILb1ES3_PlS7_lN6hipcub16HIPCUB_304000_NS6detail34convert_binary_result_type_wrapperINS9_3SumENS9_22TransformInputIteratorIb7NonZeroIiEPilEElEEEE10hipError_tPvRmT1_T2_T3_mT4_P12ihipStream_tbEUlT_E0_NS1_11comp_targetILNS1_3genE5ELNS1_11target_archE942ELNS1_3gpuE9ELNS1_3repE0EEENS1_30default_config_static_selectorELNS0_4arch9wavefront6targetE1EEEvSM_,@function
_ZN7rocprim17ROCPRIM_400000_NS6detail17trampoline_kernelINS0_14default_configENS1_22reduce_config_selectorIlEEZNS1_11reduce_implILb1ES3_PlS7_lN6hipcub16HIPCUB_304000_NS6detail34convert_binary_result_type_wrapperINS9_3SumENS9_22TransformInputIteratorIb7NonZeroIiEPilEElEEEE10hipError_tPvRmT1_T2_T3_mT4_P12ihipStream_tbEUlT_E0_NS1_11comp_targetILNS1_3genE5ELNS1_11target_archE942ELNS1_3gpuE9ELNS1_3repE0EEENS1_30default_config_static_selectorELNS0_4arch9wavefront6targetE1EEEvSM_: ; @_ZN7rocprim17ROCPRIM_400000_NS6detail17trampoline_kernelINS0_14default_configENS1_22reduce_config_selectorIlEEZNS1_11reduce_implILb1ES3_PlS7_lN6hipcub16HIPCUB_304000_NS6detail34convert_binary_result_type_wrapperINS9_3SumENS9_22TransformInputIteratorIb7NonZeroIiEPilEElEEEE10hipError_tPvRmT1_T2_T3_mT4_P12ihipStream_tbEUlT_E0_NS1_11comp_targetILNS1_3genE5ELNS1_11target_archE942ELNS1_3gpuE9ELNS1_3repE0EEENS1_30default_config_static_selectorELNS0_4arch9wavefront6targetE1EEEvSM_
; %bb.0:
	.section	.rodata,"a",@progbits
	.p2align	6, 0x0
	.amdhsa_kernel _ZN7rocprim17ROCPRIM_400000_NS6detail17trampoline_kernelINS0_14default_configENS1_22reduce_config_selectorIlEEZNS1_11reduce_implILb1ES3_PlS7_lN6hipcub16HIPCUB_304000_NS6detail34convert_binary_result_type_wrapperINS9_3SumENS9_22TransformInputIteratorIb7NonZeroIiEPilEElEEEE10hipError_tPvRmT1_T2_T3_mT4_P12ihipStream_tbEUlT_E0_NS1_11comp_targetILNS1_3genE5ELNS1_11target_archE942ELNS1_3gpuE9ELNS1_3repE0EEENS1_30default_config_static_selectorELNS0_4arch9wavefront6targetE1EEEvSM_
		.amdhsa_group_segment_fixed_size 0
		.amdhsa_private_segment_fixed_size 0
		.amdhsa_kernarg_size 64
		.amdhsa_user_sgpr_count 2
		.amdhsa_user_sgpr_dispatch_ptr 0
		.amdhsa_user_sgpr_queue_ptr 0
		.amdhsa_user_sgpr_kernarg_segment_ptr 1
		.amdhsa_user_sgpr_dispatch_id 0
		.amdhsa_user_sgpr_kernarg_preload_length 0
		.amdhsa_user_sgpr_kernarg_preload_offset 0
		.amdhsa_user_sgpr_private_segment_size 0
		.amdhsa_uses_dynamic_stack 0
		.amdhsa_enable_private_segment 0
		.amdhsa_system_sgpr_workgroup_id_x 1
		.amdhsa_system_sgpr_workgroup_id_y 0
		.amdhsa_system_sgpr_workgroup_id_z 0
		.amdhsa_system_sgpr_workgroup_info 0
		.amdhsa_system_vgpr_workitem_id 0
		.amdhsa_next_free_vgpr 1
		.amdhsa_next_free_sgpr 0
		.amdhsa_accum_offset 4
		.amdhsa_reserve_vcc 0
		.amdhsa_float_round_mode_32 0
		.amdhsa_float_round_mode_16_64 0
		.amdhsa_float_denorm_mode_32 3
		.amdhsa_float_denorm_mode_16_64 3
		.amdhsa_dx10_clamp 1
		.amdhsa_ieee_mode 1
		.amdhsa_fp16_overflow 0
		.amdhsa_tg_split 0
		.amdhsa_exception_fp_ieee_invalid_op 0
		.amdhsa_exception_fp_denorm_src 0
		.amdhsa_exception_fp_ieee_div_zero 0
		.amdhsa_exception_fp_ieee_overflow 0
		.amdhsa_exception_fp_ieee_underflow 0
		.amdhsa_exception_fp_ieee_inexact 0
		.amdhsa_exception_int_div_zero 0
	.end_amdhsa_kernel
	.section	.text._ZN7rocprim17ROCPRIM_400000_NS6detail17trampoline_kernelINS0_14default_configENS1_22reduce_config_selectorIlEEZNS1_11reduce_implILb1ES3_PlS7_lN6hipcub16HIPCUB_304000_NS6detail34convert_binary_result_type_wrapperINS9_3SumENS9_22TransformInputIteratorIb7NonZeroIiEPilEElEEEE10hipError_tPvRmT1_T2_T3_mT4_P12ihipStream_tbEUlT_E0_NS1_11comp_targetILNS1_3genE5ELNS1_11target_archE942ELNS1_3gpuE9ELNS1_3repE0EEENS1_30default_config_static_selectorELNS0_4arch9wavefront6targetE1EEEvSM_,"axG",@progbits,_ZN7rocprim17ROCPRIM_400000_NS6detail17trampoline_kernelINS0_14default_configENS1_22reduce_config_selectorIlEEZNS1_11reduce_implILb1ES3_PlS7_lN6hipcub16HIPCUB_304000_NS6detail34convert_binary_result_type_wrapperINS9_3SumENS9_22TransformInputIteratorIb7NonZeroIiEPilEElEEEE10hipError_tPvRmT1_T2_T3_mT4_P12ihipStream_tbEUlT_E0_NS1_11comp_targetILNS1_3genE5ELNS1_11target_archE942ELNS1_3gpuE9ELNS1_3repE0EEENS1_30default_config_static_selectorELNS0_4arch9wavefront6targetE1EEEvSM_,comdat
.Lfunc_end150:
	.size	_ZN7rocprim17ROCPRIM_400000_NS6detail17trampoline_kernelINS0_14default_configENS1_22reduce_config_selectorIlEEZNS1_11reduce_implILb1ES3_PlS7_lN6hipcub16HIPCUB_304000_NS6detail34convert_binary_result_type_wrapperINS9_3SumENS9_22TransformInputIteratorIb7NonZeroIiEPilEElEEEE10hipError_tPvRmT1_T2_T3_mT4_P12ihipStream_tbEUlT_E0_NS1_11comp_targetILNS1_3genE5ELNS1_11target_archE942ELNS1_3gpuE9ELNS1_3repE0EEENS1_30default_config_static_selectorELNS0_4arch9wavefront6targetE1EEEvSM_, .Lfunc_end150-_ZN7rocprim17ROCPRIM_400000_NS6detail17trampoline_kernelINS0_14default_configENS1_22reduce_config_selectorIlEEZNS1_11reduce_implILb1ES3_PlS7_lN6hipcub16HIPCUB_304000_NS6detail34convert_binary_result_type_wrapperINS9_3SumENS9_22TransformInputIteratorIb7NonZeroIiEPilEElEEEE10hipError_tPvRmT1_T2_T3_mT4_P12ihipStream_tbEUlT_E0_NS1_11comp_targetILNS1_3genE5ELNS1_11target_archE942ELNS1_3gpuE9ELNS1_3repE0EEENS1_30default_config_static_selectorELNS0_4arch9wavefront6targetE1EEEvSM_
                                        ; -- End function
	.set _ZN7rocprim17ROCPRIM_400000_NS6detail17trampoline_kernelINS0_14default_configENS1_22reduce_config_selectorIlEEZNS1_11reduce_implILb1ES3_PlS7_lN6hipcub16HIPCUB_304000_NS6detail34convert_binary_result_type_wrapperINS9_3SumENS9_22TransformInputIteratorIb7NonZeroIiEPilEElEEEE10hipError_tPvRmT1_T2_T3_mT4_P12ihipStream_tbEUlT_E0_NS1_11comp_targetILNS1_3genE5ELNS1_11target_archE942ELNS1_3gpuE9ELNS1_3repE0EEENS1_30default_config_static_selectorELNS0_4arch9wavefront6targetE1EEEvSM_.num_vgpr, 0
	.set _ZN7rocprim17ROCPRIM_400000_NS6detail17trampoline_kernelINS0_14default_configENS1_22reduce_config_selectorIlEEZNS1_11reduce_implILb1ES3_PlS7_lN6hipcub16HIPCUB_304000_NS6detail34convert_binary_result_type_wrapperINS9_3SumENS9_22TransformInputIteratorIb7NonZeroIiEPilEElEEEE10hipError_tPvRmT1_T2_T3_mT4_P12ihipStream_tbEUlT_E0_NS1_11comp_targetILNS1_3genE5ELNS1_11target_archE942ELNS1_3gpuE9ELNS1_3repE0EEENS1_30default_config_static_selectorELNS0_4arch9wavefront6targetE1EEEvSM_.num_agpr, 0
	.set _ZN7rocprim17ROCPRIM_400000_NS6detail17trampoline_kernelINS0_14default_configENS1_22reduce_config_selectorIlEEZNS1_11reduce_implILb1ES3_PlS7_lN6hipcub16HIPCUB_304000_NS6detail34convert_binary_result_type_wrapperINS9_3SumENS9_22TransformInputIteratorIb7NonZeroIiEPilEElEEEE10hipError_tPvRmT1_T2_T3_mT4_P12ihipStream_tbEUlT_E0_NS1_11comp_targetILNS1_3genE5ELNS1_11target_archE942ELNS1_3gpuE9ELNS1_3repE0EEENS1_30default_config_static_selectorELNS0_4arch9wavefront6targetE1EEEvSM_.numbered_sgpr, 0
	.set _ZN7rocprim17ROCPRIM_400000_NS6detail17trampoline_kernelINS0_14default_configENS1_22reduce_config_selectorIlEEZNS1_11reduce_implILb1ES3_PlS7_lN6hipcub16HIPCUB_304000_NS6detail34convert_binary_result_type_wrapperINS9_3SumENS9_22TransformInputIteratorIb7NonZeroIiEPilEElEEEE10hipError_tPvRmT1_T2_T3_mT4_P12ihipStream_tbEUlT_E0_NS1_11comp_targetILNS1_3genE5ELNS1_11target_archE942ELNS1_3gpuE9ELNS1_3repE0EEENS1_30default_config_static_selectorELNS0_4arch9wavefront6targetE1EEEvSM_.num_named_barrier, 0
	.set _ZN7rocprim17ROCPRIM_400000_NS6detail17trampoline_kernelINS0_14default_configENS1_22reduce_config_selectorIlEEZNS1_11reduce_implILb1ES3_PlS7_lN6hipcub16HIPCUB_304000_NS6detail34convert_binary_result_type_wrapperINS9_3SumENS9_22TransformInputIteratorIb7NonZeroIiEPilEElEEEE10hipError_tPvRmT1_T2_T3_mT4_P12ihipStream_tbEUlT_E0_NS1_11comp_targetILNS1_3genE5ELNS1_11target_archE942ELNS1_3gpuE9ELNS1_3repE0EEENS1_30default_config_static_selectorELNS0_4arch9wavefront6targetE1EEEvSM_.private_seg_size, 0
	.set _ZN7rocprim17ROCPRIM_400000_NS6detail17trampoline_kernelINS0_14default_configENS1_22reduce_config_selectorIlEEZNS1_11reduce_implILb1ES3_PlS7_lN6hipcub16HIPCUB_304000_NS6detail34convert_binary_result_type_wrapperINS9_3SumENS9_22TransformInputIteratorIb7NonZeroIiEPilEElEEEE10hipError_tPvRmT1_T2_T3_mT4_P12ihipStream_tbEUlT_E0_NS1_11comp_targetILNS1_3genE5ELNS1_11target_archE942ELNS1_3gpuE9ELNS1_3repE0EEENS1_30default_config_static_selectorELNS0_4arch9wavefront6targetE1EEEvSM_.uses_vcc, 0
	.set _ZN7rocprim17ROCPRIM_400000_NS6detail17trampoline_kernelINS0_14default_configENS1_22reduce_config_selectorIlEEZNS1_11reduce_implILb1ES3_PlS7_lN6hipcub16HIPCUB_304000_NS6detail34convert_binary_result_type_wrapperINS9_3SumENS9_22TransformInputIteratorIb7NonZeroIiEPilEElEEEE10hipError_tPvRmT1_T2_T3_mT4_P12ihipStream_tbEUlT_E0_NS1_11comp_targetILNS1_3genE5ELNS1_11target_archE942ELNS1_3gpuE9ELNS1_3repE0EEENS1_30default_config_static_selectorELNS0_4arch9wavefront6targetE1EEEvSM_.uses_flat_scratch, 0
	.set _ZN7rocprim17ROCPRIM_400000_NS6detail17trampoline_kernelINS0_14default_configENS1_22reduce_config_selectorIlEEZNS1_11reduce_implILb1ES3_PlS7_lN6hipcub16HIPCUB_304000_NS6detail34convert_binary_result_type_wrapperINS9_3SumENS9_22TransformInputIteratorIb7NonZeroIiEPilEElEEEE10hipError_tPvRmT1_T2_T3_mT4_P12ihipStream_tbEUlT_E0_NS1_11comp_targetILNS1_3genE5ELNS1_11target_archE942ELNS1_3gpuE9ELNS1_3repE0EEENS1_30default_config_static_selectorELNS0_4arch9wavefront6targetE1EEEvSM_.has_dyn_sized_stack, 0
	.set _ZN7rocprim17ROCPRIM_400000_NS6detail17trampoline_kernelINS0_14default_configENS1_22reduce_config_selectorIlEEZNS1_11reduce_implILb1ES3_PlS7_lN6hipcub16HIPCUB_304000_NS6detail34convert_binary_result_type_wrapperINS9_3SumENS9_22TransformInputIteratorIb7NonZeroIiEPilEElEEEE10hipError_tPvRmT1_T2_T3_mT4_P12ihipStream_tbEUlT_E0_NS1_11comp_targetILNS1_3genE5ELNS1_11target_archE942ELNS1_3gpuE9ELNS1_3repE0EEENS1_30default_config_static_selectorELNS0_4arch9wavefront6targetE1EEEvSM_.has_recursion, 0
	.set _ZN7rocprim17ROCPRIM_400000_NS6detail17trampoline_kernelINS0_14default_configENS1_22reduce_config_selectorIlEEZNS1_11reduce_implILb1ES3_PlS7_lN6hipcub16HIPCUB_304000_NS6detail34convert_binary_result_type_wrapperINS9_3SumENS9_22TransformInputIteratorIb7NonZeroIiEPilEElEEEE10hipError_tPvRmT1_T2_T3_mT4_P12ihipStream_tbEUlT_E0_NS1_11comp_targetILNS1_3genE5ELNS1_11target_archE942ELNS1_3gpuE9ELNS1_3repE0EEENS1_30default_config_static_selectorELNS0_4arch9wavefront6targetE1EEEvSM_.has_indirect_call, 0
	.section	.AMDGPU.csdata,"",@progbits
; Kernel info:
; codeLenInByte = 0
; TotalNumSgprs: 6
; NumVgprs: 0
; NumAgprs: 0
; TotalNumVgprs: 0
; ScratchSize: 0
; MemoryBound: 0
; FloatMode: 240
; IeeeMode: 1
; LDSByteSize: 0 bytes/workgroup (compile time only)
; SGPRBlocks: 0
; VGPRBlocks: 0
; NumSGPRsForWavesPerEU: 6
; NumVGPRsForWavesPerEU: 1
; AccumOffset: 4
; Occupancy: 8
; WaveLimiterHint : 0
; COMPUTE_PGM_RSRC2:SCRATCH_EN: 0
; COMPUTE_PGM_RSRC2:USER_SGPR: 2
; COMPUTE_PGM_RSRC2:TRAP_HANDLER: 0
; COMPUTE_PGM_RSRC2:TGID_X_EN: 1
; COMPUTE_PGM_RSRC2:TGID_Y_EN: 0
; COMPUTE_PGM_RSRC2:TGID_Z_EN: 0
; COMPUTE_PGM_RSRC2:TIDIG_COMP_CNT: 0
; COMPUTE_PGM_RSRC3_GFX90A:ACCUM_OFFSET: 0
; COMPUTE_PGM_RSRC3_GFX90A:TG_SPLIT: 0
	.section	.text._ZN7rocprim17ROCPRIM_400000_NS6detail17trampoline_kernelINS0_14default_configENS1_22reduce_config_selectorIlEEZNS1_11reduce_implILb1ES3_PlS7_lN6hipcub16HIPCUB_304000_NS6detail34convert_binary_result_type_wrapperINS9_3SumENS9_22TransformInputIteratorIb7NonZeroIiEPilEElEEEE10hipError_tPvRmT1_T2_T3_mT4_P12ihipStream_tbEUlT_E0_NS1_11comp_targetILNS1_3genE4ELNS1_11target_archE910ELNS1_3gpuE8ELNS1_3repE0EEENS1_30default_config_static_selectorELNS0_4arch9wavefront6targetE1EEEvSM_,"axG",@progbits,_ZN7rocprim17ROCPRIM_400000_NS6detail17trampoline_kernelINS0_14default_configENS1_22reduce_config_selectorIlEEZNS1_11reduce_implILb1ES3_PlS7_lN6hipcub16HIPCUB_304000_NS6detail34convert_binary_result_type_wrapperINS9_3SumENS9_22TransformInputIteratorIb7NonZeroIiEPilEElEEEE10hipError_tPvRmT1_T2_T3_mT4_P12ihipStream_tbEUlT_E0_NS1_11comp_targetILNS1_3genE4ELNS1_11target_archE910ELNS1_3gpuE8ELNS1_3repE0EEENS1_30default_config_static_selectorELNS0_4arch9wavefront6targetE1EEEvSM_,comdat
	.protected	_ZN7rocprim17ROCPRIM_400000_NS6detail17trampoline_kernelINS0_14default_configENS1_22reduce_config_selectorIlEEZNS1_11reduce_implILb1ES3_PlS7_lN6hipcub16HIPCUB_304000_NS6detail34convert_binary_result_type_wrapperINS9_3SumENS9_22TransformInputIteratorIb7NonZeroIiEPilEElEEEE10hipError_tPvRmT1_T2_T3_mT4_P12ihipStream_tbEUlT_E0_NS1_11comp_targetILNS1_3genE4ELNS1_11target_archE910ELNS1_3gpuE8ELNS1_3repE0EEENS1_30default_config_static_selectorELNS0_4arch9wavefront6targetE1EEEvSM_ ; -- Begin function _ZN7rocprim17ROCPRIM_400000_NS6detail17trampoline_kernelINS0_14default_configENS1_22reduce_config_selectorIlEEZNS1_11reduce_implILb1ES3_PlS7_lN6hipcub16HIPCUB_304000_NS6detail34convert_binary_result_type_wrapperINS9_3SumENS9_22TransformInputIteratorIb7NonZeroIiEPilEElEEEE10hipError_tPvRmT1_T2_T3_mT4_P12ihipStream_tbEUlT_E0_NS1_11comp_targetILNS1_3genE4ELNS1_11target_archE910ELNS1_3gpuE8ELNS1_3repE0EEENS1_30default_config_static_selectorELNS0_4arch9wavefront6targetE1EEEvSM_
	.globl	_ZN7rocprim17ROCPRIM_400000_NS6detail17trampoline_kernelINS0_14default_configENS1_22reduce_config_selectorIlEEZNS1_11reduce_implILb1ES3_PlS7_lN6hipcub16HIPCUB_304000_NS6detail34convert_binary_result_type_wrapperINS9_3SumENS9_22TransformInputIteratorIb7NonZeroIiEPilEElEEEE10hipError_tPvRmT1_T2_T3_mT4_P12ihipStream_tbEUlT_E0_NS1_11comp_targetILNS1_3genE4ELNS1_11target_archE910ELNS1_3gpuE8ELNS1_3repE0EEENS1_30default_config_static_selectorELNS0_4arch9wavefront6targetE1EEEvSM_
	.p2align	8
	.type	_ZN7rocprim17ROCPRIM_400000_NS6detail17trampoline_kernelINS0_14default_configENS1_22reduce_config_selectorIlEEZNS1_11reduce_implILb1ES3_PlS7_lN6hipcub16HIPCUB_304000_NS6detail34convert_binary_result_type_wrapperINS9_3SumENS9_22TransformInputIteratorIb7NonZeroIiEPilEElEEEE10hipError_tPvRmT1_T2_T3_mT4_P12ihipStream_tbEUlT_E0_NS1_11comp_targetILNS1_3genE4ELNS1_11target_archE910ELNS1_3gpuE8ELNS1_3repE0EEENS1_30default_config_static_selectorELNS0_4arch9wavefront6targetE1EEEvSM_,@function
_ZN7rocprim17ROCPRIM_400000_NS6detail17trampoline_kernelINS0_14default_configENS1_22reduce_config_selectorIlEEZNS1_11reduce_implILb1ES3_PlS7_lN6hipcub16HIPCUB_304000_NS6detail34convert_binary_result_type_wrapperINS9_3SumENS9_22TransformInputIteratorIb7NonZeroIiEPilEElEEEE10hipError_tPvRmT1_T2_T3_mT4_P12ihipStream_tbEUlT_E0_NS1_11comp_targetILNS1_3genE4ELNS1_11target_archE910ELNS1_3gpuE8ELNS1_3repE0EEENS1_30default_config_static_selectorELNS0_4arch9wavefront6targetE1EEEvSM_: ; @_ZN7rocprim17ROCPRIM_400000_NS6detail17trampoline_kernelINS0_14default_configENS1_22reduce_config_selectorIlEEZNS1_11reduce_implILb1ES3_PlS7_lN6hipcub16HIPCUB_304000_NS6detail34convert_binary_result_type_wrapperINS9_3SumENS9_22TransformInputIteratorIb7NonZeroIiEPilEElEEEE10hipError_tPvRmT1_T2_T3_mT4_P12ihipStream_tbEUlT_E0_NS1_11comp_targetILNS1_3genE4ELNS1_11target_archE910ELNS1_3gpuE8ELNS1_3repE0EEENS1_30default_config_static_selectorELNS0_4arch9wavefront6targetE1EEEvSM_
; %bb.0:
	.section	.rodata,"a",@progbits
	.p2align	6, 0x0
	.amdhsa_kernel _ZN7rocprim17ROCPRIM_400000_NS6detail17trampoline_kernelINS0_14default_configENS1_22reduce_config_selectorIlEEZNS1_11reduce_implILb1ES3_PlS7_lN6hipcub16HIPCUB_304000_NS6detail34convert_binary_result_type_wrapperINS9_3SumENS9_22TransformInputIteratorIb7NonZeroIiEPilEElEEEE10hipError_tPvRmT1_T2_T3_mT4_P12ihipStream_tbEUlT_E0_NS1_11comp_targetILNS1_3genE4ELNS1_11target_archE910ELNS1_3gpuE8ELNS1_3repE0EEENS1_30default_config_static_selectorELNS0_4arch9wavefront6targetE1EEEvSM_
		.amdhsa_group_segment_fixed_size 0
		.amdhsa_private_segment_fixed_size 0
		.amdhsa_kernarg_size 64
		.amdhsa_user_sgpr_count 2
		.amdhsa_user_sgpr_dispatch_ptr 0
		.amdhsa_user_sgpr_queue_ptr 0
		.amdhsa_user_sgpr_kernarg_segment_ptr 1
		.amdhsa_user_sgpr_dispatch_id 0
		.amdhsa_user_sgpr_kernarg_preload_length 0
		.amdhsa_user_sgpr_kernarg_preload_offset 0
		.amdhsa_user_sgpr_private_segment_size 0
		.amdhsa_uses_dynamic_stack 0
		.amdhsa_enable_private_segment 0
		.amdhsa_system_sgpr_workgroup_id_x 1
		.amdhsa_system_sgpr_workgroup_id_y 0
		.amdhsa_system_sgpr_workgroup_id_z 0
		.amdhsa_system_sgpr_workgroup_info 0
		.amdhsa_system_vgpr_workitem_id 0
		.amdhsa_next_free_vgpr 1
		.amdhsa_next_free_sgpr 0
		.amdhsa_accum_offset 4
		.amdhsa_reserve_vcc 0
		.amdhsa_float_round_mode_32 0
		.amdhsa_float_round_mode_16_64 0
		.amdhsa_float_denorm_mode_32 3
		.amdhsa_float_denorm_mode_16_64 3
		.amdhsa_dx10_clamp 1
		.amdhsa_ieee_mode 1
		.amdhsa_fp16_overflow 0
		.amdhsa_tg_split 0
		.amdhsa_exception_fp_ieee_invalid_op 0
		.amdhsa_exception_fp_denorm_src 0
		.amdhsa_exception_fp_ieee_div_zero 0
		.amdhsa_exception_fp_ieee_overflow 0
		.amdhsa_exception_fp_ieee_underflow 0
		.amdhsa_exception_fp_ieee_inexact 0
		.amdhsa_exception_int_div_zero 0
	.end_amdhsa_kernel
	.section	.text._ZN7rocprim17ROCPRIM_400000_NS6detail17trampoline_kernelINS0_14default_configENS1_22reduce_config_selectorIlEEZNS1_11reduce_implILb1ES3_PlS7_lN6hipcub16HIPCUB_304000_NS6detail34convert_binary_result_type_wrapperINS9_3SumENS9_22TransformInputIteratorIb7NonZeroIiEPilEElEEEE10hipError_tPvRmT1_T2_T3_mT4_P12ihipStream_tbEUlT_E0_NS1_11comp_targetILNS1_3genE4ELNS1_11target_archE910ELNS1_3gpuE8ELNS1_3repE0EEENS1_30default_config_static_selectorELNS0_4arch9wavefront6targetE1EEEvSM_,"axG",@progbits,_ZN7rocprim17ROCPRIM_400000_NS6detail17trampoline_kernelINS0_14default_configENS1_22reduce_config_selectorIlEEZNS1_11reduce_implILb1ES3_PlS7_lN6hipcub16HIPCUB_304000_NS6detail34convert_binary_result_type_wrapperINS9_3SumENS9_22TransformInputIteratorIb7NonZeroIiEPilEElEEEE10hipError_tPvRmT1_T2_T3_mT4_P12ihipStream_tbEUlT_E0_NS1_11comp_targetILNS1_3genE4ELNS1_11target_archE910ELNS1_3gpuE8ELNS1_3repE0EEENS1_30default_config_static_selectorELNS0_4arch9wavefront6targetE1EEEvSM_,comdat
.Lfunc_end151:
	.size	_ZN7rocprim17ROCPRIM_400000_NS6detail17trampoline_kernelINS0_14default_configENS1_22reduce_config_selectorIlEEZNS1_11reduce_implILb1ES3_PlS7_lN6hipcub16HIPCUB_304000_NS6detail34convert_binary_result_type_wrapperINS9_3SumENS9_22TransformInputIteratorIb7NonZeroIiEPilEElEEEE10hipError_tPvRmT1_T2_T3_mT4_P12ihipStream_tbEUlT_E0_NS1_11comp_targetILNS1_3genE4ELNS1_11target_archE910ELNS1_3gpuE8ELNS1_3repE0EEENS1_30default_config_static_selectorELNS0_4arch9wavefront6targetE1EEEvSM_, .Lfunc_end151-_ZN7rocprim17ROCPRIM_400000_NS6detail17trampoline_kernelINS0_14default_configENS1_22reduce_config_selectorIlEEZNS1_11reduce_implILb1ES3_PlS7_lN6hipcub16HIPCUB_304000_NS6detail34convert_binary_result_type_wrapperINS9_3SumENS9_22TransformInputIteratorIb7NonZeroIiEPilEElEEEE10hipError_tPvRmT1_T2_T3_mT4_P12ihipStream_tbEUlT_E0_NS1_11comp_targetILNS1_3genE4ELNS1_11target_archE910ELNS1_3gpuE8ELNS1_3repE0EEENS1_30default_config_static_selectorELNS0_4arch9wavefront6targetE1EEEvSM_
                                        ; -- End function
	.set _ZN7rocprim17ROCPRIM_400000_NS6detail17trampoline_kernelINS0_14default_configENS1_22reduce_config_selectorIlEEZNS1_11reduce_implILb1ES3_PlS7_lN6hipcub16HIPCUB_304000_NS6detail34convert_binary_result_type_wrapperINS9_3SumENS9_22TransformInputIteratorIb7NonZeroIiEPilEElEEEE10hipError_tPvRmT1_T2_T3_mT4_P12ihipStream_tbEUlT_E0_NS1_11comp_targetILNS1_3genE4ELNS1_11target_archE910ELNS1_3gpuE8ELNS1_3repE0EEENS1_30default_config_static_selectorELNS0_4arch9wavefront6targetE1EEEvSM_.num_vgpr, 0
	.set _ZN7rocprim17ROCPRIM_400000_NS6detail17trampoline_kernelINS0_14default_configENS1_22reduce_config_selectorIlEEZNS1_11reduce_implILb1ES3_PlS7_lN6hipcub16HIPCUB_304000_NS6detail34convert_binary_result_type_wrapperINS9_3SumENS9_22TransformInputIteratorIb7NonZeroIiEPilEElEEEE10hipError_tPvRmT1_T2_T3_mT4_P12ihipStream_tbEUlT_E0_NS1_11comp_targetILNS1_3genE4ELNS1_11target_archE910ELNS1_3gpuE8ELNS1_3repE0EEENS1_30default_config_static_selectorELNS0_4arch9wavefront6targetE1EEEvSM_.num_agpr, 0
	.set _ZN7rocprim17ROCPRIM_400000_NS6detail17trampoline_kernelINS0_14default_configENS1_22reduce_config_selectorIlEEZNS1_11reduce_implILb1ES3_PlS7_lN6hipcub16HIPCUB_304000_NS6detail34convert_binary_result_type_wrapperINS9_3SumENS9_22TransformInputIteratorIb7NonZeroIiEPilEElEEEE10hipError_tPvRmT1_T2_T3_mT4_P12ihipStream_tbEUlT_E0_NS1_11comp_targetILNS1_3genE4ELNS1_11target_archE910ELNS1_3gpuE8ELNS1_3repE0EEENS1_30default_config_static_selectorELNS0_4arch9wavefront6targetE1EEEvSM_.numbered_sgpr, 0
	.set _ZN7rocprim17ROCPRIM_400000_NS6detail17trampoline_kernelINS0_14default_configENS1_22reduce_config_selectorIlEEZNS1_11reduce_implILb1ES3_PlS7_lN6hipcub16HIPCUB_304000_NS6detail34convert_binary_result_type_wrapperINS9_3SumENS9_22TransformInputIteratorIb7NonZeroIiEPilEElEEEE10hipError_tPvRmT1_T2_T3_mT4_P12ihipStream_tbEUlT_E0_NS1_11comp_targetILNS1_3genE4ELNS1_11target_archE910ELNS1_3gpuE8ELNS1_3repE0EEENS1_30default_config_static_selectorELNS0_4arch9wavefront6targetE1EEEvSM_.num_named_barrier, 0
	.set _ZN7rocprim17ROCPRIM_400000_NS6detail17trampoline_kernelINS0_14default_configENS1_22reduce_config_selectorIlEEZNS1_11reduce_implILb1ES3_PlS7_lN6hipcub16HIPCUB_304000_NS6detail34convert_binary_result_type_wrapperINS9_3SumENS9_22TransformInputIteratorIb7NonZeroIiEPilEElEEEE10hipError_tPvRmT1_T2_T3_mT4_P12ihipStream_tbEUlT_E0_NS1_11comp_targetILNS1_3genE4ELNS1_11target_archE910ELNS1_3gpuE8ELNS1_3repE0EEENS1_30default_config_static_selectorELNS0_4arch9wavefront6targetE1EEEvSM_.private_seg_size, 0
	.set _ZN7rocprim17ROCPRIM_400000_NS6detail17trampoline_kernelINS0_14default_configENS1_22reduce_config_selectorIlEEZNS1_11reduce_implILb1ES3_PlS7_lN6hipcub16HIPCUB_304000_NS6detail34convert_binary_result_type_wrapperINS9_3SumENS9_22TransformInputIteratorIb7NonZeroIiEPilEElEEEE10hipError_tPvRmT1_T2_T3_mT4_P12ihipStream_tbEUlT_E0_NS1_11comp_targetILNS1_3genE4ELNS1_11target_archE910ELNS1_3gpuE8ELNS1_3repE0EEENS1_30default_config_static_selectorELNS0_4arch9wavefront6targetE1EEEvSM_.uses_vcc, 0
	.set _ZN7rocprim17ROCPRIM_400000_NS6detail17trampoline_kernelINS0_14default_configENS1_22reduce_config_selectorIlEEZNS1_11reduce_implILb1ES3_PlS7_lN6hipcub16HIPCUB_304000_NS6detail34convert_binary_result_type_wrapperINS9_3SumENS9_22TransformInputIteratorIb7NonZeroIiEPilEElEEEE10hipError_tPvRmT1_T2_T3_mT4_P12ihipStream_tbEUlT_E0_NS1_11comp_targetILNS1_3genE4ELNS1_11target_archE910ELNS1_3gpuE8ELNS1_3repE0EEENS1_30default_config_static_selectorELNS0_4arch9wavefront6targetE1EEEvSM_.uses_flat_scratch, 0
	.set _ZN7rocprim17ROCPRIM_400000_NS6detail17trampoline_kernelINS0_14default_configENS1_22reduce_config_selectorIlEEZNS1_11reduce_implILb1ES3_PlS7_lN6hipcub16HIPCUB_304000_NS6detail34convert_binary_result_type_wrapperINS9_3SumENS9_22TransformInputIteratorIb7NonZeroIiEPilEElEEEE10hipError_tPvRmT1_T2_T3_mT4_P12ihipStream_tbEUlT_E0_NS1_11comp_targetILNS1_3genE4ELNS1_11target_archE910ELNS1_3gpuE8ELNS1_3repE0EEENS1_30default_config_static_selectorELNS0_4arch9wavefront6targetE1EEEvSM_.has_dyn_sized_stack, 0
	.set _ZN7rocprim17ROCPRIM_400000_NS6detail17trampoline_kernelINS0_14default_configENS1_22reduce_config_selectorIlEEZNS1_11reduce_implILb1ES3_PlS7_lN6hipcub16HIPCUB_304000_NS6detail34convert_binary_result_type_wrapperINS9_3SumENS9_22TransformInputIteratorIb7NonZeroIiEPilEElEEEE10hipError_tPvRmT1_T2_T3_mT4_P12ihipStream_tbEUlT_E0_NS1_11comp_targetILNS1_3genE4ELNS1_11target_archE910ELNS1_3gpuE8ELNS1_3repE0EEENS1_30default_config_static_selectorELNS0_4arch9wavefront6targetE1EEEvSM_.has_recursion, 0
	.set _ZN7rocprim17ROCPRIM_400000_NS6detail17trampoline_kernelINS0_14default_configENS1_22reduce_config_selectorIlEEZNS1_11reduce_implILb1ES3_PlS7_lN6hipcub16HIPCUB_304000_NS6detail34convert_binary_result_type_wrapperINS9_3SumENS9_22TransformInputIteratorIb7NonZeroIiEPilEElEEEE10hipError_tPvRmT1_T2_T3_mT4_P12ihipStream_tbEUlT_E0_NS1_11comp_targetILNS1_3genE4ELNS1_11target_archE910ELNS1_3gpuE8ELNS1_3repE0EEENS1_30default_config_static_selectorELNS0_4arch9wavefront6targetE1EEEvSM_.has_indirect_call, 0
	.section	.AMDGPU.csdata,"",@progbits
; Kernel info:
; codeLenInByte = 0
; TotalNumSgprs: 6
; NumVgprs: 0
; NumAgprs: 0
; TotalNumVgprs: 0
; ScratchSize: 0
; MemoryBound: 0
; FloatMode: 240
; IeeeMode: 1
; LDSByteSize: 0 bytes/workgroup (compile time only)
; SGPRBlocks: 0
; VGPRBlocks: 0
; NumSGPRsForWavesPerEU: 6
; NumVGPRsForWavesPerEU: 1
; AccumOffset: 4
; Occupancy: 8
; WaveLimiterHint : 0
; COMPUTE_PGM_RSRC2:SCRATCH_EN: 0
; COMPUTE_PGM_RSRC2:USER_SGPR: 2
; COMPUTE_PGM_RSRC2:TRAP_HANDLER: 0
; COMPUTE_PGM_RSRC2:TGID_X_EN: 1
; COMPUTE_PGM_RSRC2:TGID_Y_EN: 0
; COMPUTE_PGM_RSRC2:TGID_Z_EN: 0
; COMPUTE_PGM_RSRC2:TIDIG_COMP_CNT: 0
; COMPUTE_PGM_RSRC3_GFX90A:ACCUM_OFFSET: 0
; COMPUTE_PGM_RSRC3_GFX90A:TG_SPLIT: 0
	.section	.text._ZN7rocprim17ROCPRIM_400000_NS6detail17trampoline_kernelINS0_14default_configENS1_22reduce_config_selectorIlEEZNS1_11reduce_implILb1ES3_PlS7_lN6hipcub16HIPCUB_304000_NS6detail34convert_binary_result_type_wrapperINS9_3SumENS9_22TransformInputIteratorIb7NonZeroIiEPilEElEEEE10hipError_tPvRmT1_T2_T3_mT4_P12ihipStream_tbEUlT_E0_NS1_11comp_targetILNS1_3genE3ELNS1_11target_archE908ELNS1_3gpuE7ELNS1_3repE0EEENS1_30default_config_static_selectorELNS0_4arch9wavefront6targetE1EEEvSM_,"axG",@progbits,_ZN7rocprim17ROCPRIM_400000_NS6detail17trampoline_kernelINS0_14default_configENS1_22reduce_config_selectorIlEEZNS1_11reduce_implILb1ES3_PlS7_lN6hipcub16HIPCUB_304000_NS6detail34convert_binary_result_type_wrapperINS9_3SumENS9_22TransformInputIteratorIb7NonZeroIiEPilEElEEEE10hipError_tPvRmT1_T2_T3_mT4_P12ihipStream_tbEUlT_E0_NS1_11comp_targetILNS1_3genE3ELNS1_11target_archE908ELNS1_3gpuE7ELNS1_3repE0EEENS1_30default_config_static_selectorELNS0_4arch9wavefront6targetE1EEEvSM_,comdat
	.protected	_ZN7rocprim17ROCPRIM_400000_NS6detail17trampoline_kernelINS0_14default_configENS1_22reduce_config_selectorIlEEZNS1_11reduce_implILb1ES3_PlS7_lN6hipcub16HIPCUB_304000_NS6detail34convert_binary_result_type_wrapperINS9_3SumENS9_22TransformInputIteratorIb7NonZeroIiEPilEElEEEE10hipError_tPvRmT1_T2_T3_mT4_P12ihipStream_tbEUlT_E0_NS1_11comp_targetILNS1_3genE3ELNS1_11target_archE908ELNS1_3gpuE7ELNS1_3repE0EEENS1_30default_config_static_selectorELNS0_4arch9wavefront6targetE1EEEvSM_ ; -- Begin function _ZN7rocprim17ROCPRIM_400000_NS6detail17trampoline_kernelINS0_14default_configENS1_22reduce_config_selectorIlEEZNS1_11reduce_implILb1ES3_PlS7_lN6hipcub16HIPCUB_304000_NS6detail34convert_binary_result_type_wrapperINS9_3SumENS9_22TransformInputIteratorIb7NonZeroIiEPilEElEEEE10hipError_tPvRmT1_T2_T3_mT4_P12ihipStream_tbEUlT_E0_NS1_11comp_targetILNS1_3genE3ELNS1_11target_archE908ELNS1_3gpuE7ELNS1_3repE0EEENS1_30default_config_static_selectorELNS0_4arch9wavefront6targetE1EEEvSM_
	.globl	_ZN7rocprim17ROCPRIM_400000_NS6detail17trampoline_kernelINS0_14default_configENS1_22reduce_config_selectorIlEEZNS1_11reduce_implILb1ES3_PlS7_lN6hipcub16HIPCUB_304000_NS6detail34convert_binary_result_type_wrapperINS9_3SumENS9_22TransformInputIteratorIb7NonZeroIiEPilEElEEEE10hipError_tPvRmT1_T2_T3_mT4_P12ihipStream_tbEUlT_E0_NS1_11comp_targetILNS1_3genE3ELNS1_11target_archE908ELNS1_3gpuE7ELNS1_3repE0EEENS1_30default_config_static_selectorELNS0_4arch9wavefront6targetE1EEEvSM_
	.p2align	8
	.type	_ZN7rocprim17ROCPRIM_400000_NS6detail17trampoline_kernelINS0_14default_configENS1_22reduce_config_selectorIlEEZNS1_11reduce_implILb1ES3_PlS7_lN6hipcub16HIPCUB_304000_NS6detail34convert_binary_result_type_wrapperINS9_3SumENS9_22TransformInputIteratorIb7NonZeroIiEPilEElEEEE10hipError_tPvRmT1_T2_T3_mT4_P12ihipStream_tbEUlT_E0_NS1_11comp_targetILNS1_3genE3ELNS1_11target_archE908ELNS1_3gpuE7ELNS1_3repE0EEENS1_30default_config_static_selectorELNS0_4arch9wavefront6targetE1EEEvSM_,@function
_ZN7rocprim17ROCPRIM_400000_NS6detail17trampoline_kernelINS0_14default_configENS1_22reduce_config_selectorIlEEZNS1_11reduce_implILb1ES3_PlS7_lN6hipcub16HIPCUB_304000_NS6detail34convert_binary_result_type_wrapperINS9_3SumENS9_22TransformInputIteratorIb7NonZeroIiEPilEElEEEE10hipError_tPvRmT1_T2_T3_mT4_P12ihipStream_tbEUlT_E0_NS1_11comp_targetILNS1_3genE3ELNS1_11target_archE908ELNS1_3gpuE7ELNS1_3repE0EEENS1_30default_config_static_selectorELNS0_4arch9wavefront6targetE1EEEvSM_: ; @_ZN7rocprim17ROCPRIM_400000_NS6detail17trampoline_kernelINS0_14default_configENS1_22reduce_config_selectorIlEEZNS1_11reduce_implILb1ES3_PlS7_lN6hipcub16HIPCUB_304000_NS6detail34convert_binary_result_type_wrapperINS9_3SumENS9_22TransformInputIteratorIb7NonZeroIiEPilEElEEEE10hipError_tPvRmT1_T2_T3_mT4_P12ihipStream_tbEUlT_E0_NS1_11comp_targetILNS1_3genE3ELNS1_11target_archE908ELNS1_3gpuE7ELNS1_3repE0EEENS1_30default_config_static_selectorELNS0_4arch9wavefront6targetE1EEEvSM_
; %bb.0:
	.section	.rodata,"a",@progbits
	.p2align	6, 0x0
	.amdhsa_kernel _ZN7rocprim17ROCPRIM_400000_NS6detail17trampoline_kernelINS0_14default_configENS1_22reduce_config_selectorIlEEZNS1_11reduce_implILb1ES3_PlS7_lN6hipcub16HIPCUB_304000_NS6detail34convert_binary_result_type_wrapperINS9_3SumENS9_22TransformInputIteratorIb7NonZeroIiEPilEElEEEE10hipError_tPvRmT1_T2_T3_mT4_P12ihipStream_tbEUlT_E0_NS1_11comp_targetILNS1_3genE3ELNS1_11target_archE908ELNS1_3gpuE7ELNS1_3repE0EEENS1_30default_config_static_selectorELNS0_4arch9wavefront6targetE1EEEvSM_
		.amdhsa_group_segment_fixed_size 0
		.amdhsa_private_segment_fixed_size 0
		.amdhsa_kernarg_size 64
		.amdhsa_user_sgpr_count 2
		.amdhsa_user_sgpr_dispatch_ptr 0
		.amdhsa_user_sgpr_queue_ptr 0
		.amdhsa_user_sgpr_kernarg_segment_ptr 1
		.amdhsa_user_sgpr_dispatch_id 0
		.amdhsa_user_sgpr_kernarg_preload_length 0
		.amdhsa_user_sgpr_kernarg_preload_offset 0
		.amdhsa_user_sgpr_private_segment_size 0
		.amdhsa_uses_dynamic_stack 0
		.amdhsa_enable_private_segment 0
		.amdhsa_system_sgpr_workgroup_id_x 1
		.amdhsa_system_sgpr_workgroup_id_y 0
		.amdhsa_system_sgpr_workgroup_id_z 0
		.amdhsa_system_sgpr_workgroup_info 0
		.amdhsa_system_vgpr_workitem_id 0
		.amdhsa_next_free_vgpr 1
		.amdhsa_next_free_sgpr 0
		.amdhsa_accum_offset 4
		.amdhsa_reserve_vcc 0
		.amdhsa_float_round_mode_32 0
		.amdhsa_float_round_mode_16_64 0
		.amdhsa_float_denorm_mode_32 3
		.amdhsa_float_denorm_mode_16_64 3
		.amdhsa_dx10_clamp 1
		.amdhsa_ieee_mode 1
		.amdhsa_fp16_overflow 0
		.amdhsa_tg_split 0
		.amdhsa_exception_fp_ieee_invalid_op 0
		.amdhsa_exception_fp_denorm_src 0
		.amdhsa_exception_fp_ieee_div_zero 0
		.amdhsa_exception_fp_ieee_overflow 0
		.amdhsa_exception_fp_ieee_underflow 0
		.amdhsa_exception_fp_ieee_inexact 0
		.amdhsa_exception_int_div_zero 0
	.end_amdhsa_kernel
	.section	.text._ZN7rocprim17ROCPRIM_400000_NS6detail17trampoline_kernelINS0_14default_configENS1_22reduce_config_selectorIlEEZNS1_11reduce_implILb1ES3_PlS7_lN6hipcub16HIPCUB_304000_NS6detail34convert_binary_result_type_wrapperINS9_3SumENS9_22TransformInputIteratorIb7NonZeroIiEPilEElEEEE10hipError_tPvRmT1_T2_T3_mT4_P12ihipStream_tbEUlT_E0_NS1_11comp_targetILNS1_3genE3ELNS1_11target_archE908ELNS1_3gpuE7ELNS1_3repE0EEENS1_30default_config_static_selectorELNS0_4arch9wavefront6targetE1EEEvSM_,"axG",@progbits,_ZN7rocprim17ROCPRIM_400000_NS6detail17trampoline_kernelINS0_14default_configENS1_22reduce_config_selectorIlEEZNS1_11reduce_implILb1ES3_PlS7_lN6hipcub16HIPCUB_304000_NS6detail34convert_binary_result_type_wrapperINS9_3SumENS9_22TransformInputIteratorIb7NonZeroIiEPilEElEEEE10hipError_tPvRmT1_T2_T3_mT4_P12ihipStream_tbEUlT_E0_NS1_11comp_targetILNS1_3genE3ELNS1_11target_archE908ELNS1_3gpuE7ELNS1_3repE0EEENS1_30default_config_static_selectorELNS0_4arch9wavefront6targetE1EEEvSM_,comdat
.Lfunc_end152:
	.size	_ZN7rocprim17ROCPRIM_400000_NS6detail17trampoline_kernelINS0_14default_configENS1_22reduce_config_selectorIlEEZNS1_11reduce_implILb1ES3_PlS7_lN6hipcub16HIPCUB_304000_NS6detail34convert_binary_result_type_wrapperINS9_3SumENS9_22TransformInputIteratorIb7NonZeroIiEPilEElEEEE10hipError_tPvRmT1_T2_T3_mT4_P12ihipStream_tbEUlT_E0_NS1_11comp_targetILNS1_3genE3ELNS1_11target_archE908ELNS1_3gpuE7ELNS1_3repE0EEENS1_30default_config_static_selectorELNS0_4arch9wavefront6targetE1EEEvSM_, .Lfunc_end152-_ZN7rocprim17ROCPRIM_400000_NS6detail17trampoline_kernelINS0_14default_configENS1_22reduce_config_selectorIlEEZNS1_11reduce_implILb1ES3_PlS7_lN6hipcub16HIPCUB_304000_NS6detail34convert_binary_result_type_wrapperINS9_3SumENS9_22TransformInputIteratorIb7NonZeroIiEPilEElEEEE10hipError_tPvRmT1_T2_T3_mT4_P12ihipStream_tbEUlT_E0_NS1_11comp_targetILNS1_3genE3ELNS1_11target_archE908ELNS1_3gpuE7ELNS1_3repE0EEENS1_30default_config_static_selectorELNS0_4arch9wavefront6targetE1EEEvSM_
                                        ; -- End function
	.set _ZN7rocprim17ROCPRIM_400000_NS6detail17trampoline_kernelINS0_14default_configENS1_22reduce_config_selectorIlEEZNS1_11reduce_implILb1ES3_PlS7_lN6hipcub16HIPCUB_304000_NS6detail34convert_binary_result_type_wrapperINS9_3SumENS9_22TransformInputIteratorIb7NonZeroIiEPilEElEEEE10hipError_tPvRmT1_T2_T3_mT4_P12ihipStream_tbEUlT_E0_NS1_11comp_targetILNS1_3genE3ELNS1_11target_archE908ELNS1_3gpuE7ELNS1_3repE0EEENS1_30default_config_static_selectorELNS0_4arch9wavefront6targetE1EEEvSM_.num_vgpr, 0
	.set _ZN7rocprim17ROCPRIM_400000_NS6detail17trampoline_kernelINS0_14default_configENS1_22reduce_config_selectorIlEEZNS1_11reduce_implILb1ES3_PlS7_lN6hipcub16HIPCUB_304000_NS6detail34convert_binary_result_type_wrapperINS9_3SumENS9_22TransformInputIteratorIb7NonZeroIiEPilEElEEEE10hipError_tPvRmT1_T2_T3_mT4_P12ihipStream_tbEUlT_E0_NS1_11comp_targetILNS1_3genE3ELNS1_11target_archE908ELNS1_3gpuE7ELNS1_3repE0EEENS1_30default_config_static_selectorELNS0_4arch9wavefront6targetE1EEEvSM_.num_agpr, 0
	.set _ZN7rocprim17ROCPRIM_400000_NS6detail17trampoline_kernelINS0_14default_configENS1_22reduce_config_selectorIlEEZNS1_11reduce_implILb1ES3_PlS7_lN6hipcub16HIPCUB_304000_NS6detail34convert_binary_result_type_wrapperINS9_3SumENS9_22TransformInputIteratorIb7NonZeroIiEPilEElEEEE10hipError_tPvRmT1_T2_T3_mT4_P12ihipStream_tbEUlT_E0_NS1_11comp_targetILNS1_3genE3ELNS1_11target_archE908ELNS1_3gpuE7ELNS1_3repE0EEENS1_30default_config_static_selectorELNS0_4arch9wavefront6targetE1EEEvSM_.numbered_sgpr, 0
	.set _ZN7rocprim17ROCPRIM_400000_NS6detail17trampoline_kernelINS0_14default_configENS1_22reduce_config_selectorIlEEZNS1_11reduce_implILb1ES3_PlS7_lN6hipcub16HIPCUB_304000_NS6detail34convert_binary_result_type_wrapperINS9_3SumENS9_22TransformInputIteratorIb7NonZeroIiEPilEElEEEE10hipError_tPvRmT1_T2_T3_mT4_P12ihipStream_tbEUlT_E0_NS1_11comp_targetILNS1_3genE3ELNS1_11target_archE908ELNS1_3gpuE7ELNS1_3repE0EEENS1_30default_config_static_selectorELNS0_4arch9wavefront6targetE1EEEvSM_.num_named_barrier, 0
	.set _ZN7rocprim17ROCPRIM_400000_NS6detail17trampoline_kernelINS0_14default_configENS1_22reduce_config_selectorIlEEZNS1_11reduce_implILb1ES3_PlS7_lN6hipcub16HIPCUB_304000_NS6detail34convert_binary_result_type_wrapperINS9_3SumENS9_22TransformInputIteratorIb7NonZeroIiEPilEElEEEE10hipError_tPvRmT1_T2_T3_mT4_P12ihipStream_tbEUlT_E0_NS1_11comp_targetILNS1_3genE3ELNS1_11target_archE908ELNS1_3gpuE7ELNS1_3repE0EEENS1_30default_config_static_selectorELNS0_4arch9wavefront6targetE1EEEvSM_.private_seg_size, 0
	.set _ZN7rocprim17ROCPRIM_400000_NS6detail17trampoline_kernelINS0_14default_configENS1_22reduce_config_selectorIlEEZNS1_11reduce_implILb1ES3_PlS7_lN6hipcub16HIPCUB_304000_NS6detail34convert_binary_result_type_wrapperINS9_3SumENS9_22TransformInputIteratorIb7NonZeroIiEPilEElEEEE10hipError_tPvRmT1_T2_T3_mT4_P12ihipStream_tbEUlT_E0_NS1_11comp_targetILNS1_3genE3ELNS1_11target_archE908ELNS1_3gpuE7ELNS1_3repE0EEENS1_30default_config_static_selectorELNS0_4arch9wavefront6targetE1EEEvSM_.uses_vcc, 0
	.set _ZN7rocprim17ROCPRIM_400000_NS6detail17trampoline_kernelINS0_14default_configENS1_22reduce_config_selectorIlEEZNS1_11reduce_implILb1ES3_PlS7_lN6hipcub16HIPCUB_304000_NS6detail34convert_binary_result_type_wrapperINS9_3SumENS9_22TransformInputIteratorIb7NonZeroIiEPilEElEEEE10hipError_tPvRmT1_T2_T3_mT4_P12ihipStream_tbEUlT_E0_NS1_11comp_targetILNS1_3genE3ELNS1_11target_archE908ELNS1_3gpuE7ELNS1_3repE0EEENS1_30default_config_static_selectorELNS0_4arch9wavefront6targetE1EEEvSM_.uses_flat_scratch, 0
	.set _ZN7rocprim17ROCPRIM_400000_NS6detail17trampoline_kernelINS0_14default_configENS1_22reduce_config_selectorIlEEZNS1_11reduce_implILb1ES3_PlS7_lN6hipcub16HIPCUB_304000_NS6detail34convert_binary_result_type_wrapperINS9_3SumENS9_22TransformInputIteratorIb7NonZeroIiEPilEElEEEE10hipError_tPvRmT1_T2_T3_mT4_P12ihipStream_tbEUlT_E0_NS1_11comp_targetILNS1_3genE3ELNS1_11target_archE908ELNS1_3gpuE7ELNS1_3repE0EEENS1_30default_config_static_selectorELNS0_4arch9wavefront6targetE1EEEvSM_.has_dyn_sized_stack, 0
	.set _ZN7rocprim17ROCPRIM_400000_NS6detail17trampoline_kernelINS0_14default_configENS1_22reduce_config_selectorIlEEZNS1_11reduce_implILb1ES3_PlS7_lN6hipcub16HIPCUB_304000_NS6detail34convert_binary_result_type_wrapperINS9_3SumENS9_22TransformInputIteratorIb7NonZeroIiEPilEElEEEE10hipError_tPvRmT1_T2_T3_mT4_P12ihipStream_tbEUlT_E0_NS1_11comp_targetILNS1_3genE3ELNS1_11target_archE908ELNS1_3gpuE7ELNS1_3repE0EEENS1_30default_config_static_selectorELNS0_4arch9wavefront6targetE1EEEvSM_.has_recursion, 0
	.set _ZN7rocprim17ROCPRIM_400000_NS6detail17trampoline_kernelINS0_14default_configENS1_22reduce_config_selectorIlEEZNS1_11reduce_implILb1ES3_PlS7_lN6hipcub16HIPCUB_304000_NS6detail34convert_binary_result_type_wrapperINS9_3SumENS9_22TransformInputIteratorIb7NonZeroIiEPilEElEEEE10hipError_tPvRmT1_T2_T3_mT4_P12ihipStream_tbEUlT_E0_NS1_11comp_targetILNS1_3genE3ELNS1_11target_archE908ELNS1_3gpuE7ELNS1_3repE0EEENS1_30default_config_static_selectorELNS0_4arch9wavefront6targetE1EEEvSM_.has_indirect_call, 0
	.section	.AMDGPU.csdata,"",@progbits
; Kernel info:
; codeLenInByte = 0
; TotalNumSgprs: 6
; NumVgprs: 0
; NumAgprs: 0
; TotalNumVgprs: 0
; ScratchSize: 0
; MemoryBound: 0
; FloatMode: 240
; IeeeMode: 1
; LDSByteSize: 0 bytes/workgroup (compile time only)
; SGPRBlocks: 0
; VGPRBlocks: 0
; NumSGPRsForWavesPerEU: 6
; NumVGPRsForWavesPerEU: 1
; AccumOffset: 4
; Occupancy: 8
; WaveLimiterHint : 0
; COMPUTE_PGM_RSRC2:SCRATCH_EN: 0
; COMPUTE_PGM_RSRC2:USER_SGPR: 2
; COMPUTE_PGM_RSRC2:TRAP_HANDLER: 0
; COMPUTE_PGM_RSRC2:TGID_X_EN: 1
; COMPUTE_PGM_RSRC2:TGID_Y_EN: 0
; COMPUTE_PGM_RSRC2:TGID_Z_EN: 0
; COMPUTE_PGM_RSRC2:TIDIG_COMP_CNT: 0
; COMPUTE_PGM_RSRC3_GFX90A:ACCUM_OFFSET: 0
; COMPUTE_PGM_RSRC3_GFX90A:TG_SPLIT: 0
	.section	.text._ZN7rocprim17ROCPRIM_400000_NS6detail17trampoline_kernelINS0_14default_configENS1_22reduce_config_selectorIlEEZNS1_11reduce_implILb1ES3_PlS7_lN6hipcub16HIPCUB_304000_NS6detail34convert_binary_result_type_wrapperINS9_3SumENS9_22TransformInputIteratorIb7NonZeroIiEPilEElEEEE10hipError_tPvRmT1_T2_T3_mT4_P12ihipStream_tbEUlT_E0_NS1_11comp_targetILNS1_3genE2ELNS1_11target_archE906ELNS1_3gpuE6ELNS1_3repE0EEENS1_30default_config_static_selectorELNS0_4arch9wavefront6targetE1EEEvSM_,"axG",@progbits,_ZN7rocprim17ROCPRIM_400000_NS6detail17trampoline_kernelINS0_14default_configENS1_22reduce_config_selectorIlEEZNS1_11reduce_implILb1ES3_PlS7_lN6hipcub16HIPCUB_304000_NS6detail34convert_binary_result_type_wrapperINS9_3SumENS9_22TransformInputIteratorIb7NonZeroIiEPilEElEEEE10hipError_tPvRmT1_T2_T3_mT4_P12ihipStream_tbEUlT_E0_NS1_11comp_targetILNS1_3genE2ELNS1_11target_archE906ELNS1_3gpuE6ELNS1_3repE0EEENS1_30default_config_static_selectorELNS0_4arch9wavefront6targetE1EEEvSM_,comdat
	.protected	_ZN7rocprim17ROCPRIM_400000_NS6detail17trampoline_kernelINS0_14default_configENS1_22reduce_config_selectorIlEEZNS1_11reduce_implILb1ES3_PlS7_lN6hipcub16HIPCUB_304000_NS6detail34convert_binary_result_type_wrapperINS9_3SumENS9_22TransformInputIteratorIb7NonZeroIiEPilEElEEEE10hipError_tPvRmT1_T2_T3_mT4_P12ihipStream_tbEUlT_E0_NS1_11comp_targetILNS1_3genE2ELNS1_11target_archE906ELNS1_3gpuE6ELNS1_3repE0EEENS1_30default_config_static_selectorELNS0_4arch9wavefront6targetE1EEEvSM_ ; -- Begin function _ZN7rocprim17ROCPRIM_400000_NS6detail17trampoline_kernelINS0_14default_configENS1_22reduce_config_selectorIlEEZNS1_11reduce_implILb1ES3_PlS7_lN6hipcub16HIPCUB_304000_NS6detail34convert_binary_result_type_wrapperINS9_3SumENS9_22TransformInputIteratorIb7NonZeroIiEPilEElEEEE10hipError_tPvRmT1_T2_T3_mT4_P12ihipStream_tbEUlT_E0_NS1_11comp_targetILNS1_3genE2ELNS1_11target_archE906ELNS1_3gpuE6ELNS1_3repE0EEENS1_30default_config_static_selectorELNS0_4arch9wavefront6targetE1EEEvSM_
	.globl	_ZN7rocprim17ROCPRIM_400000_NS6detail17trampoline_kernelINS0_14default_configENS1_22reduce_config_selectorIlEEZNS1_11reduce_implILb1ES3_PlS7_lN6hipcub16HIPCUB_304000_NS6detail34convert_binary_result_type_wrapperINS9_3SumENS9_22TransformInputIteratorIb7NonZeroIiEPilEElEEEE10hipError_tPvRmT1_T2_T3_mT4_P12ihipStream_tbEUlT_E0_NS1_11comp_targetILNS1_3genE2ELNS1_11target_archE906ELNS1_3gpuE6ELNS1_3repE0EEENS1_30default_config_static_selectorELNS0_4arch9wavefront6targetE1EEEvSM_
	.p2align	8
	.type	_ZN7rocprim17ROCPRIM_400000_NS6detail17trampoline_kernelINS0_14default_configENS1_22reduce_config_selectorIlEEZNS1_11reduce_implILb1ES3_PlS7_lN6hipcub16HIPCUB_304000_NS6detail34convert_binary_result_type_wrapperINS9_3SumENS9_22TransformInputIteratorIb7NonZeroIiEPilEElEEEE10hipError_tPvRmT1_T2_T3_mT4_P12ihipStream_tbEUlT_E0_NS1_11comp_targetILNS1_3genE2ELNS1_11target_archE906ELNS1_3gpuE6ELNS1_3repE0EEENS1_30default_config_static_selectorELNS0_4arch9wavefront6targetE1EEEvSM_,@function
_ZN7rocprim17ROCPRIM_400000_NS6detail17trampoline_kernelINS0_14default_configENS1_22reduce_config_selectorIlEEZNS1_11reduce_implILb1ES3_PlS7_lN6hipcub16HIPCUB_304000_NS6detail34convert_binary_result_type_wrapperINS9_3SumENS9_22TransformInputIteratorIb7NonZeroIiEPilEElEEEE10hipError_tPvRmT1_T2_T3_mT4_P12ihipStream_tbEUlT_E0_NS1_11comp_targetILNS1_3genE2ELNS1_11target_archE906ELNS1_3gpuE6ELNS1_3repE0EEENS1_30default_config_static_selectorELNS0_4arch9wavefront6targetE1EEEvSM_: ; @_ZN7rocprim17ROCPRIM_400000_NS6detail17trampoline_kernelINS0_14default_configENS1_22reduce_config_selectorIlEEZNS1_11reduce_implILb1ES3_PlS7_lN6hipcub16HIPCUB_304000_NS6detail34convert_binary_result_type_wrapperINS9_3SumENS9_22TransformInputIteratorIb7NonZeroIiEPilEElEEEE10hipError_tPvRmT1_T2_T3_mT4_P12ihipStream_tbEUlT_E0_NS1_11comp_targetILNS1_3genE2ELNS1_11target_archE906ELNS1_3gpuE6ELNS1_3repE0EEENS1_30default_config_static_selectorELNS0_4arch9wavefront6targetE1EEEvSM_
; %bb.0:
	.section	.rodata,"a",@progbits
	.p2align	6, 0x0
	.amdhsa_kernel _ZN7rocprim17ROCPRIM_400000_NS6detail17trampoline_kernelINS0_14default_configENS1_22reduce_config_selectorIlEEZNS1_11reduce_implILb1ES3_PlS7_lN6hipcub16HIPCUB_304000_NS6detail34convert_binary_result_type_wrapperINS9_3SumENS9_22TransformInputIteratorIb7NonZeroIiEPilEElEEEE10hipError_tPvRmT1_T2_T3_mT4_P12ihipStream_tbEUlT_E0_NS1_11comp_targetILNS1_3genE2ELNS1_11target_archE906ELNS1_3gpuE6ELNS1_3repE0EEENS1_30default_config_static_selectorELNS0_4arch9wavefront6targetE1EEEvSM_
		.amdhsa_group_segment_fixed_size 0
		.amdhsa_private_segment_fixed_size 0
		.amdhsa_kernarg_size 64
		.amdhsa_user_sgpr_count 2
		.amdhsa_user_sgpr_dispatch_ptr 0
		.amdhsa_user_sgpr_queue_ptr 0
		.amdhsa_user_sgpr_kernarg_segment_ptr 1
		.amdhsa_user_sgpr_dispatch_id 0
		.amdhsa_user_sgpr_kernarg_preload_length 0
		.amdhsa_user_sgpr_kernarg_preload_offset 0
		.amdhsa_user_sgpr_private_segment_size 0
		.amdhsa_uses_dynamic_stack 0
		.amdhsa_enable_private_segment 0
		.amdhsa_system_sgpr_workgroup_id_x 1
		.amdhsa_system_sgpr_workgroup_id_y 0
		.amdhsa_system_sgpr_workgroup_id_z 0
		.amdhsa_system_sgpr_workgroup_info 0
		.amdhsa_system_vgpr_workitem_id 0
		.amdhsa_next_free_vgpr 1
		.amdhsa_next_free_sgpr 0
		.amdhsa_accum_offset 4
		.amdhsa_reserve_vcc 0
		.amdhsa_float_round_mode_32 0
		.amdhsa_float_round_mode_16_64 0
		.amdhsa_float_denorm_mode_32 3
		.amdhsa_float_denorm_mode_16_64 3
		.amdhsa_dx10_clamp 1
		.amdhsa_ieee_mode 1
		.amdhsa_fp16_overflow 0
		.amdhsa_tg_split 0
		.amdhsa_exception_fp_ieee_invalid_op 0
		.amdhsa_exception_fp_denorm_src 0
		.amdhsa_exception_fp_ieee_div_zero 0
		.amdhsa_exception_fp_ieee_overflow 0
		.amdhsa_exception_fp_ieee_underflow 0
		.amdhsa_exception_fp_ieee_inexact 0
		.amdhsa_exception_int_div_zero 0
	.end_amdhsa_kernel
	.section	.text._ZN7rocprim17ROCPRIM_400000_NS6detail17trampoline_kernelINS0_14default_configENS1_22reduce_config_selectorIlEEZNS1_11reduce_implILb1ES3_PlS7_lN6hipcub16HIPCUB_304000_NS6detail34convert_binary_result_type_wrapperINS9_3SumENS9_22TransformInputIteratorIb7NonZeroIiEPilEElEEEE10hipError_tPvRmT1_T2_T3_mT4_P12ihipStream_tbEUlT_E0_NS1_11comp_targetILNS1_3genE2ELNS1_11target_archE906ELNS1_3gpuE6ELNS1_3repE0EEENS1_30default_config_static_selectorELNS0_4arch9wavefront6targetE1EEEvSM_,"axG",@progbits,_ZN7rocprim17ROCPRIM_400000_NS6detail17trampoline_kernelINS0_14default_configENS1_22reduce_config_selectorIlEEZNS1_11reduce_implILb1ES3_PlS7_lN6hipcub16HIPCUB_304000_NS6detail34convert_binary_result_type_wrapperINS9_3SumENS9_22TransformInputIteratorIb7NonZeroIiEPilEElEEEE10hipError_tPvRmT1_T2_T3_mT4_P12ihipStream_tbEUlT_E0_NS1_11comp_targetILNS1_3genE2ELNS1_11target_archE906ELNS1_3gpuE6ELNS1_3repE0EEENS1_30default_config_static_selectorELNS0_4arch9wavefront6targetE1EEEvSM_,comdat
.Lfunc_end153:
	.size	_ZN7rocprim17ROCPRIM_400000_NS6detail17trampoline_kernelINS0_14default_configENS1_22reduce_config_selectorIlEEZNS1_11reduce_implILb1ES3_PlS7_lN6hipcub16HIPCUB_304000_NS6detail34convert_binary_result_type_wrapperINS9_3SumENS9_22TransformInputIteratorIb7NonZeroIiEPilEElEEEE10hipError_tPvRmT1_T2_T3_mT4_P12ihipStream_tbEUlT_E0_NS1_11comp_targetILNS1_3genE2ELNS1_11target_archE906ELNS1_3gpuE6ELNS1_3repE0EEENS1_30default_config_static_selectorELNS0_4arch9wavefront6targetE1EEEvSM_, .Lfunc_end153-_ZN7rocprim17ROCPRIM_400000_NS6detail17trampoline_kernelINS0_14default_configENS1_22reduce_config_selectorIlEEZNS1_11reduce_implILb1ES3_PlS7_lN6hipcub16HIPCUB_304000_NS6detail34convert_binary_result_type_wrapperINS9_3SumENS9_22TransformInputIteratorIb7NonZeroIiEPilEElEEEE10hipError_tPvRmT1_T2_T3_mT4_P12ihipStream_tbEUlT_E0_NS1_11comp_targetILNS1_3genE2ELNS1_11target_archE906ELNS1_3gpuE6ELNS1_3repE0EEENS1_30default_config_static_selectorELNS0_4arch9wavefront6targetE1EEEvSM_
                                        ; -- End function
	.set _ZN7rocprim17ROCPRIM_400000_NS6detail17trampoline_kernelINS0_14default_configENS1_22reduce_config_selectorIlEEZNS1_11reduce_implILb1ES3_PlS7_lN6hipcub16HIPCUB_304000_NS6detail34convert_binary_result_type_wrapperINS9_3SumENS9_22TransformInputIteratorIb7NonZeroIiEPilEElEEEE10hipError_tPvRmT1_T2_T3_mT4_P12ihipStream_tbEUlT_E0_NS1_11comp_targetILNS1_3genE2ELNS1_11target_archE906ELNS1_3gpuE6ELNS1_3repE0EEENS1_30default_config_static_selectorELNS0_4arch9wavefront6targetE1EEEvSM_.num_vgpr, 0
	.set _ZN7rocprim17ROCPRIM_400000_NS6detail17trampoline_kernelINS0_14default_configENS1_22reduce_config_selectorIlEEZNS1_11reduce_implILb1ES3_PlS7_lN6hipcub16HIPCUB_304000_NS6detail34convert_binary_result_type_wrapperINS9_3SumENS9_22TransformInputIteratorIb7NonZeroIiEPilEElEEEE10hipError_tPvRmT1_T2_T3_mT4_P12ihipStream_tbEUlT_E0_NS1_11comp_targetILNS1_3genE2ELNS1_11target_archE906ELNS1_3gpuE6ELNS1_3repE0EEENS1_30default_config_static_selectorELNS0_4arch9wavefront6targetE1EEEvSM_.num_agpr, 0
	.set _ZN7rocprim17ROCPRIM_400000_NS6detail17trampoline_kernelINS0_14default_configENS1_22reduce_config_selectorIlEEZNS1_11reduce_implILb1ES3_PlS7_lN6hipcub16HIPCUB_304000_NS6detail34convert_binary_result_type_wrapperINS9_3SumENS9_22TransformInputIteratorIb7NonZeroIiEPilEElEEEE10hipError_tPvRmT1_T2_T3_mT4_P12ihipStream_tbEUlT_E0_NS1_11comp_targetILNS1_3genE2ELNS1_11target_archE906ELNS1_3gpuE6ELNS1_3repE0EEENS1_30default_config_static_selectorELNS0_4arch9wavefront6targetE1EEEvSM_.numbered_sgpr, 0
	.set _ZN7rocprim17ROCPRIM_400000_NS6detail17trampoline_kernelINS0_14default_configENS1_22reduce_config_selectorIlEEZNS1_11reduce_implILb1ES3_PlS7_lN6hipcub16HIPCUB_304000_NS6detail34convert_binary_result_type_wrapperINS9_3SumENS9_22TransformInputIteratorIb7NonZeroIiEPilEElEEEE10hipError_tPvRmT1_T2_T3_mT4_P12ihipStream_tbEUlT_E0_NS1_11comp_targetILNS1_3genE2ELNS1_11target_archE906ELNS1_3gpuE6ELNS1_3repE0EEENS1_30default_config_static_selectorELNS0_4arch9wavefront6targetE1EEEvSM_.num_named_barrier, 0
	.set _ZN7rocprim17ROCPRIM_400000_NS6detail17trampoline_kernelINS0_14default_configENS1_22reduce_config_selectorIlEEZNS1_11reduce_implILb1ES3_PlS7_lN6hipcub16HIPCUB_304000_NS6detail34convert_binary_result_type_wrapperINS9_3SumENS9_22TransformInputIteratorIb7NonZeroIiEPilEElEEEE10hipError_tPvRmT1_T2_T3_mT4_P12ihipStream_tbEUlT_E0_NS1_11comp_targetILNS1_3genE2ELNS1_11target_archE906ELNS1_3gpuE6ELNS1_3repE0EEENS1_30default_config_static_selectorELNS0_4arch9wavefront6targetE1EEEvSM_.private_seg_size, 0
	.set _ZN7rocprim17ROCPRIM_400000_NS6detail17trampoline_kernelINS0_14default_configENS1_22reduce_config_selectorIlEEZNS1_11reduce_implILb1ES3_PlS7_lN6hipcub16HIPCUB_304000_NS6detail34convert_binary_result_type_wrapperINS9_3SumENS9_22TransformInputIteratorIb7NonZeroIiEPilEElEEEE10hipError_tPvRmT1_T2_T3_mT4_P12ihipStream_tbEUlT_E0_NS1_11comp_targetILNS1_3genE2ELNS1_11target_archE906ELNS1_3gpuE6ELNS1_3repE0EEENS1_30default_config_static_selectorELNS0_4arch9wavefront6targetE1EEEvSM_.uses_vcc, 0
	.set _ZN7rocprim17ROCPRIM_400000_NS6detail17trampoline_kernelINS0_14default_configENS1_22reduce_config_selectorIlEEZNS1_11reduce_implILb1ES3_PlS7_lN6hipcub16HIPCUB_304000_NS6detail34convert_binary_result_type_wrapperINS9_3SumENS9_22TransformInputIteratorIb7NonZeroIiEPilEElEEEE10hipError_tPvRmT1_T2_T3_mT4_P12ihipStream_tbEUlT_E0_NS1_11comp_targetILNS1_3genE2ELNS1_11target_archE906ELNS1_3gpuE6ELNS1_3repE0EEENS1_30default_config_static_selectorELNS0_4arch9wavefront6targetE1EEEvSM_.uses_flat_scratch, 0
	.set _ZN7rocprim17ROCPRIM_400000_NS6detail17trampoline_kernelINS0_14default_configENS1_22reduce_config_selectorIlEEZNS1_11reduce_implILb1ES3_PlS7_lN6hipcub16HIPCUB_304000_NS6detail34convert_binary_result_type_wrapperINS9_3SumENS9_22TransformInputIteratorIb7NonZeroIiEPilEElEEEE10hipError_tPvRmT1_T2_T3_mT4_P12ihipStream_tbEUlT_E0_NS1_11comp_targetILNS1_3genE2ELNS1_11target_archE906ELNS1_3gpuE6ELNS1_3repE0EEENS1_30default_config_static_selectorELNS0_4arch9wavefront6targetE1EEEvSM_.has_dyn_sized_stack, 0
	.set _ZN7rocprim17ROCPRIM_400000_NS6detail17trampoline_kernelINS0_14default_configENS1_22reduce_config_selectorIlEEZNS1_11reduce_implILb1ES3_PlS7_lN6hipcub16HIPCUB_304000_NS6detail34convert_binary_result_type_wrapperINS9_3SumENS9_22TransformInputIteratorIb7NonZeroIiEPilEElEEEE10hipError_tPvRmT1_T2_T3_mT4_P12ihipStream_tbEUlT_E0_NS1_11comp_targetILNS1_3genE2ELNS1_11target_archE906ELNS1_3gpuE6ELNS1_3repE0EEENS1_30default_config_static_selectorELNS0_4arch9wavefront6targetE1EEEvSM_.has_recursion, 0
	.set _ZN7rocprim17ROCPRIM_400000_NS6detail17trampoline_kernelINS0_14default_configENS1_22reduce_config_selectorIlEEZNS1_11reduce_implILb1ES3_PlS7_lN6hipcub16HIPCUB_304000_NS6detail34convert_binary_result_type_wrapperINS9_3SumENS9_22TransformInputIteratorIb7NonZeroIiEPilEElEEEE10hipError_tPvRmT1_T2_T3_mT4_P12ihipStream_tbEUlT_E0_NS1_11comp_targetILNS1_3genE2ELNS1_11target_archE906ELNS1_3gpuE6ELNS1_3repE0EEENS1_30default_config_static_selectorELNS0_4arch9wavefront6targetE1EEEvSM_.has_indirect_call, 0
	.section	.AMDGPU.csdata,"",@progbits
; Kernel info:
; codeLenInByte = 0
; TotalNumSgprs: 6
; NumVgprs: 0
; NumAgprs: 0
; TotalNumVgprs: 0
; ScratchSize: 0
; MemoryBound: 0
; FloatMode: 240
; IeeeMode: 1
; LDSByteSize: 0 bytes/workgroup (compile time only)
; SGPRBlocks: 0
; VGPRBlocks: 0
; NumSGPRsForWavesPerEU: 6
; NumVGPRsForWavesPerEU: 1
; AccumOffset: 4
; Occupancy: 8
; WaveLimiterHint : 0
; COMPUTE_PGM_RSRC2:SCRATCH_EN: 0
; COMPUTE_PGM_RSRC2:USER_SGPR: 2
; COMPUTE_PGM_RSRC2:TRAP_HANDLER: 0
; COMPUTE_PGM_RSRC2:TGID_X_EN: 1
; COMPUTE_PGM_RSRC2:TGID_Y_EN: 0
; COMPUTE_PGM_RSRC2:TGID_Z_EN: 0
; COMPUTE_PGM_RSRC2:TIDIG_COMP_CNT: 0
; COMPUTE_PGM_RSRC3_GFX90A:ACCUM_OFFSET: 0
; COMPUTE_PGM_RSRC3_GFX90A:TG_SPLIT: 0
	.section	.text._ZN7rocprim17ROCPRIM_400000_NS6detail17trampoline_kernelINS0_14default_configENS1_22reduce_config_selectorIlEEZNS1_11reduce_implILb1ES3_PlS7_lN6hipcub16HIPCUB_304000_NS6detail34convert_binary_result_type_wrapperINS9_3SumENS9_22TransformInputIteratorIb7NonZeroIiEPilEElEEEE10hipError_tPvRmT1_T2_T3_mT4_P12ihipStream_tbEUlT_E0_NS1_11comp_targetILNS1_3genE10ELNS1_11target_archE1201ELNS1_3gpuE5ELNS1_3repE0EEENS1_30default_config_static_selectorELNS0_4arch9wavefront6targetE1EEEvSM_,"axG",@progbits,_ZN7rocprim17ROCPRIM_400000_NS6detail17trampoline_kernelINS0_14default_configENS1_22reduce_config_selectorIlEEZNS1_11reduce_implILb1ES3_PlS7_lN6hipcub16HIPCUB_304000_NS6detail34convert_binary_result_type_wrapperINS9_3SumENS9_22TransformInputIteratorIb7NonZeroIiEPilEElEEEE10hipError_tPvRmT1_T2_T3_mT4_P12ihipStream_tbEUlT_E0_NS1_11comp_targetILNS1_3genE10ELNS1_11target_archE1201ELNS1_3gpuE5ELNS1_3repE0EEENS1_30default_config_static_selectorELNS0_4arch9wavefront6targetE1EEEvSM_,comdat
	.protected	_ZN7rocprim17ROCPRIM_400000_NS6detail17trampoline_kernelINS0_14default_configENS1_22reduce_config_selectorIlEEZNS1_11reduce_implILb1ES3_PlS7_lN6hipcub16HIPCUB_304000_NS6detail34convert_binary_result_type_wrapperINS9_3SumENS9_22TransformInputIteratorIb7NonZeroIiEPilEElEEEE10hipError_tPvRmT1_T2_T3_mT4_P12ihipStream_tbEUlT_E0_NS1_11comp_targetILNS1_3genE10ELNS1_11target_archE1201ELNS1_3gpuE5ELNS1_3repE0EEENS1_30default_config_static_selectorELNS0_4arch9wavefront6targetE1EEEvSM_ ; -- Begin function _ZN7rocprim17ROCPRIM_400000_NS6detail17trampoline_kernelINS0_14default_configENS1_22reduce_config_selectorIlEEZNS1_11reduce_implILb1ES3_PlS7_lN6hipcub16HIPCUB_304000_NS6detail34convert_binary_result_type_wrapperINS9_3SumENS9_22TransformInputIteratorIb7NonZeroIiEPilEElEEEE10hipError_tPvRmT1_T2_T3_mT4_P12ihipStream_tbEUlT_E0_NS1_11comp_targetILNS1_3genE10ELNS1_11target_archE1201ELNS1_3gpuE5ELNS1_3repE0EEENS1_30default_config_static_selectorELNS0_4arch9wavefront6targetE1EEEvSM_
	.globl	_ZN7rocprim17ROCPRIM_400000_NS6detail17trampoline_kernelINS0_14default_configENS1_22reduce_config_selectorIlEEZNS1_11reduce_implILb1ES3_PlS7_lN6hipcub16HIPCUB_304000_NS6detail34convert_binary_result_type_wrapperINS9_3SumENS9_22TransformInputIteratorIb7NonZeroIiEPilEElEEEE10hipError_tPvRmT1_T2_T3_mT4_P12ihipStream_tbEUlT_E0_NS1_11comp_targetILNS1_3genE10ELNS1_11target_archE1201ELNS1_3gpuE5ELNS1_3repE0EEENS1_30default_config_static_selectorELNS0_4arch9wavefront6targetE1EEEvSM_
	.p2align	8
	.type	_ZN7rocprim17ROCPRIM_400000_NS6detail17trampoline_kernelINS0_14default_configENS1_22reduce_config_selectorIlEEZNS1_11reduce_implILb1ES3_PlS7_lN6hipcub16HIPCUB_304000_NS6detail34convert_binary_result_type_wrapperINS9_3SumENS9_22TransformInputIteratorIb7NonZeroIiEPilEElEEEE10hipError_tPvRmT1_T2_T3_mT4_P12ihipStream_tbEUlT_E0_NS1_11comp_targetILNS1_3genE10ELNS1_11target_archE1201ELNS1_3gpuE5ELNS1_3repE0EEENS1_30default_config_static_selectorELNS0_4arch9wavefront6targetE1EEEvSM_,@function
_ZN7rocprim17ROCPRIM_400000_NS6detail17trampoline_kernelINS0_14default_configENS1_22reduce_config_selectorIlEEZNS1_11reduce_implILb1ES3_PlS7_lN6hipcub16HIPCUB_304000_NS6detail34convert_binary_result_type_wrapperINS9_3SumENS9_22TransformInputIteratorIb7NonZeroIiEPilEElEEEE10hipError_tPvRmT1_T2_T3_mT4_P12ihipStream_tbEUlT_E0_NS1_11comp_targetILNS1_3genE10ELNS1_11target_archE1201ELNS1_3gpuE5ELNS1_3repE0EEENS1_30default_config_static_selectorELNS0_4arch9wavefront6targetE1EEEvSM_: ; @_ZN7rocprim17ROCPRIM_400000_NS6detail17trampoline_kernelINS0_14default_configENS1_22reduce_config_selectorIlEEZNS1_11reduce_implILb1ES3_PlS7_lN6hipcub16HIPCUB_304000_NS6detail34convert_binary_result_type_wrapperINS9_3SumENS9_22TransformInputIteratorIb7NonZeroIiEPilEElEEEE10hipError_tPvRmT1_T2_T3_mT4_P12ihipStream_tbEUlT_E0_NS1_11comp_targetILNS1_3genE10ELNS1_11target_archE1201ELNS1_3gpuE5ELNS1_3repE0EEENS1_30default_config_static_selectorELNS0_4arch9wavefront6targetE1EEEvSM_
; %bb.0:
	.section	.rodata,"a",@progbits
	.p2align	6, 0x0
	.amdhsa_kernel _ZN7rocprim17ROCPRIM_400000_NS6detail17trampoline_kernelINS0_14default_configENS1_22reduce_config_selectorIlEEZNS1_11reduce_implILb1ES3_PlS7_lN6hipcub16HIPCUB_304000_NS6detail34convert_binary_result_type_wrapperINS9_3SumENS9_22TransformInputIteratorIb7NonZeroIiEPilEElEEEE10hipError_tPvRmT1_T2_T3_mT4_P12ihipStream_tbEUlT_E0_NS1_11comp_targetILNS1_3genE10ELNS1_11target_archE1201ELNS1_3gpuE5ELNS1_3repE0EEENS1_30default_config_static_selectorELNS0_4arch9wavefront6targetE1EEEvSM_
		.amdhsa_group_segment_fixed_size 0
		.amdhsa_private_segment_fixed_size 0
		.amdhsa_kernarg_size 64
		.amdhsa_user_sgpr_count 2
		.amdhsa_user_sgpr_dispatch_ptr 0
		.amdhsa_user_sgpr_queue_ptr 0
		.amdhsa_user_sgpr_kernarg_segment_ptr 1
		.amdhsa_user_sgpr_dispatch_id 0
		.amdhsa_user_sgpr_kernarg_preload_length 0
		.amdhsa_user_sgpr_kernarg_preload_offset 0
		.amdhsa_user_sgpr_private_segment_size 0
		.amdhsa_uses_dynamic_stack 0
		.amdhsa_enable_private_segment 0
		.amdhsa_system_sgpr_workgroup_id_x 1
		.amdhsa_system_sgpr_workgroup_id_y 0
		.amdhsa_system_sgpr_workgroup_id_z 0
		.amdhsa_system_sgpr_workgroup_info 0
		.amdhsa_system_vgpr_workitem_id 0
		.amdhsa_next_free_vgpr 1
		.amdhsa_next_free_sgpr 0
		.amdhsa_accum_offset 4
		.amdhsa_reserve_vcc 0
		.amdhsa_float_round_mode_32 0
		.amdhsa_float_round_mode_16_64 0
		.amdhsa_float_denorm_mode_32 3
		.amdhsa_float_denorm_mode_16_64 3
		.amdhsa_dx10_clamp 1
		.amdhsa_ieee_mode 1
		.amdhsa_fp16_overflow 0
		.amdhsa_tg_split 0
		.amdhsa_exception_fp_ieee_invalid_op 0
		.amdhsa_exception_fp_denorm_src 0
		.amdhsa_exception_fp_ieee_div_zero 0
		.amdhsa_exception_fp_ieee_overflow 0
		.amdhsa_exception_fp_ieee_underflow 0
		.amdhsa_exception_fp_ieee_inexact 0
		.amdhsa_exception_int_div_zero 0
	.end_amdhsa_kernel
	.section	.text._ZN7rocprim17ROCPRIM_400000_NS6detail17trampoline_kernelINS0_14default_configENS1_22reduce_config_selectorIlEEZNS1_11reduce_implILb1ES3_PlS7_lN6hipcub16HIPCUB_304000_NS6detail34convert_binary_result_type_wrapperINS9_3SumENS9_22TransformInputIteratorIb7NonZeroIiEPilEElEEEE10hipError_tPvRmT1_T2_T3_mT4_P12ihipStream_tbEUlT_E0_NS1_11comp_targetILNS1_3genE10ELNS1_11target_archE1201ELNS1_3gpuE5ELNS1_3repE0EEENS1_30default_config_static_selectorELNS0_4arch9wavefront6targetE1EEEvSM_,"axG",@progbits,_ZN7rocprim17ROCPRIM_400000_NS6detail17trampoline_kernelINS0_14default_configENS1_22reduce_config_selectorIlEEZNS1_11reduce_implILb1ES3_PlS7_lN6hipcub16HIPCUB_304000_NS6detail34convert_binary_result_type_wrapperINS9_3SumENS9_22TransformInputIteratorIb7NonZeroIiEPilEElEEEE10hipError_tPvRmT1_T2_T3_mT4_P12ihipStream_tbEUlT_E0_NS1_11comp_targetILNS1_3genE10ELNS1_11target_archE1201ELNS1_3gpuE5ELNS1_3repE0EEENS1_30default_config_static_selectorELNS0_4arch9wavefront6targetE1EEEvSM_,comdat
.Lfunc_end154:
	.size	_ZN7rocprim17ROCPRIM_400000_NS6detail17trampoline_kernelINS0_14default_configENS1_22reduce_config_selectorIlEEZNS1_11reduce_implILb1ES3_PlS7_lN6hipcub16HIPCUB_304000_NS6detail34convert_binary_result_type_wrapperINS9_3SumENS9_22TransformInputIteratorIb7NonZeroIiEPilEElEEEE10hipError_tPvRmT1_T2_T3_mT4_P12ihipStream_tbEUlT_E0_NS1_11comp_targetILNS1_3genE10ELNS1_11target_archE1201ELNS1_3gpuE5ELNS1_3repE0EEENS1_30default_config_static_selectorELNS0_4arch9wavefront6targetE1EEEvSM_, .Lfunc_end154-_ZN7rocprim17ROCPRIM_400000_NS6detail17trampoline_kernelINS0_14default_configENS1_22reduce_config_selectorIlEEZNS1_11reduce_implILb1ES3_PlS7_lN6hipcub16HIPCUB_304000_NS6detail34convert_binary_result_type_wrapperINS9_3SumENS9_22TransformInputIteratorIb7NonZeroIiEPilEElEEEE10hipError_tPvRmT1_T2_T3_mT4_P12ihipStream_tbEUlT_E0_NS1_11comp_targetILNS1_3genE10ELNS1_11target_archE1201ELNS1_3gpuE5ELNS1_3repE0EEENS1_30default_config_static_selectorELNS0_4arch9wavefront6targetE1EEEvSM_
                                        ; -- End function
	.set _ZN7rocprim17ROCPRIM_400000_NS6detail17trampoline_kernelINS0_14default_configENS1_22reduce_config_selectorIlEEZNS1_11reduce_implILb1ES3_PlS7_lN6hipcub16HIPCUB_304000_NS6detail34convert_binary_result_type_wrapperINS9_3SumENS9_22TransformInputIteratorIb7NonZeroIiEPilEElEEEE10hipError_tPvRmT1_T2_T3_mT4_P12ihipStream_tbEUlT_E0_NS1_11comp_targetILNS1_3genE10ELNS1_11target_archE1201ELNS1_3gpuE5ELNS1_3repE0EEENS1_30default_config_static_selectorELNS0_4arch9wavefront6targetE1EEEvSM_.num_vgpr, 0
	.set _ZN7rocprim17ROCPRIM_400000_NS6detail17trampoline_kernelINS0_14default_configENS1_22reduce_config_selectorIlEEZNS1_11reduce_implILb1ES3_PlS7_lN6hipcub16HIPCUB_304000_NS6detail34convert_binary_result_type_wrapperINS9_3SumENS9_22TransformInputIteratorIb7NonZeroIiEPilEElEEEE10hipError_tPvRmT1_T2_T3_mT4_P12ihipStream_tbEUlT_E0_NS1_11comp_targetILNS1_3genE10ELNS1_11target_archE1201ELNS1_3gpuE5ELNS1_3repE0EEENS1_30default_config_static_selectorELNS0_4arch9wavefront6targetE1EEEvSM_.num_agpr, 0
	.set _ZN7rocprim17ROCPRIM_400000_NS6detail17trampoline_kernelINS0_14default_configENS1_22reduce_config_selectorIlEEZNS1_11reduce_implILb1ES3_PlS7_lN6hipcub16HIPCUB_304000_NS6detail34convert_binary_result_type_wrapperINS9_3SumENS9_22TransformInputIteratorIb7NonZeroIiEPilEElEEEE10hipError_tPvRmT1_T2_T3_mT4_P12ihipStream_tbEUlT_E0_NS1_11comp_targetILNS1_3genE10ELNS1_11target_archE1201ELNS1_3gpuE5ELNS1_3repE0EEENS1_30default_config_static_selectorELNS0_4arch9wavefront6targetE1EEEvSM_.numbered_sgpr, 0
	.set _ZN7rocprim17ROCPRIM_400000_NS6detail17trampoline_kernelINS0_14default_configENS1_22reduce_config_selectorIlEEZNS1_11reduce_implILb1ES3_PlS7_lN6hipcub16HIPCUB_304000_NS6detail34convert_binary_result_type_wrapperINS9_3SumENS9_22TransformInputIteratorIb7NonZeroIiEPilEElEEEE10hipError_tPvRmT1_T2_T3_mT4_P12ihipStream_tbEUlT_E0_NS1_11comp_targetILNS1_3genE10ELNS1_11target_archE1201ELNS1_3gpuE5ELNS1_3repE0EEENS1_30default_config_static_selectorELNS0_4arch9wavefront6targetE1EEEvSM_.num_named_barrier, 0
	.set _ZN7rocprim17ROCPRIM_400000_NS6detail17trampoline_kernelINS0_14default_configENS1_22reduce_config_selectorIlEEZNS1_11reduce_implILb1ES3_PlS7_lN6hipcub16HIPCUB_304000_NS6detail34convert_binary_result_type_wrapperINS9_3SumENS9_22TransformInputIteratorIb7NonZeroIiEPilEElEEEE10hipError_tPvRmT1_T2_T3_mT4_P12ihipStream_tbEUlT_E0_NS1_11comp_targetILNS1_3genE10ELNS1_11target_archE1201ELNS1_3gpuE5ELNS1_3repE0EEENS1_30default_config_static_selectorELNS0_4arch9wavefront6targetE1EEEvSM_.private_seg_size, 0
	.set _ZN7rocprim17ROCPRIM_400000_NS6detail17trampoline_kernelINS0_14default_configENS1_22reduce_config_selectorIlEEZNS1_11reduce_implILb1ES3_PlS7_lN6hipcub16HIPCUB_304000_NS6detail34convert_binary_result_type_wrapperINS9_3SumENS9_22TransformInputIteratorIb7NonZeroIiEPilEElEEEE10hipError_tPvRmT1_T2_T3_mT4_P12ihipStream_tbEUlT_E0_NS1_11comp_targetILNS1_3genE10ELNS1_11target_archE1201ELNS1_3gpuE5ELNS1_3repE0EEENS1_30default_config_static_selectorELNS0_4arch9wavefront6targetE1EEEvSM_.uses_vcc, 0
	.set _ZN7rocprim17ROCPRIM_400000_NS6detail17trampoline_kernelINS0_14default_configENS1_22reduce_config_selectorIlEEZNS1_11reduce_implILb1ES3_PlS7_lN6hipcub16HIPCUB_304000_NS6detail34convert_binary_result_type_wrapperINS9_3SumENS9_22TransformInputIteratorIb7NonZeroIiEPilEElEEEE10hipError_tPvRmT1_T2_T3_mT4_P12ihipStream_tbEUlT_E0_NS1_11comp_targetILNS1_3genE10ELNS1_11target_archE1201ELNS1_3gpuE5ELNS1_3repE0EEENS1_30default_config_static_selectorELNS0_4arch9wavefront6targetE1EEEvSM_.uses_flat_scratch, 0
	.set _ZN7rocprim17ROCPRIM_400000_NS6detail17trampoline_kernelINS0_14default_configENS1_22reduce_config_selectorIlEEZNS1_11reduce_implILb1ES3_PlS7_lN6hipcub16HIPCUB_304000_NS6detail34convert_binary_result_type_wrapperINS9_3SumENS9_22TransformInputIteratorIb7NonZeroIiEPilEElEEEE10hipError_tPvRmT1_T2_T3_mT4_P12ihipStream_tbEUlT_E0_NS1_11comp_targetILNS1_3genE10ELNS1_11target_archE1201ELNS1_3gpuE5ELNS1_3repE0EEENS1_30default_config_static_selectorELNS0_4arch9wavefront6targetE1EEEvSM_.has_dyn_sized_stack, 0
	.set _ZN7rocprim17ROCPRIM_400000_NS6detail17trampoline_kernelINS0_14default_configENS1_22reduce_config_selectorIlEEZNS1_11reduce_implILb1ES3_PlS7_lN6hipcub16HIPCUB_304000_NS6detail34convert_binary_result_type_wrapperINS9_3SumENS9_22TransformInputIteratorIb7NonZeroIiEPilEElEEEE10hipError_tPvRmT1_T2_T3_mT4_P12ihipStream_tbEUlT_E0_NS1_11comp_targetILNS1_3genE10ELNS1_11target_archE1201ELNS1_3gpuE5ELNS1_3repE0EEENS1_30default_config_static_selectorELNS0_4arch9wavefront6targetE1EEEvSM_.has_recursion, 0
	.set _ZN7rocprim17ROCPRIM_400000_NS6detail17trampoline_kernelINS0_14default_configENS1_22reduce_config_selectorIlEEZNS1_11reduce_implILb1ES3_PlS7_lN6hipcub16HIPCUB_304000_NS6detail34convert_binary_result_type_wrapperINS9_3SumENS9_22TransformInputIteratorIb7NonZeroIiEPilEElEEEE10hipError_tPvRmT1_T2_T3_mT4_P12ihipStream_tbEUlT_E0_NS1_11comp_targetILNS1_3genE10ELNS1_11target_archE1201ELNS1_3gpuE5ELNS1_3repE0EEENS1_30default_config_static_selectorELNS0_4arch9wavefront6targetE1EEEvSM_.has_indirect_call, 0
	.section	.AMDGPU.csdata,"",@progbits
; Kernel info:
; codeLenInByte = 0
; TotalNumSgprs: 6
; NumVgprs: 0
; NumAgprs: 0
; TotalNumVgprs: 0
; ScratchSize: 0
; MemoryBound: 0
; FloatMode: 240
; IeeeMode: 1
; LDSByteSize: 0 bytes/workgroup (compile time only)
; SGPRBlocks: 0
; VGPRBlocks: 0
; NumSGPRsForWavesPerEU: 6
; NumVGPRsForWavesPerEU: 1
; AccumOffset: 4
; Occupancy: 8
; WaveLimiterHint : 0
; COMPUTE_PGM_RSRC2:SCRATCH_EN: 0
; COMPUTE_PGM_RSRC2:USER_SGPR: 2
; COMPUTE_PGM_RSRC2:TRAP_HANDLER: 0
; COMPUTE_PGM_RSRC2:TGID_X_EN: 1
; COMPUTE_PGM_RSRC2:TGID_Y_EN: 0
; COMPUTE_PGM_RSRC2:TGID_Z_EN: 0
; COMPUTE_PGM_RSRC2:TIDIG_COMP_CNT: 0
; COMPUTE_PGM_RSRC3_GFX90A:ACCUM_OFFSET: 0
; COMPUTE_PGM_RSRC3_GFX90A:TG_SPLIT: 0
	.section	.text._ZN7rocprim17ROCPRIM_400000_NS6detail17trampoline_kernelINS0_14default_configENS1_22reduce_config_selectorIlEEZNS1_11reduce_implILb1ES3_PlS7_lN6hipcub16HIPCUB_304000_NS6detail34convert_binary_result_type_wrapperINS9_3SumENS9_22TransformInputIteratorIb7NonZeroIiEPilEElEEEE10hipError_tPvRmT1_T2_T3_mT4_P12ihipStream_tbEUlT_E0_NS1_11comp_targetILNS1_3genE10ELNS1_11target_archE1200ELNS1_3gpuE4ELNS1_3repE0EEENS1_30default_config_static_selectorELNS0_4arch9wavefront6targetE1EEEvSM_,"axG",@progbits,_ZN7rocprim17ROCPRIM_400000_NS6detail17trampoline_kernelINS0_14default_configENS1_22reduce_config_selectorIlEEZNS1_11reduce_implILb1ES3_PlS7_lN6hipcub16HIPCUB_304000_NS6detail34convert_binary_result_type_wrapperINS9_3SumENS9_22TransformInputIteratorIb7NonZeroIiEPilEElEEEE10hipError_tPvRmT1_T2_T3_mT4_P12ihipStream_tbEUlT_E0_NS1_11comp_targetILNS1_3genE10ELNS1_11target_archE1200ELNS1_3gpuE4ELNS1_3repE0EEENS1_30default_config_static_selectorELNS0_4arch9wavefront6targetE1EEEvSM_,comdat
	.protected	_ZN7rocprim17ROCPRIM_400000_NS6detail17trampoline_kernelINS0_14default_configENS1_22reduce_config_selectorIlEEZNS1_11reduce_implILb1ES3_PlS7_lN6hipcub16HIPCUB_304000_NS6detail34convert_binary_result_type_wrapperINS9_3SumENS9_22TransformInputIteratorIb7NonZeroIiEPilEElEEEE10hipError_tPvRmT1_T2_T3_mT4_P12ihipStream_tbEUlT_E0_NS1_11comp_targetILNS1_3genE10ELNS1_11target_archE1200ELNS1_3gpuE4ELNS1_3repE0EEENS1_30default_config_static_selectorELNS0_4arch9wavefront6targetE1EEEvSM_ ; -- Begin function _ZN7rocprim17ROCPRIM_400000_NS6detail17trampoline_kernelINS0_14default_configENS1_22reduce_config_selectorIlEEZNS1_11reduce_implILb1ES3_PlS7_lN6hipcub16HIPCUB_304000_NS6detail34convert_binary_result_type_wrapperINS9_3SumENS9_22TransformInputIteratorIb7NonZeroIiEPilEElEEEE10hipError_tPvRmT1_T2_T3_mT4_P12ihipStream_tbEUlT_E0_NS1_11comp_targetILNS1_3genE10ELNS1_11target_archE1200ELNS1_3gpuE4ELNS1_3repE0EEENS1_30default_config_static_selectorELNS0_4arch9wavefront6targetE1EEEvSM_
	.globl	_ZN7rocprim17ROCPRIM_400000_NS6detail17trampoline_kernelINS0_14default_configENS1_22reduce_config_selectorIlEEZNS1_11reduce_implILb1ES3_PlS7_lN6hipcub16HIPCUB_304000_NS6detail34convert_binary_result_type_wrapperINS9_3SumENS9_22TransformInputIteratorIb7NonZeroIiEPilEElEEEE10hipError_tPvRmT1_T2_T3_mT4_P12ihipStream_tbEUlT_E0_NS1_11comp_targetILNS1_3genE10ELNS1_11target_archE1200ELNS1_3gpuE4ELNS1_3repE0EEENS1_30default_config_static_selectorELNS0_4arch9wavefront6targetE1EEEvSM_
	.p2align	8
	.type	_ZN7rocprim17ROCPRIM_400000_NS6detail17trampoline_kernelINS0_14default_configENS1_22reduce_config_selectorIlEEZNS1_11reduce_implILb1ES3_PlS7_lN6hipcub16HIPCUB_304000_NS6detail34convert_binary_result_type_wrapperINS9_3SumENS9_22TransformInputIteratorIb7NonZeroIiEPilEElEEEE10hipError_tPvRmT1_T2_T3_mT4_P12ihipStream_tbEUlT_E0_NS1_11comp_targetILNS1_3genE10ELNS1_11target_archE1200ELNS1_3gpuE4ELNS1_3repE0EEENS1_30default_config_static_selectorELNS0_4arch9wavefront6targetE1EEEvSM_,@function
_ZN7rocprim17ROCPRIM_400000_NS6detail17trampoline_kernelINS0_14default_configENS1_22reduce_config_selectorIlEEZNS1_11reduce_implILb1ES3_PlS7_lN6hipcub16HIPCUB_304000_NS6detail34convert_binary_result_type_wrapperINS9_3SumENS9_22TransformInputIteratorIb7NonZeroIiEPilEElEEEE10hipError_tPvRmT1_T2_T3_mT4_P12ihipStream_tbEUlT_E0_NS1_11comp_targetILNS1_3genE10ELNS1_11target_archE1200ELNS1_3gpuE4ELNS1_3repE0EEENS1_30default_config_static_selectorELNS0_4arch9wavefront6targetE1EEEvSM_: ; @_ZN7rocprim17ROCPRIM_400000_NS6detail17trampoline_kernelINS0_14default_configENS1_22reduce_config_selectorIlEEZNS1_11reduce_implILb1ES3_PlS7_lN6hipcub16HIPCUB_304000_NS6detail34convert_binary_result_type_wrapperINS9_3SumENS9_22TransformInputIteratorIb7NonZeroIiEPilEElEEEE10hipError_tPvRmT1_T2_T3_mT4_P12ihipStream_tbEUlT_E0_NS1_11comp_targetILNS1_3genE10ELNS1_11target_archE1200ELNS1_3gpuE4ELNS1_3repE0EEENS1_30default_config_static_selectorELNS0_4arch9wavefront6targetE1EEEvSM_
; %bb.0:
	.section	.rodata,"a",@progbits
	.p2align	6, 0x0
	.amdhsa_kernel _ZN7rocprim17ROCPRIM_400000_NS6detail17trampoline_kernelINS0_14default_configENS1_22reduce_config_selectorIlEEZNS1_11reduce_implILb1ES3_PlS7_lN6hipcub16HIPCUB_304000_NS6detail34convert_binary_result_type_wrapperINS9_3SumENS9_22TransformInputIteratorIb7NonZeroIiEPilEElEEEE10hipError_tPvRmT1_T2_T3_mT4_P12ihipStream_tbEUlT_E0_NS1_11comp_targetILNS1_3genE10ELNS1_11target_archE1200ELNS1_3gpuE4ELNS1_3repE0EEENS1_30default_config_static_selectorELNS0_4arch9wavefront6targetE1EEEvSM_
		.amdhsa_group_segment_fixed_size 0
		.amdhsa_private_segment_fixed_size 0
		.amdhsa_kernarg_size 64
		.amdhsa_user_sgpr_count 2
		.amdhsa_user_sgpr_dispatch_ptr 0
		.amdhsa_user_sgpr_queue_ptr 0
		.amdhsa_user_sgpr_kernarg_segment_ptr 1
		.amdhsa_user_sgpr_dispatch_id 0
		.amdhsa_user_sgpr_kernarg_preload_length 0
		.amdhsa_user_sgpr_kernarg_preload_offset 0
		.amdhsa_user_sgpr_private_segment_size 0
		.amdhsa_uses_dynamic_stack 0
		.amdhsa_enable_private_segment 0
		.amdhsa_system_sgpr_workgroup_id_x 1
		.amdhsa_system_sgpr_workgroup_id_y 0
		.amdhsa_system_sgpr_workgroup_id_z 0
		.amdhsa_system_sgpr_workgroup_info 0
		.amdhsa_system_vgpr_workitem_id 0
		.amdhsa_next_free_vgpr 1
		.amdhsa_next_free_sgpr 0
		.amdhsa_accum_offset 4
		.amdhsa_reserve_vcc 0
		.amdhsa_float_round_mode_32 0
		.amdhsa_float_round_mode_16_64 0
		.amdhsa_float_denorm_mode_32 3
		.amdhsa_float_denorm_mode_16_64 3
		.amdhsa_dx10_clamp 1
		.amdhsa_ieee_mode 1
		.amdhsa_fp16_overflow 0
		.amdhsa_tg_split 0
		.amdhsa_exception_fp_ieee_invalid_op 0
		.amdhsa_exception_fp_denorm_src 0
		.amdhsa_exception_fp_ieee_div_zero 0
		.amdhsa_exception_fp_ieee_overflow 0
		.amdhsa_exception_fp_ieee_underflow 0
		.amdhsa_exception_fp_ieee_inexact 0
		.amdhsa_exception_int_div_zero 0
	.end_amdhsa_kernel
	.section	.text._ZN7rocprim17ROCPRIM_400000_NS6detail17trampoline_kernelINS0_14default_configENS1_22reduce_config_selectorIlEEZNS1_11reduce_implILb1ES3_PlS7_lN6hipcub16HIPCUB_304000_NS6detail34convert_binary_result_type_wrapperINS9_3SumENS9_22TransformInputIteratorIb7NonZeroIiEPilEElEEEE10hipError_tPvRmT1_T2_T3_mT4_P12ihipStream_tbEUlT_E0_NS1_11comp_targetILNS1_3genE10ELNS1_11target_archE1200ELNS1_3gpuE4ELNS1_3repE0EEENS1_30default_config_static_selectorELNS0_4arch9wavefront6targetE1EEEvSM_,"axG",@progbits,_ZN7rocprim17ROCPRIM_400000_NS6detail17trampoline_kernelINS0_14default_configENS1_22reduce_config_selectorIlEEZNS1_11reduce_implILb1ES3_PlS7_lN6hipcub16HIPCUB_304000_NS6detail34convert_binary_result_type_wrapperINS9_3SumENS9_22TransformInputIteratorIb7NonZeroIiEPilEElEEEE10hipError_tPvRmT1_T2_T3_mT4_P12ihipStream_tbEUlT_E0_NS1_11comp_targetILNS1_3genE10ELNS1_11target_archE1200ELNS1_3gpuE4ELNS1_3repE0EEENS1_30default_config_static_selectorELNS0_4arch9wavefront6targetE1EEEvSM_,comdat
.Lfunc_end155:
	.size	_ZN7rocprim17ROCPRIM_400000_NS6detail17trampoline_kernelINS0_14default_configENS1_22reduce_config_selectorIlEEZNS1_11reduce_implILb1ES3_PlS7_lN6hipcub16HIPCUB_304000_NS6detail34convert_binary_result_type_wrapperINS9_3SumENS9_22TransformInputIteratorIb7NonZeroIiEPilEElEEEE10hipError_tPvRmT1_T2_T3_mT4_P12ihipStream_tbEUlT_E0_NS1_11comp_targetILNS1_3genE10ELNS1_11target_archE1200ELNS1_3gpuE4ELNS1_3repE0EEENS1_30default_config_static_selectorELNS0_4arch9wavefront6targetE1EEEvSM_, .Lfunc_end155-_ZN7rocprim17ROCPRIM_400000_NS6detail17trampoline_kernelINS0_14default_configENS1_22reduce_config_selectorIlEEZNS1_11reduce_implILb1ES3_PlS7_lN6hipcub16HIPCUB_304000_NS6detail34convert_binary_result_type_wrapperINS9_3SumENS9_22TransformInputIteratorIb7NonZeroIiEPilEElEEEE10hipError_tPvRmT1_T2_T3_mT4_P12ihipStream_tbEUlT_E0_NS1_11comp_targetILNS1_3genE10ELNS1_11target_archE1200ELNS1_3gpuE4ELNS1_3repE0EEENS1_30default_config_static_selectorELNS0_4arch9wavefront6targetE1EEEvSM_
                                        ; -- End function
	.set _ZN7rocprim17ROCPRIM_400000_NS6detail17trampoline_kernelINS0_14default_configENS1_22reduce_config_selectorIlEEZNS1_11reduce_implILb1ES3_PlS7_lN6hipcub16HIPCUB_304000_NS6detail34convert_binary_result_type_wrapperINS9_3SumENS9_22TransformInputIteratorIb7NonZeroIiEPilEElEEEE10hipError_tPvRmT1_T2_T3_mT4_P12ihipStream_tbEUlT_E0_NS1_11comp_targetILNS1_3genE10ELNS1_11target_archE1200ELNS1_3gpuE4ELNS1_3repE0EEENS1_30default_config_static_selectorELNS0_4arch9wavefront6targetE1EEEvSM_.num_vgpr, 0
	.set _ZN7rocprim17ROCPRIM_400000_NS6detail17trampoline_kernelINS0_14default_configENS1_22reduce_config_selectorIlEEZNS1_11reduce_implILb1ES3_PlS7_lN6hipcub16HIPCUB_304000_NS6detail34convert_binary_result_type_wrapperINS9_3SumENS9_22TransformInputIteratorIb7NonZeroIiEPilEElEEEE10hipError_tPvRmT1_T2_T3_mT4_P12ihipStream_tbEUlT_E0_NS1_11comp_targetILNS1_3genE10ELNS1_11target_archE1200ELNS1_3gpuE4ELNS1_3repE0EEENS1_30default_config_static_selectorELNS0_4arch9wavefront6targetE1EEEvSM_.num_agpr, 0
	.set _ZN7rocprim17ROCPRIM_400000_NS6detail17trampoline_kernelINS0_14default_configENS1_22reduce_config_selectorIlEEZNS1_11reduce_implILb1ES3_PlS7_lN6hipcub16HIPCUB_304000_NS6detail34convert_binary_result_type_wrapperINS9_3SumENS9_22TransformInputIteratorIb7NonZeroIiEPilEElEEEE10hipError_tPvRmT1_T2_T3_mT4_P12ihipStream_tbEUlT_E0_NS1_11comp_targetILNS1_3genE10ELNS1_11target_archE1200ELNS1_3gpuE4ELNS1_3repE0EEENS1_30default_config_static_selectorELNS0_4arch9wavefront6targetE1EEEvSM_.numbered_sgpr, 0
	.set _ZN7rocprim17ROCPRIM_400000_NS6detail17trampoline_kernelINS0_14default_configENS1_22reduce_config_selectorIlEEZNS1_11reduce_implILb1ES3_PlS7_lN6hipcub16HIPCUB_304000_NS6detail34convert_binary_result_type_wrapperINS9_3SumENS9_22TransformInputIteratorIb7NonZeroIiEPilEElEEEE10hipError_tPvRmT1_T2_T3_mT4_P12ihipStream_tbEUlT_E0_NS1_11comp_targetILNS1_3genE10ELNS1_11target_archE1200ELNS1_3gpuE4ELNS1_3repE0EEENS1_30default_config_static_selectorELNS0_4arch9wavefront6targetE1EEEvSM_.num_named_barrier, 0
	.set _ZN7rocprim17ROCPRIM_400000_NS6detail17trampoline_kernelINS0_14default_configENS1_22reduce_config_selectorIlEEZNS1_11reduce_implILb1ES3_PlS7_lN6hipcub16HIPCUB_304000_NS6detail34convert_binary_result_type_wrapperINS9_3SumENS9_22TransformInputIteratorIb7NonZeroIiEPilEElEEEE10hipError_tPvRmT1_T2_T3_mT4_P12ihipStream_tbEUlT_E0_NS1_11comp_targetILNS1_3genE10ELNS1_11target_archE1200ELNS1_3gpuE4ELNS1_3repE0EEENS1_30default_config_static_selectorELNS0_4arch9wavefront6targetE1EEEvSM_.private_seg_size, 0
	.set _ZN7rocprim17ROCPRIM_400000_NS6detail17trampoline_kernelINS0_14default_configENS1_22reduce_config_selectorIlEEZNS1_11reduce_implILb1ES3_PlS7_lN6hipcub16HIPCUB_304000_NS6detail34convert_binary_result_type_wrapperINS9_3SumENS9_22TransformInputIteratorIb7NonZeroIiEPilEElEEEE10hipError_tPvRmT1_T2_T3_mT4_P12ihipStream_tbEUlT_E0_NS1_11comp_targetILNS1_3genE10ELNS1_11target_archE1200ELNS1_3gpuE4ELNS1_3repE0EEENS1_30default_config_static_selectorELNS0_4arch9wavefront6targetE1EEEvSM_.uses_vcc, 0
	.set _ZN7rocprim17ROCPRIM_400000_NS6detail17trampoline_kernelINS0_14default_configENS1_22reduce_config_selectorIlEEZNS1_11reduce_implILb1ES3_PlS7_lN6hipcub16HIPCUB_304000_NS6detail34convert_binary_result_type_wrapperINS9_3SumENS9_22TransformInputIteratorIb7NonZeroIiEPilEElEEEE10hipError_tPvRmT1_T2_T3_mT4_P12ihipStream_tbEUlT_E0_NS1_11comp_targetILNS1_3genE10ELNS1_11target_archE1200ELNS1_3gpuE4ELNS1_3repE0EEENS1_30default_config_static_selectorELNS0_4arch9wavefront6targetE1EEEvSM_.uses_flat_scratch, 0
	.set _ZN7rocprim17ROCPRIM_400000_NS6detail17trampoline_kernelINS0_14default_configENS1_22reduce_config_selectorIlEEZNS1_11reduce_implILb1ES3_PlS7_lN6hipcub16HIPCUB_304000_NS6detail34convert_binary_result_type_wrapperINS9_3SumENS9_22TransformInputIteratorIb7NonZeroIiEPilEElEEEE10hipError_tPvRmT1_T2_T3_mT4_P12ihipStream_tbEUlT_E0_NS1_11comp_targetILNS1_3genE10ELNS1_11target_archE1200ELNS1_3gpuE4ELNS1_3repE0EEENS1_30default_config_static_selectorELNS0_4arch9wavefront6targetE1EEEvSM_.has_dyn_sized_stack, 0
	.set _ZN7rocprim17ROCPRIM_400000_NS6detail17trampoline_kernelINS0_14default_configENS1_22reduce_config_selectorIlEEZNS1_11reduce_implILb1ES3_PlS7_lN6hipcub16HIPCUB_304000_NS6detail34convert_binary_result_type_wrapperINS9_3SumENS9_22TransformInputIteratorIb7NonZeroIiEPilEElEEEE10hipError_tPvRmT1_T2_T3_mT4_P12ihipStream_tbEUlT_E0_NS1_11comp_targetILNS1_3genE10ELNS1_11target_archE1200ELNS1_3gpuE4ELNS1_3repE0EEENS1_30default_config_static_selectorELNS0_4arch9wavefront6targetE1EEEvSM_.has_recursion, 0
	.set _ZN7rocprim17ROCPRIM_400000_NS6detail17trampoline_kernelINS0_14default_configENS1_22reduce_config_selectorIlEEZNS1_11reduce_implILb1ES3_PlS7_lN6hipcub16HIPCUB_304000_NS6detail34convert_binary_result_type_wrapperINS9_3SumENS9_22TransformInputIteratorIb7NonZeroIiEPilEElEEEE10hipError_tPvRmT1_T2_T3_mT4_P12ihipStream_tbEUlT_E0_NS1_11comp_targetILNS1_3genE10ELNS1_11target_archE1200ELNS1_3gpuE4ELNS1_3repE0EEENS1_30default_config_static_selectorELNS0_4arch9wavefront6targetE1EEEvSM_.has_indirect_call, 0
	.section	.AMDGPU.csdata,"",@progbits
; Kernel info:
; codeLenInByte = 0
; TotalNumSgprs: 6
; NumVgprs: 0
; NumAgprs: 0
; TotalNumVgprs: 0
; ScratchSize: 0
; MemoryBound: 0
; FloatMode: 240
; IeeeMode: 1
; LDSByteSize: 0 bytes/workgroup (compile time only)
; SGPRBlocks: 0
; VGPRBlocks: 0
; NumSGPRsForWavesPerEU: 6
; NumVGPRsForWavesPerEU: 1
; AccumOffset: 4
; Occupancy: 8
; WaveLimiterHint : 0
; COMPUTE_PGM_RSRC2:SCRATCH_EN: 0
; COMPUTE_PGM_RSRC2:USER_SGPR: 2
; COMPUTE_PGM_RSRC2:TRAP_HANDLER: 0
; COMPUTE_PGM_RSRC2:TGID_X_EN: 1
; COMPUTE_PGM_RSRC2:TGID_Y_EN: 0
; COMPUTE_PGM_RSRC2:TGID_Z_EN: 0
; COMPUTE_PGM_RSRC2:TIDIG_COMP_CNT: 0
; COMPUTE_PGM_RSRC3_GFX90A:ACCUM_OFFSET: 0
; COMPUTE_PGM_RSRC3_GFX90A:TG_SPLIT: 0
	.section	.text._ZN7rocprim17ROCPRIM_400000_NS6detail17trampoline_kernelINS0_14default_configENS1_22reduce_config_selectorIlEEZNS1_11reduce_implILb1ES3_PlS7_lN6hipcub16HIPCUB_304000_NS6detail34convert_binary_result_type_wrapperINS9_3SumENS9_22TransformInputIteratorIb7NonZeroIiEPilEElEEEE10hipError_tPvRmT1_T2_T3_mT4_P12ihipStream_tbEUlT_E0_NS1_11comp_targetILNS1_3genE9ELNS1_11target_archE1100ELNS1_3gpuE3ELNS1_3repE0EEENS1_30default_config_static_selectorELNS0_4arch9wavefront6targetE1EEEvSM_,"axG",@progbits,_ZN7rocprim17ROCPRIM_400000_NS6detail17trampoline_kernelINS0_14default_configENS1_22reduce_config_selectorIlEEZNS1_11reduce_implILb1ES3_PlS7_lN6hipcub16HIPCUB_304000_NS6detail34convert_binary_result_type_wrapperINS9_3SumENS9_22TransformInputIteratorIb7NonZeroIiEPilEElEEEE10hipError_tPvRmT1_T2_T3_mT4_P12ihipStream_tbEUlT_E0_NS1_11comp_targetILNS1_3genE9ELNS1_11target_archE1100ELNS1_3gpuE3ELNS1_3repE0EEENS1_30default_config_static_selectorELNS0_4arch9wavefront6targetE1EEEvSM_,comdat
	.protected	_ZN7rocprim17ROCPRIM_400000_NS6detail17trampoline_kernelINS0_14default_configENS1_22reduce_config_selectorIlEEZNS1_11reduce_implILb1ES3_PlS7_lN6hipcub16HIPCUB_304000_NS6detail34convert_binary_result_type_wrapperINS9_3SumENS9_22TransformInputIteratorIb7NonZeroIiEPilEElEEEE10hipError_tPvRmT1_T2_T3_mT4_P12ihipStream_tbEUlT_E0_NS1_11comp_targetILNS1_3genE9ELNS1_11target_archE1100ELNS1_3gpuE3ELNS1_3repE0EEENS1_30default_config_static_selectorELNS0_4arch9wavefront6targetE1EEEvSM_ ; -- Begin function _ZN7rocprim17ROCPRIM_400000_NS6detail17trampoline_kernelINS0_14default_configENS1_22reduce_config_selectorIlEEZNS1_11reduce_implILb1ES3_PlS7_lN6hipcub16HIPCUB_304000_NS6detail34convert_binary_result_type_wrapperINS9_3SumENS9_22TransformInputIteratorIb7NonZeroIiEPilEElEEEE10hipError_tPvRmT1_T2_T3_mT4_P12ihipStream_tbEUlT_E0_NS1_11comp_targetILNS1_3genE9ELNS1_11target_archE1100ELNS1_3gpuE3ELNS1_3repE0EEENS1_30default_config_static_selectorELNS0_4arch9wavefront6targetE1EEEvSM_
	.globl	_ZN7rocprim17ROCPRIM_400000_NS6detail17trampoline_kernelINS0_14default_configENS1_22reduce_config_selectorIlEEZNS1_11reduce_implILb1ES3_PlS7_lN6hipcub16HIPCUB_304000_NS6detail34convert_binary_result_type_wrapperINS9_3SumENS9_22TransformInputIteratorIb7NonZeroIiEPilEElEEEE10hipError_tPvRmT1_T2_T3_mT4_P12ihipStream_tbEUlT_E0_NS1_11comp_targetILNS1_3genE9ELNS1_11target_archE1100ELNS1_3gpuE3ELNS1_3repE0EEENS1_30default_config_static_selectorELNS0_4arch9wavefront6targetE1EEEvSM_
	.p2align	8
	.type	_ZN7rocprim17ROCPRIM_400000_NS6detail17trampoline_kernelINS0_14default_configENS1_22reduce_config_selectorIlEEZNS1_11reduce_implILb1ES3_PlS7_lN6hipcub16HIPCUB_304000_NS6detail34convert_binary_result_type_wrapperINS9_3SumENS9_22TransformInputIteratorIb7NonZeroIiEPilEElEEEE10hipError_tPvRmT1_T2_T3_mT4_P12ihipStream_tbEUlT_E0_NS1_11comp_targetILNS1_3genE9ELNS1_11target_archE1100ELNS1_3gpuE3ELNS1_3repE0EEENS1_30default_config_static_selectorELNS0_4arch9wavefront6targetE1EEEvSM_,@function
_ZN7rocprim17ROCPRIM_400000_NS6detail17trampoline_kernelINS0_14default_configENS1_22reduce_config_selectorIlEEZNS1_11reduce_implILb1ES3_PlS7_lN6hipcub16HIPCUB_304000_NS6detail34convert_binary_result_type_wrapperINS9_3SumENS9_22TransformInputIteratorIb7NonZeroIiEPilEElEEEE10hipError_tPvRmT1_T2_T3_mT4_P12ihipStream_tbEUlT_E0_NS1_11comp_targetILNS1_3genE9ELNS1_11target_archE1100ELNS1_3gpuE3ELNS1_3repE0EEENS1_30default_config_static_selectorELNS0_4arch9wavefront6targetE1EEEvSM_: ; @_ZN7rocprim17ROCPRIM_400000_NS6detail17trampoline_kernelINS0_14default_configENS1_22reduce_config_selectorIlEEZNS1_11reduce_implILb1ES3_PlS7_lN6hipcub16HIPCUB_304000_NS6detail34convert_binary_result_type_wrapperINS9_3SumENS9_22TransformInputIteratorIb7NonZeroIiEPilEElEEEE10hipError_tPvRmT1_T2_T3_mT4_P12ihipStream_tbEUlT_E0_NS1_11comp_targetILNS1_3genE9ELNS1_11target_archE1100ELNS1_3gpuE3ELNS1_3repE0EEENS1_30default_config_static_selectorELNS0_4arch9wavefront6targetE1EEEvSM_
; %bb.0:
	.section	.rodata,"a",@progbits
	.p2align	6, 0x0
	.amdhsa_kernel _ZN7rocprim17ROCPRIM_400000_NS6detail17trampoline_kernelINS0_14default_configENS1_22reduce_config_selectorIlEEZNS1_11reduce_implILb1ES3_PlS7_lN6hipcub16HIPCUB_304000_NS6detail34convert_binary_result_type_wrapperINS9_3SumENS9_22TransformInputIteratorIb7NonZeroIiEPilEElEEEE10hipError_tPvRmT1_T2_T3_mT4_P12ihipStream_tbEUlT_E0_NS1_11comp_targetILNS1_3genE9ELNS1_11target_archE1100ELNS1_3gpuE3ELNS1_3repE0EEENS1_30default_config_static_selectorELNS0_4arch9wavefront6targetE1EEEvSM_
		.amdhsa_group_segment_fixed_size 0
		.amdhsa_private_segment_fixed_size 0
		.amdhsa_kernarg_size 64
		.amdhsa_user_sgpr_count 2
		.amdhsa_user_sgpr_dispatch_ptr 0
		.amdhsa_user_sgpr_queue_ptr 0
		.amdhsa_user_sgpr_kernarg_segment_ptr 1
		.amdhsa_user_sgpr_dispatch_id 0
		.amdhsa_user_sgpr_kernarg_preload_length 0
		.amdhsa_user_sgpr_kernarg_preload_offset 0
		.amdhsa_user_sgpr_private_segment_size 0
		.amdhsa_uses_dynamic_stack 0
		.amdhsa_enable_private_segment 0
		.amdhsa_system_sgpr_workgroup_id_x 1
		.amdhsa_system_sgpr_workgroup_id_y 0
		.amdhsa_system_sgpr_workgroup_id_z 0
		.amdhsa_system_sgpr_workgroup_info 0
		.amdhsa_system_vgpr_workitem_id 0
		.amdhsa_next_free_vgpr 1
		.amdhsa_next_free_sgpr 0
		.amdhsa_accum_offset 4
		.amdhsa_reserve_vcc 0
		.amdhsa_float_round_mode_32 0
		.amdhsa_float_round_mode_16_64 0
		.amdhsa_float_denorm_mode_32 3
		.amdhsa_float_denorm_mode_16_64 3
		.amdhsa_dx10_clamp 1
		.amdhsa_ieee_mode 1
		.amdhsa_fp16_overflow 0
		.amdhsa_tg_split 0
		.amdhsa_exception_fp_ieee_invalid_op 0
		.amdhsa_exception_fp_denorm_src 0
		.amdhsa_exception_fp_ieee_div_zero 0
		.amdhsa_exception_fp_ieee_overflow 0
		.amdhsa_exception_fp_ieee_underflow 0
		.amdhsa_exception_fp_ieee_inexact 0
		.amdhsa_exception_int_div_zero 0
	.end_amdhsa_kernel
	.section	.text._ZN7rocprim17ROCPRIM_400000_NS6detail17trampoline_kernelINS0_14default_configENS1_22reduce_config_selectorIlEEZNS1_11reduce_implILb1ES3_PlS7_lN6hipcub16HIPCUB_304000_NS6detail34convert_binary_result_type_wrapperINS9_3SumENS9_22TransformInputIteratorIb7NonZeroIiEPilEElEEEE10hipError_tPvRmT1_T2_T3_mT4_P12ihipStream_tbEUlT_E0_NS1_11comp_targetILNS1_3genE9ELNS1_11target_archE1100ELNS1_3gpuE3ELNS1_3repE0EEENS1_30default_config_static_selectorELNS0_4arch9wavefront6targetE1EEEvSM_,"axG",@progbits,_ZN7rocprim17ROCPRIM_400000_NS6detail17trampoline_kernelINS0_14default_configENS1_22reduce_config_selectorIlEEZNS1_11reduce_implILb1ES3_PlS7_lN6hipcub16HIPCUB_304000_NS6detail34convert_binary_result_type_wrapperINS9_3SumENS9_22TransformInputIteratorIb7NonZeroIiEPilEElEEEE10hipError_tPvRmT1_T2_T3_mT4_P12ihipStream_tbEUlT_E0_NS1_11comp_targetILNS1_3genE9ELNS1_11target_archE1100ELNS1_3gpuE3ELNS1_3repE0EEENS1_30default_config_static_selectorELNS0_4arch9wavefront6targetE1EEEvSM_,comdat
.Lfunc_end156:
	.size	_ZN7rocprim17ROCPRIM_400000_NS6detail17trampoline_kernelINS0_14default_configENS1_22reduce_config_selectorIlEEZNS1_11reduce_implILb1ES3_PlS7_lN6hipcub16HIPCUB_304000_NS6detail34convert_binary_result_type_wrapperINS9_3SumENS9_22TransformInputIteratorIb7NonZeroIiEPilEElEEEE10hipError_tPvRmT1_T2_T3_mT4_P12ihipStream_tbEUlT_E0_NS1_11comp_targetILNS1_3genE9ELNS1_11target_archE1100ELNS1_3gpuE3ELNS1_3repE0EEENS1_30default_config_static_selectorELNS0_4arch9wavefront6targetE1EEEvSM_, .Lfunc_end156-_ZN7rocprim17ROCPRIM_400000_NS6detail17trampoline_kernelINS0_14default_configENS1_22reduce_config_selectorIlEEZNS1_11reduce_implILb1ES3_PlS7_lN6hipcub16HIPCUB_304000_NS6detail34convert_binary_result_type_wrapperINS9_3SumENS9_22TransformInputIteratorIb7NonZeroIiEPilEElEEEE10hipError_tPvRmT1_T2_T3_mT4_P12ihipStream_tbEUlT_E0_NS1_11comp_targetILNS1_3genE9ELNS1_11target_archE1100ELNS1_3gpuE3ELNS1_3repE0EEENS1_30default_config_static_selectorELNS0_4arch9wavefront6targetE1EEEvSM_
                                        ; -- End function
	.set _ZN7rocprim17ROCPRIM_400000_NS6detail17trampoline_kernelINS0_14default_configENS1_22reduce_config_selectorIlEEZNS1_11reduce_implILb1ES3_PlS7_lN6hipcub16HIPCUB_304000_NS6detail34convert_binary_result_type_wrapperINS9_3SumENS9_22TransformInputIteratorIb7NonZeroIiEPilEElEEEE10hipError_tPvRmT1_T2_T3_mT4_P12ihipStream_tbEUlT_E0_NS1_11comp_targetILNS1_3genE9ELNS1_11target_archE1100ELNS1_3gpuE3ELNS1_3repE0EEENS1_30default_config_static_selectorELNS0_4arch9wavefront6targetE1EEEvSM_.num_vgpr, 0
	.set _ZN7rocprim17ROCPRIM_400000_NS6detail17trampoline_kernelINS0_14default_configENS1_22reduce_config_selectorIlEEZNS1_11reduce_implILb1ES3_PlS7_lN6hipcub16HIPCUB_304000_NS6detail34convert_binary_result_type_wrapperINS9_3SumENS9_22TransformInputIteratorIb7NonZeroIiEPilEElEEEE10hipError_tPvRmT1_T2_T3_mT4_P12ihipStream_tbEUlT_E0_NS1_11comp_targetILNS1_3genE9ELNS1_11target_archE1100ELNS1_3gpuE3ELNS1_3repE0EEENS1_30default_config_static_selectorELNS0_4arch9wavefront6targetE1EEEvSM_.num_agpr, 0
	.set _ZN7rocprim17ROCPRIM_400000_NS6detail17trampoline_kernelINS0_14default_configENS1_22reduce_config_selectorIlEEZNS1_11reduce_implILb1ES3_PlS7_lN6hipcub16HIPCUB_304000_NS6detail34convert_binary_result_type_wrapperINS9_3SumENS9_22TransformInputIteratorIb7NonZeroIiEPilEElEEEE10hipError_tPvRmT1_T2_T3_mT4_P12ihipStream_tbEUlT_E0_NS1_11comp_targetILNS1_3genE9ELNS1_11target_archE1100ELNS1_3gpuE3ELNS1_3repE0EEENS1_30default_config_static_selectorELNS0_4arch9wavefront6targetE1EEEvSM_.numbered_sgpr, 0
	.set _ZN7rocprim17ROCPRIM_400000_NS6detail17trampoline_kernelINS0_14default_configENS1_22reduce_config_selectorIlEEZNS1_11reduce_implILb1ES3_PlS7_lN6hipcub16HIPCUB_304000_NS6detail34convert_binary_result_type_wrapperINS9_3SumENS9_22TransformInputIteratorIb7NonZeroIiEPilEElEEEE10hipError_tPvRmT1_T2_T3_mT4_P12ihipStream_tbEUlT_E0_NS1_11comp_targetILNS1_3genE9ELNS1_11target_archE1100ELNS1_3gpuE3ELNS1_3repE0EEENS1_30default_config_static_selectorELNS0_4arch9wavefront6targetE1EEEvSM_.num_named_barrier, 0
	.set _ZN7rocprim17ROCPRIM_400000_NS6detail17trampoline_kernelINS0_14default_configENS1_22reduce_config_selectorIlEEZNS1_11reduce_implILb1ES3_PlS7_lN6hipcub16HIPCUB_304000_NS6detail34convert_binary_result_type_wrapperINS9_3SumENS9_22TransformInputIteratorIb7NonZeroIiEPilEElEEEE10hipError_tPvRmT1_T2_T3_mT4_P12ihipStream_tbEUlT_E0_NS1_11comp_targetILNS1_3genE9ELNS1_11target_archE1100ELNS1_3gpuE3ELNS1_3repE0EEENS1_30default_config_static_selectorELNS0_4arch9wavefront6targetE1EEEvSM_.private_seg_size, 0
	.set _ZN7rocprim17ROCPRIM_400000_NS6detail17trampoline_kernelINS0_14default_configENS1_22reduce_config_selectorIlEEZNS1_11reduce_implILb1ES3_PlS7_lN6hipcub16HIPCUB_304000_NS6detail34convert_binary_result_type_wrapperINS9_3SumENS9_22TransformInputIteratorIb7NonZeroIiEPilEElEEEE10hipError_tPvRmT1_T2_T3_mT4_P12ihipStream_tbEUlT_E0_NS1_11comp_targetILNS1_3genE9ELNS1_11target_archE1100ELNS1_3gpuE3ELNS1_3repE0EEENS1_30default_config_static_selectorELNS0_4arch9wavefront6targetE1EEEvSM_.uses_vcc, 0
	.set _ZN7rocprim17ROCPRIM_400000_NS6detail17trampoline_kernelINS0_14default_configENS1_22reduce_config_selectorIlEEZNS1_11reduce_implILb1ES3_PlS7_lN6hipcub16HIPCUB_304000_NS6detail34convert_binary_result_type_wrapperINS9_3SumENS9_22TransformInputIteratorIb7NonZeroIiEPilEElEEEE10hipError_tPvRmT1_T2_T3_mT4_P12ihipStream_tbEUlT_E0_NS1_11comp_targetILNS1_3genE9ELNS1_11target_archE1100ELNS1_3gpuE3ELNS1_3repE0EEENS1_30default_config_static_selectorELNS0_4arch9wavefront6targetE1EEEvSM_.uses_flat_scratch, 0
	.set _ZN7rocprim17ROCPRIM_400000_NS6detail17trampoline_kernelINS0_14default_configENS1_22reduce_config_selectorIlEEZNS1_11reduce_implILb1ES3_PlS7_lN6hipcub16HIPCUB_304000_NS6detail34convert_binary_result_type_wrapperINS9_3SumENS9_22TransformInputIteratorIb7NonZeroIiEPilEElEEEE10hipError_tPvRmT1_T2_T3_mT4_P12ihipStream_tbEUlT_E0_NS1_11comp_targetILNS1_3genE9ELNS1_11target_archE1100ELNS1_3gpuE3ELNS1_3repE0EEENS1_30default_config_static_selectorELNS0_4arch9wavefront6targetE1EEEvSM_.has_dyn_sized_stack, 0
	.set _ZN7rocprim17ROCPRIM_400000_NS6detail17trampoline_kernelINS0_14default_configENS1_22reduce_config_selectorIlEEZNS1_11reduce_implILb1ES3_PlS7_lN6hipcub16HIPCUB_304000_NS6detail34convert_binary_result_type_wrapperINS9_3SumENS9_22TransformInputIteratorIb7NonZeroIiEPilEElEEEE10hipError_tPvRmT1_T2_T3_mT4_P12ihipStream_tbEUlT_E0_NS1_11comp_targetILNS1_3genE9ELNS1_11target_archE1100ELNS1_3gpuE3ELNS1_3repE0EEENS1_30default_config_static_selectorELNS0_4arch9wavefront6targetE1EEEvSM_.has_recursion, 0
	.set _ZN7rocprim17ROCPRIM_400000_NS6detail17trampoline_kernelINS0_14default_configENS1_22reduce_config_selectorIlEEZNS1_11reduce_implILb1ES3_PlS7_lN6hipcub16HIPCUB_304000_NS6detail34convert_binary_result_type_wrapperINS9_3SumENS9_22TransformInputIteratorIb7NonZeroIiEPilEElEEEE10hipError_tPvRmT1_T2_T3_mT4_P12ihipStream_tbEUlT_E0_NS1_11comp_targetILNS1_3genE9ELNS1_11target_archE1100ELNS1_3gpuE3ELNS1_3repE0EEENS1_30default_config_static_selectorELNS0_4arch9wavefront6targetE1EEEvSM_.has_indirect_call, 0
	.section	.AMDGPU.csdata,"",@progbits
; Kernel info:
; codeLenInByte = 0
; TotalNumSgprs: 6
; NumVgprs: 0
; NumAgprs: 0
; TotalNumVgprs: 0
; ScratchSize: 0
; MemoryBound: 0
; FloatMode: 240
; IeeeMode: 1
; LDSByteSize: 0 bytes/workgroup (compile time only)
; SGPRBlocks: 0
; VGPRBlocks: 0
; NumSGPRsForWavesPerEU: 6
; NumVGPRsForWavesPerEU: 1
; AccumOffset: 4
; Occupancy: 8
; WaveLimiterHint : 0
; COMPUTE_PGM_RSRC2:SCRATCH_EN: 0
; COMPUTE_PGM_RSRC2:USER_SGPR: 2
; COMPUTE_PGM_RSRC2:TRAP_HANDLER: 0
; COMPUTE_PGM_RSRC2:TGID_X_EN: 1
; COMPUTE_PGM_RSRC2:TGID_Y_EN: 0
; COMPUTE_PGM_RSRC2:TGID_Z_EN: 0
; COMPUTE_PGM_RSRC2:TIDIG_COMP_CNT: 0
; COMPUTE_PGM_RSRC3_GFX90A:ACCUM_OFFSET: 0
; COMPUTE_PGM_RSRC3_GFX90A:TG_SPLIT: 0
	.section	.text._ZN7rocprim17ROCPRIM_400000_NS6detail17trampoline_kernelINS0_14default_configENS1_22reduce_config_selectorIlEEZNS1_11reduce_implILb1ES3_PlS7_lN6hipcub16HIPCUB_304000_NS6detail34convert_binary_result_type_wrapperINS9_3SumENS9_22TransformInputIteratorIb7NonZeroIiEPilEElEEEE10hipError_tPvRmT1_T2_T3_mT4_P12ihipStream_tbEUlT_E0_NS1_11comp_targetILNS1_3genE8ELNS1_11target_archE1030ELNS1_3gpuE2ELNS1_3repE0EEENS1_30default_config_static_selectorELNS0_4arch9wavefront6targetE1EEEvSM_,"axG",@progbits,_ZN7rocprim17ROCPRIM_400000_NS6detail17trampoline_kernelINS0_14default_configENS1_22reduce_config_selectorIlEEZNS1_11reduce_implILb1ES3_PlS7_lN6hipcub16HIPCUB_304000_NS6detail34convert_binary_result_type_wrapperINS9_3SumENS9_22TransformInputIteratorIb7NonZeroIiEPilEElEEEE10hipError_tPvRmT1_T2_T3_mT4_P12ihipStream_tbEUlT_E0_NS1_11comp_targetILNS1_3genE8ELNS1_11target_archE1030ELNS1_3gpuE2ELNS1_3repE0EEENS1_30default_config_static_selectorELNS0_4arch9wavefront6targetE1EEEvSM_,comdat
	.protected	_ZN7rocprim17ROCPRIM_400000_NS6detail17trampoline_kernelINS0_14default_configENS1_22reduce_config_selectorIlEEZNS1_11reduce_implILb1ES3_PlS7_lN6hipcub16HIPCUB_304000_NS6detail34convert_binary_result_type_wrapperINS9_3SumENS9_22TransformInputIteratorIb7NonZeroIiEPilEElEEEE10hipError_tPvRmT1_T2_T3_mT4_P12ihipStream_tbEUlT_E0_NS1_11comp_targetILNS1_3genE8ELNS1_11target_archE1030ELNS1_3gpuE2ELNS1_3repE0EEENS1_30default_config_static_selectorELNS0_4arch9wavefront6targetE1EEEvSM_ ; -- Begin function _ZN7rocprim17ROCPRIM_400000_NS6detail17trampoline_kernelINS0_14default_configENS1_22reduce_config_selectorIlEEZNS1_11reduce_implILb1ES3_PlS7_lN6hipcub16HIPCUB_304000_NS6detail34convert_binary_result_type_wrapperINS9_3SumENS9_22TransformInputIteratorIb7NonZeroIiEPilEElEEEE10hipError_tPvRmT1_T2_T3_mT4_P12ihipStream_tbEUlT_E0_NS1_11comp_targetILNS1_3genE8ELNS1_11target_archE1030ELNS1_3gpuE2ELNS1_3repE0EEENS1_30default_config_static_selectorELNS0_4arch9wavefront6targetE1EEEvSM_
	.globl	_ZN7rocprim17ROCPRIM_400000_NS6detail17trampoline_kernelINS0_14default_configENS1_22reduce_config_selectorIlEEZNS1_11reduce_implILb1ES3_PlS7_lN6hipcub16HIPCUB_304000_NS6detail34convert_binary_result_type_wrapperINS9_3SumENS9_22TransformInputIteratorIb7NonZeroIiEPilEElEEEE10hipError_tPvRmT1_T2_T3_mT4_P12ihipStream_tbEUlT_E0_NS1_11comp_targetILNS1_3genE8ELNS1_11target_archE1030ELNS1_3gpuE2ELNS1_3repE0EEENS1_30default_config_static_selectorELNS0_4arch9wavefront6targetE1EEEvSM_
	.p2align	8
	.type	_ZN7rocprim17ROCPRIM_400000_NS6detail17trampoline_kernelINS0_14default_configENS1_22reduce_config_selectorIlEEZNS1_11reduce_implILb1ES3_PlS7_lN6hipcub16HIPCUB_304000_NS6detail34convert_binary_result_type_wrapperINS9_3SumENS9_22TransformInputIteratorIb7NonZeroIiEPilEElEEEE10hipError_tPvRmT1_T2_T3_mT4_P12ihipStream_tbEUlT_E0_NS1_11comp_targetILNS1_3genE8ELNS1_11target_archE1030ELNS1_3gpuE2ELNS1_3repE0EEENS1_30default_config_static_selectorELNS0_4arch9wavefront6targetE1EEEvSM_,@function
_ZN7rocprim17ROCPRIM_400000_NS6detail17trampoline_kernelINS0_14default_configENS1_22reduce_config_selectorIlEEZNS1_11reduce_implILb1ES3_PlS7_lN6hipcub16HIPCUB_304000_NS6detail34convert_binary_result_type_wrapperINS9_3SumENS9_22TransformInputIteratorIb7NonZeroIiEPilEElEEEE10hipError_tPvRmT1_T2_T3_mT4_P12ihipStream_tbEUlT_E0_NS1_11comp_targetILNS1_3genE8ELNS1_11target_archE1030ELNS1_3gpuE2ELNS1_3repE0EEENS1_30default_config_static_selectorELNS0_4arch9wavefront6targetE1EEEvSM_: ; @_ZN7rocprim17ROCPRIM_400000_NS6detail17trampoline_kernelINS0_14default_configENS1_22reduce_config_selectorIlEEZNS1_11reduce_implILb1ES3_PlS7_lN6hipcub16HIPCUB_304000_NS6detail34convert_binary_result_type_wrapperINS9_3SumENS9_22TransformInputIteratorIb7NonZeroIiEPilEElEEEE10hipError_tPvRmT1_T2_T3_mT4_P12ihipStream_tbEUlT_E0_NS1_11comp_targetILNS1_3genE8ELNS1_11target_archE1030ELNS1_3gpuE2ELNS1_3repE0EEENS1_30default_config_static_selectorELNS0_4arch9wavefront6targetE1EEEvSM_
; %bb.0:
	.section	.rodata,"a",@progbits
	.p2align	6, 0x0
	.amdhsa_kernel _ZN7rocprim17ROCPRIM_400000_NS6detail17trampoline_kernelINS0_14default_configENS1_22reduce_config_selectorIlEEZNS1_11reduce_implILb1ES3_PlS7_lN6hipcub16HIPCUB_304000_NS6detail34convert_binary_result_type_wrapperINS9_3SumENS9_22TransformInputIteratorIb7NonZeroIiEPilEElEEEE10hipError_tPvRmT1_T2_T3_mT4_P12ihipStream_tbEUlT_E0_NS1_11comp_targetILNS1_3genE8ELNS1_11target_archE1030ELNS1_3gpuE2ELNS1_3repE0EEENS1_30default_config_static_selectorELNS0_4arch9wavefront6targetE1EEEvSM_
		.amdhsa_group_segment_fixed_size 0
		.amdhsa_private_segment_fixed_size 0
		.amdhsa_kernarg_size 64
		.amdhsa_user_sgpr_count 2
		.amdhsa_user_sgpr_dispatch_ptr 0
		.amdhsa_user_sgpr_queue_ptr 0
		.amdhsa_user_sgpr_kernarg_segment_ptr 1
		.amdhsa_user_sgpr_dispatch_id 0
		.amdhsa_user_sgpr_kernarg_preload_length 0
		.amdhsa_user_sgpr_kernarg_preload_offset 0
		.amdhsa_user_sgpr_private_segment_size 0
		.amdhsa_uses_dynamic_stack 0
		.amdhsa_enable_private_segment 0
		.amdhsa_system_sgpr_workgroup_id_x 1
		.amdhsa_system_sgpr_workgroup_id_y 0
		.amdhsa_system_sgpr_workgroup_id_z 0
		.amdhsa_system_sgpr_workgroup_info 0
		.amdhsa_system_vgpr_workitem_id 0
		.amdhsa_next_free_vgpr 1
		.amdhsa_next_free_sgpr 0
		.amdhsa_accum_offset 4
		.amdhsa_reserve_vcc 0
		.amdhsa_float_round_mode_32 0
		.amdhsa_float_round_mode_16_64 0
		.amdhsa_float_denorm_mode_32 3
		.amdhsa_float_denorm_mode_16_64 3
		.amdhsa_dx10_clamp 1
		.amdhsa_ieee_mode 1
		.amdhsa_fp16_overflow 0
		.amdhsa_tg_split 0
		.amdhsa_exception_fp_ieee_invalid_op 0
		.amdhsa_exception_fp_denorm_src 0
		.amdhsa_exception_fp_ieee_div_zero 0
		.amdhsa_exception_fp_ieee_overflow 0
		.amdhsa_exception_fp_ieee_underflow 0
		.amdhsa_exception_fp_ieee_inexact 0
		.amdhsa_exception_int_div_zero 0
	.end_amdhsa_kernel
	.section	.text._ZN7rocprim17ROCPRIM_400000_NS6detail17trampoline_kernelINS0_14default_configENS1_22reduce_config_selectorIlEEZNS1_11reduce_implILb1ES3_PlS7_lN6hipcub16HIPCUB_304000_NS6detail34convert_binary_result_type_wrapperINS9_3SumENS9_22TransformInputIteratorIb7NonZeroIiEPilEElEEEE10hipError_tPvRmT1_T2_T3_mT4_P12ihipStream_tbEUlT_E0_NS1_11comp_targetILNS1_3genE8ELNS1_11target_archE1030ELNS1_3gpuE2ELNS1_3repE0EEENS1_30default_config_static_selectorELNS0_4arch9wavefront6targetE1EEEvSM_,"axG",@progbits,_ZN7rocprim17ROCPRIM_400000_NS6detail17trampoline_kernelINS0_14default_configENS1_22reduce_config_selectorIlEEZNS1_11reduce_implILb1ES3_PlS7_lN6hipcub16HIPCUB_304000_NS6detail34convert_binary_result_type_wrapperINS9_3SumENS9_22TransformInputIteratorIb7NonZeroIiEPilEElEEEE10hipError_tPvRmT1_T2_T3_mT4_P12ihipStream_tbEUlT_E0_NS1_11comp_targetILNS1_3genE8ELNS1_11target_archE1030ELNS1_3gpuE2ELNS1_3repE0EEENS1_30default_config_static_selectorELNS0_4arch9wavefront6targetE1EEEvSM_,comdat
.Lfunc_end157:
	.size	_ZN7rocprim17ROCPRIM_400000_NS6detail17trampoline_kernelINS0_14default_configENS1_22reduce_config_selectorIlEEZNS1_11reduce_implILb1ES3_PlS7_lN6hipcub16HIPCUB_304000_NS6detail34convert_binary_result_type_wrapperINS9_3SumENS9_22TransformInputIteratorIb7NonZeroIiEPilEElEEEE10hipError_tPvRmT1_T2_T3_mT4_P12ihipStream_tbEUlT_E0_NS1_11comp_targetILNS1_3genE8ELNS1_11target_archE1030ELNS1_3gpuE2ELNS1_3repE0EEENS1_30default_config_static_selectorELNS0_4arch9wavefront6targetE1EEEvSM_, .Lfunc_end157-_ZN7rocprim17ROCPRIM_400000_NS6detail17trampoline_kernelINS0_14default_configENS1_22reduce_config_selectorIlEEZNS1_11reduce_implILb1ES3_PlS7_lN6hipcub16HIPCUB_304000_NS6detail34convert_binary_result_type_wrapperINS9_3SumENS9_22TransformInputIteratorIb7NonZeroIiEPilEElEEEE10hipError_tPvRmT1_T2_T3_mT4_P12ihipStream_tbEUlT_E0_NS1_11comp_targetILNS1_3genE8ELNS1_11target_archE1030ELNS1_3gpuE2ELNS1_3repE0EEENS1_30default_config_static_selectorELNS0_4arch9wavefront6targetE1EEEvSM_
                                        ; -- End function
	.set _ZN7rocprim17ROCPRIM_400000_NS6detail17trampoline_kernelINS0_14default_configENS1_22reduce_config_selectorIlEEZNS1_11reduce_implILb1ES3_PlS7_lN6hipcub16HIPCUB_304000_NS6detail34convert_binary_result_type_wrapperINS9_3SumENS9_22TransformInputIteratorIb7NonZeroIiEPilEElEEEE10hipError_tPvRmT1_T2_T3_mT4_P12ihipStream_tbEUlT_E0_NS1_11comp_targetILNS1_3genE8ELNS1_11target_archE1030ELNS1_3gpuE2ELNS1_3repE0EEENS1_30default_config_static_selectorELNS0_4arch9wavefront6targetE1EEEvSM_.num_vgpr, 0
	.set _ZN7rocprim17ROCPRIM_400000_NS6detail17trampoline_kernelINS0_14default_configENS1_22reduce_config_selectorIlEEZNS1_11reduce_implILb1ES3_PlS7_lN6hipcub16HIPCUB_304000_NS6detail34convert_binary_result_type_wrapperINS9_3SumENS9_22TransformInputIteratorIb7NonZeroIiEPilEElEEEE10hipError_tPvRmT1_T2_T3_mT4_P12ihipStream_tbEUlT_E0_NS1_11comp_targetILNS1_3genE8ELNS1_11target_archE1030ELNS1_3gpuE2ELNS1_3repE0EEENS1_30default_config_static_selectorELNS0_4arch9wavefront6targetE1EEEvSM_.num_agpr, 0
	.set _ZN7rocprim17ROCPRIM_400000_NS6detail17trampoline_kernelINS0_14default_configENS1_22reduce_config_selectorIlEEZNS1_11reduce_implILb1ES3_PlS7_lN6hipcub16HIPCUB_304000_NS6detail34convert_binary_result_type_wrapperINS9_3SumENS9_22TransformInputIteratorIb7NonZeroIiEPilEElEEEE10hipError_tPvRmT1_T2_T3_mT4_P12ihipStream_tbEUlT_E0_NS1_11comp_targetILNS1_3genE8ELNS1_11target_archE1030ELNS1_3gpuE2ELNS1_3repE0EEENS1_30default_config_static_selectorELNS0_4arch9wavefront6targetE1EEEvSM_.numbered_sgpr, 0
	.set _ZN7rocprim17ROCPRIM_400000_NS6detail17trampoline_kernelINS0_14default_configENS1_22reduce_config_selectorIlEEZNS1_11reduce_implILb1ES3_PlS7_lN6hipcub16HIPCUB_304000_NS6detail34convert_binary_result_type_wrapperINS9_3SumENS9_22TransformInputIteratorIb7NonZeroIiEPilEElEEEE10hipError_tPvRmT1_T2_T3_mT4_P12ihipStream_tbEUlT_E0_NS1_11comp_targetILNS1_3genE8ELNS1_11target_archE1030ELNS1_3gpuE2ELNS1_3repE0EEENS1_30default_config_static_selectorELNS0_4arch9wavefront6targetE1EEEvSM_.num_named_barrier, 0
	.set _ZN7rocprim17ROCPRIM_400000_NS6detail17trampoline_kernelINS0_14default_configENS1_22reduce_config_selectorIlEEZNS1_11reduce_implILb1ES3_PlS7_lN6hipcub16HIPCUB_304000_NS6detail34convert_binary_result_type_wrapperINS9_3SumENS9_22TransformInputIteratorIb7NonZeroIiEPilEElEEEE10hipError_tPvRmT1_T2_T3_mT4_P12ihipStream_tbEUlT_E0_NS1_11comp_targetILNS1_3genE8ELNS1_11target_archE1030ELNS1_3gpuE2ELNS1_3repE0EEENS1_30default_config_static_selectorELNS0_4arch9wavefront6targetE1EEEvSM_.private_seg_size, 0
	.set _ZN7rocprim17ROCPRIM_400000_NS6detail17trampoline_kernelINS0_14default_configENS1_22reduce_config_selectorIlEEZNS1_11reduce_implILb1ES3_PlS7_lN6hipcub16HIPCUB_304000_NS6detail34convert_binary_result_type_wrapperINS9_3SumENS9_22TransformInputIteratorIb7NonZeroIiEPilEElEEEE10hipError_tPvRmT1_T2_T3_mT4_P12ihipStream_tbEUlT_E0_NS1_11comp_targetILNS1_3genE8ELNS1_11target_archE1030ELNS1_3gpuE2ELNS1_3repE0EEENS1_30default_config_static_selectorELNS0_4arch9wavefront6targetE1EEEvSM_.uses_vcc, 0
	.set _ZN7rocprim17ROCPRIM_400000_NS6detail17trampoline_kernelINS0_14default_configENS1_22reduce_config_selectorIlEEZNS1_11reduce_implILb1ES3_PlS7_lN6hipcub16HIPCUB_304000_NS6detail34convert_binary_result_type_wrapperINS9_3SumENS9_22TransformInputIteratorIb7NonZeroIiEPilEElEEEE10hipError_tPvRmT1_T2_T3_mT4_P12ihipStream_tbEUlT_E0_NS1_11comp_targetILNS1_3genE8ELNS1_11target_archE1030ELNS1_3gpuE2ELNS1_3repE0EEENS1_30default_config_static_selectorELNS0_4arch9wavefront6targetE1EEEvSM_.uses_flat_scratch, 0
	.set _ZN7rocprim17ROCPRIM_400000_NS6detail17trampoline_kernelINS0_14default_configENS1_22reduce_config_selectorIlEEZNS1_11reduce_implILb1ES3_PlS7_lN6hipcub16HIPCUB_304000_NS6detail34convert_binary_result_type_wrapperINS9_3SumENS9_22TransformInputIteratorIb7NonZeroIiEPilEElEEEE10hipError_tPvRmT1_T2_T3_mT4_P12ihipStream_tbEUlT_E0_NS1_11comp_targetILNS1_3genE8ELNS1_11target_archE1030ELNS1_3gpuE2ELNS1_3repE0EEENS1_30default_config_static_selectorELNS0_4arch9wavefront6targetE1EEEvSM_.has_dyn_sized_stack, 0
	.set _ZN7rocprim17ROCPRIM_400000_NS6detail17trampoline_kernelINS0_14default_configENS1_22reduce_config_selectorIlEEZNS1_11reduce_implILb1ES3_PlS7_lN6hipcub16HIPCUB_304000_NS6detail34convert_binary_result_type_wrapperINS9_3SumENS9_22TransformInputIteratorIb7NonZeroIiEPilEElEEEE10hipError_tPvRmT1_T2_T3_mT4_P12ihipStream_tbEUlT_E0_NS1_11comp_targetILNS1_3genE8ELNS1_11target_archE1030ELNS1_3gpuE2ELNS1_3repE0EEENS1_30default_config_static_selectorELNS0_4arch9wavefront6targetE1EEEvSM_.has_recursion, 0
	.set _ZN7rocprim17ROCPRIM_400000_NS6detail17trampoline_kernelINS0_14default_configENS1_22reduce_config_selectorIlEEZNS1_11reduce_implILb1ES3_PlS7_lN6hipcub16HIPCUB_304000_NS6detail34convert_binary_result_type_wrapperINS9_3SumENS9_22TransformInputIteratorIb7NonZeroIiEPilEElEEEE10hipError_tPvRmT1_T2_T3_mT4_P12ihipStream_tbEUlT_E0_NS1_11comp_targetILNS1_3genE8ELNS1_11target_archE1030ELNS1_3gpuE2ELNS1_3repE0EEENS1_30default_config_static_selectorELNS0_4arch9wavefront6targetE1EEEvSM_.has_indirect_call, 0
	.section	.AMDGPU.csdata,"",@progbits
; Kernel info:
; codeLenInByte = 0
; TotalNumSgprs: 6
; NumVgprs: 0
; NumAgprs: 0
; TotalNumVgprs: 0
; ScratchSize: 0
; MemoryBound: 0
; FloatMode: 240
; IeeeMode: 1
; LDSByteSize: 0 bytes/workgroup (compile time only)
; SGPRBlocks: 0
; VGPRBlocks: 0
; NumSGPRsForWavesPerEU: 6
; NumVGPRsForWavesPerEU: 1
; AccumOffset: 4
; Occupancy: 8
; WaveLimiterHint : 0
; COMPUTE_PGM_RSRC2:SCRATCH_EN: 0
; COMPUTE_PGM_RSRC2:USER_SGPR: 2
; COMPUTE_PGM_RSRC2:TRAP_HANDLER: 0
; COMPUTE_PGM_RSRC2:TGID_X_EN: 1
; COMPUTE_PGM_RSRC2:TGID_Y_EN: 0
; COMPUTE_PGM_RSRC2:TGID_Z_EN: 0
; COMPUTE_PGM_RSRC2:TIDIG_COMP_CNT: 0
; COMPUTE_PGM_RSRC3_GFX90A:ACCUM_OFFSET: 0
; COMPUTE_PGM_RSRC3_GFX90A:TG_SPLIT: 0
	.section	.text._ZN7rocprim17ROCPRIM_400000_NS6detail17trampoline_kernelINS0_14default_configENS1_22reduce_config_selectorIlEEZNS1_11reduce_implILb1ES3_PlS7_lN6hipcub16HIPCUB_304000_NS6detail34convert_binary_result_type_wrapperINS9_3SumENS9_22TransformInputIteratorIb7NonZeroIiEPilEElEEEE10hipError_tPvRmT1_T2_T3_mT4_P12ihipStream_tbEUlT_E1_NS1_11comp_targetILNS1_3genE0ELNS1_11target_archE4294967295ELNS1_3gpuE0ELNS1_3repE0EEENS1_30default_config_static_selectorELNS0_4arch9wavefront6targetE1EEEvSM_,"axG",@progbits,_ZN7rocprim17ROCPRIM_400000_NS6detail17trampoline_kernelINS0_14default_configENS1_22reduce_config_selectorIlEEZNS1_11reduce_implILb1ES3_PlS7_lN6hipcub16HIPCUB_304000_NS6detail34convert_binary_result_type_wrapperINS9_3SumENS9_22TransformInputIteratorIb7NonZeroIiEPilEElEEEE10hipError_tPvRmT1_T2_T3_mT4_P12ihipStream_tbEUlT_E1_NS1_11comp_targetILNS1_3genE0ELNS1_11target_archE4294967295ELNS1_3gpuE0ELNS1_3repE0EEENS1_30default_config_static_selectorELNS0_4arch9wavefront6targetE1EEEvSM_,comdat
	.protected	_ZN7rocprim17ROCPRIM_400000_NS6detail17trampoline_kernelINS0_14default_configENS1_22reduce_config_selectorIlEEZNS1_11reduce_implILb1ES3_PlS7_lN6hipcub16HIPCUB_304000_NS6detail34convert_binary_result_type_wrapperINS9_3SumENS9_22TransformInputIteratorIb7NonZeroIiEPilEElEEEE10hipError_tPvRmT1_T2_T3_mT4_P12ihipStream_tbEUlT_E1_NS1_11comp_targetILNS1_3genE0ELNS1_11target_archE4294967295ELNS1_3gpuE0ELNS1_3repE0EEENS1_30default_config_static_selectorELNS0_4arch9wavefront6targetE1EEEvSM_ ; -- Begin function _ZN7rocprim17ROCPRIM_400000_NS6detail17trampoline_kernelINS0_14default_configENS1_22reduce_config_selectorIlEEZNS1_11reduce_implILb1ES3_PlS7_lN6hipcub16HIPCUB_304000_NS6detail34convert_binary_result_type_wrapperINS9_3SumENS9_22TransformInputIteratorIb7NonZeroIiEPilEElEEEE10hipError_tPvRmT1_T2_T3_mT4_P12ihipStream_tbEUlT_E1_NS1_11comp_targetILNS1_3genE0ELNS1_11target_archE4294967295ELNS1_3gpuE0ELNS1_3repE0EEENS1_30default_config_static_selectorELNS0_4arch9wavefront6targetE1EEEvSM_
	.globl	_ZN7rocprim17ROCPRIM_400000_NS6detail17trampoline_kernelINS0_14default_configENS1_22reduce_config_selectorIlEEZNS1_11reduce_implILb1ES3_PlS7_lN6hipcub16HIPCUB_304000_NS6detail34convert_binary_result_type_wrapperINS9_3SumENS9_22TransformInputIteratorIb7NonZeroIiEPilEElEEEE10hipError_tPvRmT1_T2_T3_mT4_P12ihipStream_tbEUlT_E1_NS1_11comp_targetILNS1_3genE0ELNS1_11target_archE4294967295ELNS1_3gpuE0ELNS1_3repE0EEENS1_30default_config_static_selectorELNS0_4arch9wavefront6targetE1EEEvSM_
	.p2align	8
	.type	_ZN7rocprim17ROCPRIM_400000_NS6detail17trampoline_kernelINS0_14default_configENS1_22reduce_config_selectorIlEEZNS1_11reduce_implILb1ES3_PlS7_lN6hipcub16HIPCUB_304000_NS6detail34convert_binary_result_type_wrapperINS9_3SumENS9_22TransformInputIteratorIb7NonZeroIiEPilEElEEEE10hipError_tPvRmT1_T2_T3_mT4_P12ihipStream_tbEUlT_E1_NS1_11comp_targetILNS1_3genE0ELNS1_11target_archE4294967295ELNS1_3gpuE0ELNS1_3repE0EEENS1_30default_config_static_selectorELNS0_4arch9wavefront6targetE1EEEvSM_,@function
_ZN7rocprim17ROCPRIM_400000_NS6detail17trampoline_kernelINS0_14default_configENS1_22reduce_config_selectorIlEEZNS1_11reduce_implILb1ES3_PlS7_lN6hipcub16HIPCUB_304000_NS6detail34convert_binary_result_type_wrapperINS9_3SumENS9_22TransformInputIteratorIb7NonZeroIiEPilEElEEEE10hipError_tPvRmT1_T2_T3_mT4_P12ihipStream_tbEUlT_E1_NS1_11comp_targetILNS1_3genE0ELNS1_11target_archE4294967295ELNS1_3gpuE0ELNS1_3repE0EEENS1_30default_config_static_selectorELNS0_4arch9wavefront6targetE1EEEvSM_: ; @_ZN7rocprim17ROCPRIM_400000_NS6detail17trampoline_kernelINS0_14default_configENS1_22reduce_config_selectorIlEEZNS1_11reduce_implILb1ES3_PlS7_lN6hipcub16HIPCUB_304000_NS6detail34convert_binary_result_type_wrapperINS9_3SumENS9_22TransformInputIteratorIb7NonZeroIiEPilEElEEEE10hipError_tPvRmT1_T2_T3_mT4_P12ihipStream_tbEUlT_E1_NS1_11comp_targetILNS1_3genE0ELNS1_11target_archE4294967295ELNS1_3gpuE0ELNS1_3repE0EEENS1_30default_config_static_selectorELNS0_4arch9wavefront6targetE1EEEvSM_
; %bb.0:
	s_load_dword s33, s[0:1], 0x4
	s_load_dwordx8 s[36:43], s[0:1], 0x8
	s_waitcnt lgkmcnt(0)
	s_cmp_lt_i32 s33, 4
	s_cbranch_scc1 .LBB158_10
; %bb.1:
	s_cmp_gt_i32 s33, 7
	s_cbranch_scc0 .LBB158_11
; %bb.2:
	s_cmp_gt_i32 s33, 15
	s_cbranch_scc0 .LBB158_12
; %bb.3:
	s_mov_b64 s[30:31], 0
	s_cmp_eq_u32 s33, 16
	s_mov_b64 s[0:1], 0
                                        ; implicit-def: $vgpr2_vgpr3
                                        ; implicit-def: $vgpr4_vgpr5
	s_cbranch_scc0 .LBB158_13
; %bb.4:
	s_mov_b32 s3, 0
	s_lshl_b32 s0, s2, 12
	s_mov_b32 s1, s3
	s_lshr_b64 s[4:5], s[38:39], 12
	s_lshl_b64 s[6:7], s[0:1], 3
	s_add_u32 s34, s36, s6
	s_addc_u32 s35, s37, s7
	s_cmp_lg_u64 s[4:5], s[2:3]
	s_cbranch_scc0 .LBB158_21
; %bb.5:
	v_lshlrev_b32_e32 v2, 3, v0
	v_mov_b32_e32 v3, 0
	v_lshl_add_u64 v[4:5], s[34:35], 0, v[2:3]
	global_load_dwordx2 v[6:7], v2, s[34:35]
	global_load_dwordx2 v[8:9], v2, s[34:35] offset:2048
	v_add_co_u32_e32 v10, vcc, 0x1000, v4
	v_mov_b32_e32 v38, v3
	s_nop 0
	v_addc_co_u32_e32 v11, vcc, 0, v5, vcc
	v_add_co_u32_e32 v12, vcc, 0x2000, v4
	v_mov_b32_e32 v40, v3
	s_nop 0
	v_addc_co_u32_e32 v13, vcc, 0, v5, vcc
	global_load_dwordx2 v[14:15], v[10:11], off
	global_load_dwordx2 v[16:17], v[10:11], off offset:2048
	global_load_dwordx2 v[18:19], v[12:13], off
	global_load_dwordx2 v[20:21], v[12:13], off offset:2048
	v_add_co_u32_e32 v10, vcc, 0x3000, v4
	v_mov_b32_e32 v42, v3
	s_nop 0
	v_addc_co_u32_e32 v11, vcc, 0, v5, vcc
	v_add_co_u32_e32 v12, vcc, 0x4000, v4
	v_mov_b32_e32 v44, v3
	s_nop 0
	v_addc_co_u32_e32 v13, vcc, 0, v5, vcc
	global_load_dwordx2 v[22:23], v[10:11], off
	global_load_dwordx2 v[24:25], v[10:11], off offset:2048
	global_load_dwordx2 v[26:27], v[12:13], off
	global_load_dwordx2 v[28:29], v[12:13], off offset:2048
	v_add_co_u32_e32 v10, vcc, 0x5000, v4
	v_mbcnt_lo_u32_b32 v1, -1, 0
	s_nop 0
	v_addc_co_u32_e32 v11, vcc, 0, v5, vcc
	v_add_co_u32_e32 v12, vcc, 0x6000, v4
	v_mov_b32_e32 v46, v3
	s_nop 0
	v_addc_co_u32_e32 v13, vcc, 0, v5, vcc
	global_load_dwordx2 v[30:31], v[10:11], off
	global_load_dwordx2 v[32:33], v[10:11], off offset:2048
	global_load_dwordx2 v[34:35], v[12:13], off
	global_load_dwordx2 v[36:37], v[12:13], off offset:2048
	v_add_co_u32_e32 v4, vcc, 0x7000, v4
	v_mbcnt_hi_u32_b32 v1, -1, v1
	s_nop 0
	v_addc_co_u32_e32 v5, vcc, 0, v5, vcc
	global_load_dwordx2 v[10:11], v[4:5], off
	global_load_dwordx2 v[12:13], v[4:5], off offset:2048
	v_lshlrev_b32_e32 v4, 2, v1
	v_or_b32_e32 v5, 0xfc, v4
	v_cmp_eq_u32_e32 vcc, 0, v1
	s_waitcnt vmcnt(14)
	v_lshl_add_u64 v[6:7], v[8:9], 0, v[6:7]
	s_waitcnt vmcnt(13)
	v_lshl_add_u64 v[6:7], v[6:7], 0, v[14:15]
	;; [unrolled: 2-line block ×15, first 2 shown]
	s_nop 1
	v_mov_b32_dpp v2, v6 quad_perm:[1,0,3,2] row_mask:0xf bank_mask:0xf bound_ctrl:1
	v_mov_b32_dpp v39, v7 quad_perm:[1,0,3,2] row_mask:0xf bank_mask:0xf bound_ctrl:1
	v_lshl_add_u64 v[6:7], v[6:7], 0, v[2:3]
	v_lshl_add_u64 v[8:9], v[38:39], 0, v[6:7]
	s_nop 0
	v_mov_b32_dpp v2, v6 quad_perm:[2,3,0,1] row_mask:0xf bank_mask:0xf bound_ctrl:1
	v_mov_b32_dpp v41, v9 quad_perm:[2,3,0,1] row_mask:0xf bank_mask:0xf bound_ctrl:1
	v_lshl_add_u64 v[6:7], v[8:9], 0, v[2:3]
	v_lshl_add_u64 v[8:9], v[6:7], 0, v[40:41]
	s_nop 0
	v_mov_b32_dpp v2, v6 row_ror:4 row_mask:0xf bank_mask:0xf bound_ctrl:1
	v_mov_b32_dpp v43, v9 row_ror:4 row_mask:0xf bank_mask:0xf bound_ctrl:1
	v_lshl_add_u64 v[6:7], v[8:9], 0, v[2:3]
	v_lshl_add_u64 v[8:9], v[6:7], 0, v[42:43]
	s_nop 0
	v_mov_b32_dpp v2, v6 row_ror:8 row_mask:0xf bank_mask:0xf bound_ctrl:1
	v_mov_b32_dpp v45, v9 row_ror:8 row_mask:0xf bank_mask:0xf bound_ctrl:1
	v_lshl_add_u64 v[6:7], v[8:9], 0, v[2:3]
	v_lshl_add_u64 v[8:9], v[6:7], 0, v[44:45]
	s_nop 0
	v_mov_b32_dpp v2, v6 row_bcast:15 row_mask:0xf bank_mask:0xf bound_ctrl:1
	v_mov_b32_dpp v47, v9 row_bcast:15 row_mask:0xf bank_mask:0xf bound_ctrl:1
	v_lshl_add_u64 v[6:7], v[8:9], 0, v[2:3]
	v_lshl_add_u64 v[8:9], v[6:7], 0, v[46:47]
	s_nop 0
	v_mov_b32_dpp v2, v6 row_bcast:31 row_mask:0xf bank_mask:0xf bound_ctrl:1
	v_lshl_add_u64 v[2:3], v[8:9], 0, v[2:3]
	ds_bpermute_b32 v2, v5, v2
	s_nop 0
	v_add_u32_dpp v3, v9, v3 row_bcast:31 row_mask:0xf bank_mask:0xf bound_ctrl:1
	ds_bpermute_b32 v3, v5, v3
	s_and_saveexec_b64 s[4:5], vcc
	s_cbranch_execz .LBB158_7
; %bb.6:
	v_lshrrev_b32_e32 v5, 3, v0
	v_and_b32_e32 v5, 24, v5
	s_waitcnt lgkmcnt(0)
	ds_write_b64 v5, v[2:3]
.LBB158_7:
	s_or_b64 exec, exec, s[4:5]
	v_cmp_gt_u32_e32 vcc, 64, v0
	s_waitcnt lgkmcnt(0)
	s_barrier
	s_and_saveexec_b64 s[4:5], vcc
	s_cbranch_execz .LBB158_9
; %bb.8:
	v_and_b32_e32 v5, 3, v1
	v_lshlrev_b32_e32 v2, 3, v5
	ds_read_b64 v[2:3], v2
	v_cmp_ne_u32_e32 vcc, 3, v5
	v_mov_b32_e32 v8, 0
	v_mov_b32_e32 v7, v8
	v_addc_co_u32_e32 v1, vcc, 0, v1, vcc
	v_lshlrev_b32_e32 v1, 2, v1
	s_waitcnt lgkmcnt(0)
	ds_bpermute_b32 v6, v1, v2
	ds_bpermute_b32 v9, v1, v3
	v_or_b32_e32 v1, 8, v4
	s_waitcnt lgkmcnt(1)
	v_lshl_add_u64 v[2:3], v[2:3], 0, v[6:7]
	s_waitcnt lgkmcnt(0)
	v_lshl_add_u64 v[4:5], v[8:9], 0, v[2:3]
	ds_bpermute_b32 v2, v1, v2
	ds_bpermute_b32 v9, v1, v5
	v_mov_b32_e32 v3, v8
	s_waitcnt lgkmcnt(1)
	v_lshl_add_u64 v[2:3], v[4:5], 0, v[2:3]
	s_waitcnt lgkmcnt(0)
	v_lshl_add_u64 v[2:3], v[2:3], 0, v[8:9]
.LBB158_9:
	s_or_b64 exec, exec, s[4:5]
	s_mov_b64 s[4:5], 0
	s_branch .LBB158_22
.LBB158_10:
	s_mov_b64 s[0:1], 0
                                        ; implicit-def: $vgpr2_vgpr3
                                        ; implicit-def: $vgpr4_vgpr5
	s_cbranch_execnz .LBB158_121
	s_branch .LBB158_166
.LBB158_11:
	s_mov_b64 s[0:1], 0
                                        ; implicit-def: $vgpr2_vgpr3
                                        ; implicit-def: $vgpr4_vgpr5
	s_cbranch_execnz .LBB158_94
	s_branch .LBB158_120
.LBB158_12:
	s_mov_b64 s[30:31], -1
	s_mov_b64 s[0:1], 0
                                        ; implicit-def: $vgpr2_vgpr3
                                        ; implicit-def: $vgpr4_vgpr5
.LBB158_13:
	s_and_b64 vcc, exec, s[30:31]
	s_cbranch_vccz .LBB158_93
.LBB158_14:
	s_cmp_eq_u32 s33, 8
                                        ; implicit-def: $vgpr2_vgpr3
                                        ; implicit-def: $vgpr4_vgpr5
	s_cbranch_scc0 .LBB158_93
; %bb.15:
	s_mov_b32 s3, 0
	s_lshl_b32 s0, s2, 11
	s_mov_b32 s1, s3
	s_lshr_b64 s[4:5], s[38:39], 11
	s_lshl_b64 s[6:7], s[0:1], 3
	s_add_u32 s14, s36, s6
	s_addc_u32 s15, s37, s7
	s_cmp_lg_u64 s[4:5], s[2:3]
	s_cbranch_scc0 .LBB158_65
; %bb.16:
	v_lshlrev_b32_e32 v2, 3, v0
	v_mov_b32_e32 v3, 0
	v_lshl_add_u64 v[4:5], s[14:15], 0, v[2:3]
	s_waitcnt lgkmcnt(0)
	global_load_dwordx2 v[6:7], v2, s[14:15]
	global_load_dwordx2 v[8:9], v2, s[14:15] offset:2048
	v_add_co_u32_e32 v10, vcc, 0x1000, v4
	v_mov_b32_e32 v22, v3
	s_nop 0
	v_addc_co_u32_e32 v11, vcc, 0, v5, vcc
	v_add_co_u32_e32 v12, vcc, 0x2000, v4
	v_mov_b32_e32 v24, v3
	s_nop 0
	v_addc_co_u32_e32 v13, vcc, 0, v5, vcc
	global_load_dwordx2 v[14:15], v[10:11], off
	global_load_dwordx2 v[16:17], v[10:11], off offset:2048
	global_load_dwordx2 v[18:19], v[12:13], off
	global_load_dwordx2 v[20:21], v[12:13], off offset:2048
	v_add_co_u32_e32 v4, vcc, 0x3000, v4
	v_mov_b32_e32 v26, v3
	s_nop 0
	v_addc_co_u32_e32 v5, vcc, 0, v5, vcc
	global_load_dwordx2 v[10:11], v[4:5], off
	global_load_dwordx2 v[12:13], v[4:5], off offset:2048
	v_mov_b32_e32 v28, v3
	v_mbcnt_lo_u32_b32 v1, -1, 0
	v_mov_b32_e32 v30, v3
	v_mbcnt_hi_u32_b32 v1, -1, v1
	v_lshlrev_b32_e32 v4, 2, v1
	v_or_b32_e32 v5, 0xfc, v4
	v_cmp_eq_u32_e32 vcc, 0, v1
	s_waitcnt vmcnt(6)
	v_lshl_add_u64 v[6:7], v[8:9], 0, v[6:7]
	s_waitcnt vmcnt(5)
	v_lshl_add_u64 v[6:7], v[6:7], 0, v[14:15]
	;; [unrolled: 2-line block ×7, first 2 shown]
	s_nop 1
	v_mov_b32_dpp v2, v6 quad_perm:[1,0,3,2] row_mask:0xf bank_mask:0xf bound_ctrl:1
	v_mov_b32_dpp v23, v7 quad_perm:[1,0,3,2] row_mask:0xf bank_mask:0xf bound_ctrl:1
	v_lshl_add_u64 v[6:7], v[6:7], 0, v[2:3]
	v_lshl_add_u64 v[8:9], v[22:23], 0, v[6:7]
	s_nop 0
	v_mov_b32_dpp v2, v6 quad_perm:[2,3,0,1] row_mask:0xf bank_mask:0xf bound_ctrl:1
	v_mov_b32_dpp v25, v9 quad_perm:[2,3,0,1] row_mask:0xf bank_mask:0xf bound_ctrl:1
	v_lshl_add_u64 v[6:7], v[8:9], 0, v[2:3]
	v_lshl_add_u64 v[8:9], v[6:7], 0, v[24:25]
	s_nop 0
	v_mov_b32_dpp v2, v6 row_ror:4 row_mask:0xf bank_mask:0xf bound_ctrl:1
	v_mov_b32_dpp v27, v9 row_ror:4 row_mask:0xf bank_mask:0xf bound_ctrl:1
	v_lshl_add_u64 v[6:7], v[8:9], 0, v[2:3]
	v_lshl_add_u64 v[8:9], v[6:7], 0, v[26:27]
	s_nop 0
	v_mov_b32_dpp v2, v6 row_ror:8 row_mask:0xf bank_mask:0xf bound_ctrl:1
	v_mov_b32_dpp v29, v9 row_ror:8 row_mask:0xf bank_mask:0xf bound_ctrl:1
	v_lshl_add_u64 v[6:7], v[8:9], 0, v[2:3]
	v_lshl_add_u64 v[8:9], v[6:7], 0, v[28:29]
	s_nop 0
	v_mov_b32_dpp v2, v6 row_bcast:15 row_mask:0xf bank_mask:0xf bound_ctrl:1
	v_mov_b32_dpp v31, v9 row_bcast:15 row_mask:0xf bank_mask:0xf bound_ctrl:1
	v_lshl_add_u64 v[6:7], v[8:9], 0, v[2:3]
	v_lshl_add_u64 v[8:9], v[6:7], 0, v[30:31]
	s_nop 0
	v_mov_b32_dpp v2, v6 row_bcast:31 row_mask:0xf bank_mask:0xf bound_ctrl:1
	v_lshl_add_u64 v[2:3], v[8:9], 0, v[2:3]
	ds_bpermute_b32 v2, v5, v2
	s_nop 0
	v_add_u32_dpp v3, v9, v3 row_bcast:31 row_mask:0xf bank_mask:0xf bound_ctrl:1
	ds_bpermute_b32 v3, v5, v3
	s_and_saveexec_b64 s[4:5], vcc
	s_cbranch_execz .LBB158_18
; %bb.17:
	v_lshrrev_b32_e32 v5, 3, v0
	v_and_b32_e32 v5, 24, v5
	s_waitcnt lgkmcnt(0)
	ds_write_b64 v5, v[2:3] offset:128
.LBB158_18:
	s_or_b64 exec, exec, s[4:5]
	v_cmp_gt_u32_e32 vcc, 64, v0
	s_waitcnt lgkmcnt(0)
	s_barrier
	s_and_saveexec_b64 s[4:5], vcc
	s_cbranch_execz .LBB158_20
; %bb.19:
	v_and_b32_e32 v5, 3, v1
	v_lshlrev_b32_e32 v2, 3, v5
	ds_read_b64 v[2:3], v2 offset:128
	v_cmp_ne_u32_e32 vcc, 3, v5
	v_mov_b32_e32 v8, 0
	v_mov_b32_e32 v7, v8
	v_addc_co_u32_e32 v1, vcc, 0, v1, vcc
	v_lshlrev_b32_e32 v1, 2, v1
	s_waitcnt lgkmcnt(0)
	ds_bpermute_b32 v6, v1, v2
	ds_bpermute_b32 v9, v1, v3
	v_or_b32_e32 v1, 8, v4
	s_waitcnt lgkmcnt(1)
	v_lshl_add_u64 v[2:3], v[2:3], 0, v[6:7]
	s_waitcnt lgkmcnt(0)
	v_lshl_add_u64 v[4:5], v[8:9], 0, v[2:3]
	ds_bpermute_b32 v2, v1, v2
	ds_bpermute_b32 v9, v1, v5
	v_mov_b32_e32 v3, v8
	s_waitcnt lgkmcnt(1)
	v_lshl_add_u64 v[2:3], v[4:5], 0, v[2:3]
	s_waitcnt lgkmcnt(0)
	v_lshl_add_u64 v[2:3], v[2:3], 0, v[8:9]
.LBB158_20:
	s_or_b64 exec, exec, s[4:5]
	s_mov_b64 s[4:5], 0
	s_branch .LBB158_66
.LBB158_21:
	s_mov_b64 s[4:5], -1
                                        ; implicit-def: $vgpr2_vgpr3
.LBB158_22:
	s_and_b64 vcc, exec, s[4:5]
	s_cbranch_vccz .LBB158_64
; %bb.23:
	s_sub_i32 s46, s38, s0
	v_mov_b32_e32 v2, 0
	v_cmp_gt_u32_e32 vcc, s46, v0
	v_mov_b32_e32 v3, v2
	v_mov_b32_e32 v4, v2
	;; [unrolled: 1-line block ×31, first 2 shown]
	s_and_saveexec_b64 s[0:1], vcc
	s_cbranch_execz .LBB158_25
; %bb.24:
	v_lshlrev_b32_e32 v1, 3, v0
	global_load_dwordx2 v[4:5], v1, s[34:35]
	v_mov_b32_e32 v6, v2
	v_mov_b32_e32 v7, v2
	;; [unrolled: 1-line block ×30, first 2 shown]
	s_waitcnt vmcnt(0)
	v_mov_b64_e32 v[2:3], v[4:5]
	v_mov_b64_e32 v[4:5], v[6:7]
	;; [unrolled: 1-line block ×16, first 2 shown]
.LBB158_25:
	s_or_b64 exec, exec, s[0:1]
	v_or_b32_e32 v1, 0x100, v0
	v_cmp_gt_u32_e32 vcc, s46, v1
	s_and_saveexec_b64 s[0:1], vcc
	s_cbranch_execz .LBB158_27
; %bb.26:
	v_lshlrev_b32_e32 v1, 3, v0
	global_load_dwordx2 v[4:5], v1, s[34:35] offset:2048
.LBB158_27:
	s_or_b64 exec, exec, s[0:1]
	v_or_b32_e32 v1, 0x200, v0
	v_cmp_gt_u32_e64 s[0:1], s46, v1
	s_and_saveexec_b64 s[4:5], s[0:1]
	s_cbranch_execz .LBB158_29
; %bb.28:
	v_lshlrev_b32_e32 v1, 3, v1
	global_load_dwordx2 v[6:7], v1, s[34:35]
.LBB158_29:
	s_or_b64 exec, exec, s[4:5]
	v_or_b32_e32 v1, 0x300, v0
	v_cmp_gt_u32_e64 s[4:5], s46, v1
	s_and_saveexec_b64 s[6:7], s[4:5]
	s_cbranch_execz .LBB158_31
; %bb.30:
	v_lshlrev_b32_e32 v1, 3, v1
	global_load_dwordx2 v[8:9], v1, s[34:35]
.LBB158_31:
	;; [unrolled: 9-line block ×14, first 2 shown]
	s_or_b64 exec, exec, s[44:45]
	s_waitcnt vmcnt(0)
	v_cndmask_b32_e32 v5, 0, v5, vcc
	v_cndmask_b32_e32 v4, 0, v4, vcc
	v_lshl_add_u64 v[2:3], v[4:5], 0, v[2:3]
	v_cndmask_b32_e64 v5, 0, v7, s[0:1]
	v_cndmask_b32_e64 v4, 0, v6, s[0:1]
	v_lshl_add_u64 v[2:3], v[2:3], 0, v[4:5]
	v_cndmask_b32_e64 v5, 0, v9, s[4:5]
	v_cndmask_b32_e64 v4, 0, v8, s[4:5]
	;; [unrolled: 3-line block ×12, first 2 shown]
	v_mbcnt_lo_u32_b32 v1, -1, 0
	v_lshl_add_u64 v[2:3], v[2:3], 0, v[4:5]
	v_cndmask_b32_e64 v5, 0, v31, s[26:27]
	v_cndmask_b32_e64 v4, 0, v30, s[26:27]
	v_mbcnt_hi_u32_b32 v1, -1, v1
	v_lshl_add_u64 v[2:3], v[2:3], 0, v[4:5]
	v_cndmask_b32_e64 v5, 0, v33, s[28:29]
	v_cndmask_b32_e64 v4, 0, v32, s[28:29]
	v_and_b32_e32 v9, 63, v1
	v_lshl_add_u64 v[2:3], v[2:3], 0, v[4:5]
	s_min_u32 s6, s46, 0x100
	v_and_b32_e32 v4, 0xc0, v0
	v_cmp_ne_u32_e32 vcc, 63, v9
	v_sub_u32_e64 v8, s6, v4 clamp
	v_mov_b32_e32 v6, 0
	v_addc_co_u32_e32 v4, vcc, 0, v1, vcc
	v_lshlrev_b32_e32 v5, 2, v4
	ds_bpermute_b32 v4, v5, v2
	ds_bpermute_b32 v7, v5, v3
	v_add_u32_e32 v10, 1, v9
	v_mov_b32_e32 v5, v6
	v_cmp_lt_u32_e64 s[0:1], v10, v8
	s_waitcnt lgkmcnt(1)
	v_lshl_add_u64 v[4:5], v[2:3], 0, v[4:5]
	v_cmp_gt_u32_e32 vcc, 62, v9
	s_waitcnt lgkmcnt(0)
	v_lshl_add_u64 v[6:7], v[4:5], 0, v[6:7]
	v_cndmask_b32_e64 v12, v2, v4, s[0:1]
	v_cndmask_b32_e64 v4, 0, 2, vcc
	v_cndmask_b32_e64 v5, v3, v7, s[0:1]
	v_add_lshl_u32 v4, v4, v1, 2
	ds_bpermute_b32 v10, v4, v12
	ds_bpermute_b32 v11, v4, v5
	v_cndmask_b32_e64 v4, v2, v6, s[0:1]
	v_add_u32_e32 v13, 2, v9
	v_cmp_lt_u32_e32 vcc, v13, v8
	v_cmp_gt_u32_e64 s[4:5], 60, v9
	s_waitcnt lgkmcnt(0)
	v_lshl_add_u64 v[6:7], v[10:11], 0, v[4:5]
	v_cndmask_b32_e32 v5, v5, v7, vcc
	v_cndmask_b32_e64 v7, 0, 4, s[4:5]
	v_cndmask_b32_e32 v12, v12, v6, vcc
	v_add_lshl_u32 v7, v7, v1, 2
	ds_bpermute_b32 v10, v7, v12
	ds_bpermute_b32 v11, v7, v5
	v_cndmask_b32_e32 v4, v4, v6, vcc
	v_add_u32_e32 v13, 4, v9
	v_cmp_lt_u32_e32 vcc, v13, v8
	v_cmp_gt_u32_e64 s[4:5], 56, v9
	s_waitcnt lgkmcnt(0)
	v_lshl_add_u64 v[6:7], v[10:11], 0, v[4:5]
	v_cndmask_b32_e32 v5, v5, v7, vcc
	v_cndmask_b32_e64 v7, 0, 8, s[4:5]
	v_cndmask_b32_e32 v12, v12, v6, vcc
	v_add_lshl_u32 v7, v7, v1, 2
	ds_bpermute_b32 v10, v7, v12
	ds_bpermute_b32 v11, v7, v5
	v_cndmask_b32_e32 v4, v4, v6, vcc
	;; [unrolled: 12-line block ×3, first 2 shown]
	v_add_u32_e32 v13, 16, v9
	v_cmp_lt_u32_e32 vcc, v13, v8
	s_waitcnt lgkmcnt(0)
	v_lshl_add_u64 v[6:7], v[10:11], 0, v[4:5]
	v_lshlrev_b32_e32 v10, 2, v1
	v_cndmask_b32_e32 v13, v5, v7, vcc
	v_cndmask_b32_e32 v11, v12, v6, vcc
	v_or_b32_e32 v12, 0x80, v10
	ds_bpermute_b32 v11, v12, v11
	ds_bpermute_b32 v12, v12, v13
	s_and_saveexec_b64 s[4:5], s[0:1]
	s_cbranch_execz .LBB158_57
; %bb.56:
	v_add_u32_e32 v9, 32, v9
	v_cndmask_b32_e32 v3, v5, v7, vcc
	v_cndmask_b32_e32 v2, v4, v6, vcc
	v_cmp_lt_u32_e32 vcc, v9, v8
	s_waitcnt lgkmcnt(0)
	s_nop 0
	v_cndmask_b32_e32 v5, 0, v12, vcc
	v_cndmask_b32_e32 v4, 0, v11, vcc
	v_lshl_add_u64 v[2:3], v[2:3], 0, v[4:5]
.LBB158_57:
	s_or_b64 exec, exec, s[4:5]
	v_cmp_eq_u32_e32 vcc, 0, v1
	s_and_saveexec_b64 s[0:1], vcc
; %bb.58:
	v_lshrrev_b32_e32 v4, 3, v0
	v_and_b32_e32 v4, 24, v4
	ds_write_b64 v4, v[2:3] offset:160
; %bb.59:
	s_or_b64 exec, exec, s[0:1]
	v_cmp_gt_u32_e32 vcc, 4, v0
	s_waitcnt lgkmcnt(0)
	s_barrier
	s_and_saveexec_b64 s[0:1], vcc
	s_cbranch_execz .LBB158_63
; %bb.60:
	v_lshlrev_b32_e32 v2, 3, v1
	ds_read_b64 v[2:3], v2 offset:160
	v_and_b32_e32 v6, 3, v1
	v_cmp_ne_u32_e32 vcc, 3, v6
	v_mov_b32_e32 v8, 0
	s_add_i32 s6, s6, 63
	v_addc_co_u32_e32 v1, vcc, 0, v1, vcc
	v_lshlrev_b32_e32 v1, 2, v1
	s_waitcnt lgkmcnt(0)
	ds_bpermute_b32 v4, v1, v2
	ds_bpermute_b32 v9, v1, v3
	v_mov_b32_e32 v5, v8
	s_lshr_b32 s6, s6, 6
	v_add_u32_e32 v1, 1, v6
	s_waitcnt lgkmcnt(1)
	v_lshl_add_u64 v[12:13], v[2:3], 0, v[4:5]
	s_waitcnt lgkmcnt(0)
	v_lshl_add_u64 v[4:5], v[8:9], 0, v[12:13]
	v_cmp_gt_u32_e32 vcc, s6, v1
	v_or_b32_e32 v8, 8, v10
	s_nop 0
	v_cndmask_b32_e32 v7, v3, v5, vcc
	v_cndmask_b32_e32 v1, v2, v12, vcc
	ds_bpermute_b32 v1, v8, v1
	ds_bpermute_b32 v7, v8, v7
	s_and_saveexec_b64 s[4:5], vcc
	s_cbranch_execz .LBB158_62
; %bb.61:
	v_add_u32_e32 v2, 2, v6
	v_cmp_gt_u32_e32 vcc, s6, v2
	s_waitcnt lgkmcnt(0)
	s_nop 0
	v_cndmask_b32_e32 v3, 0, v7, vcc
	v_cndmask_b32_e32 v2, 0, v1, vcc
	v_lshl_add_u64 v[2:3], v[2:3], 0, v[4:5]
.LBB158_62:
	s_or_b64 exec, exec, s[4:5]
.LBB158_63:
	s_or_b64 exec, exec, s[0:1]
.LBB158_64:
	v_cmp_eq_u32_e64 s[0:1], 0, v0
	v_mov_b64_e32 v[4:5], s[2:3]
	s_and_b64 vcc, exec, s[30:31]
	s_cbranch_vccnz .LBB158_14
	s_branch .LBB158_93
.LBB158_65:
	s_mov_b64 s[4:5], -1
                                        ; implicit-def: $vgpr2_vgpr3
.LBB158_66:
	s_and_b64 vcc, exec, s[4:5]
	s_cbranch_vccz .LBB158_92
; %bb.67:
	s_sub_i32 s18, s38, s0
	v_mov_b32_e32 v2, 0
	v_cmp_gt_u32_e32 vcc, s18, v0
	v_mov_b32_e32 v3, v2
	v_mov_b32_e32 v4, v2
	;; [unrolled: 1-line block ×4, first 2 shown]
	s_waitcnt lgkmcnt(0)
	v_mov_b32_e32 v7, v2
	v_mov_b32_e32 v8, v2
	;; [unrolled: 1-line block ×11, first 2 shown]
	s_and_saveexec_b64 s[0:1], vcc
	s_cbranch_execz .LBB158_69
; %bb.68:
	v_lshlrev_b32_e32 v1, 3, v0
	global_load_dwordx2 v[4:5], v1, s[14:15]
	v_mov_b32_e32 v6, v2
	v_mov_b32_e32 v7, v2
	;; [unrolled: 1-line block ×14, first 2 shown]
	s_waitcnt vmcnt(0)
	v_mov_b64_e32 v[2:3], v[4:5]
	v_mov_b64_e32 v[4:5], v[6:7]
	;; [unrolled: 1-line block ×8, first 2 shown]
.LBB158_69:
	s_or_b64 exec, exec, s[0:1]
	v_or_b32_e32 v1, 0x100, v0
	v_cmp_gt_u32_e32 vcc, s18, v1
	s_and_saveexec_b64 s[0:1], vcc
	s_cbranch_execz .LBB158_71
; %bb.70:
	v_lshlrev_b32_e32 v1, 3, v0
	global_load_dwordx2 v[4:5], v1, s[14:15] offset:2048
.LBB158_71:
	s_or_b64 exec, exec, s[0:1]
	v_or_b32_e32 v1, 0x200, v0
	v_cmp_gt_u32_e64 s[0:1], s18, v1
	s_and_saveexec_b64 s[4:5], s[0:1]
	s_cbranch_execz .LBB158_73
; %bb.72:
	v_lshlrev_b32_e32 v1, 3, v1
	global_load_dwordx2 v[6:7], v1, s[14:15]
.LBB158_73:
	s_or_b64 exec, exec, s[4:5]
	v_or_b32_e32 v1, 0x300, v0
	v_cmp_gt_u32_e64 s[4:5], s18, v1
	s_and_saveexec_b64 s[6:7], s[4:5]
	s_cbranch_execz .LBB158_75
; %bb.74:
	v_lshlrev_b32_e32 v1, 3, v1
	global_load_dwordx2 v[8:9], v1, s[14:15]
.LBB158_75:
	;; [unrolled: 9-line block ×6, first 2 shown]
	s_or_b64 exec, exec, s[16:17]
	s_waitcnt vmcnt(0)
	v_cndmask_b32_e32 v5, 0, v5, vcc
	v_cndmask_b32_e32 v4, 0, v4, vcc
	v_lshl_add_u64 v[2:3], v[4:5], 0, v[2:3]
	v_cndmask_b32_e64 v5, 0, v7, s[0:1]
	v_cndmask_b32_e64 v4, 0, v6, s[0:1]
	v_lshl_add_u64 v[2:3], v[2:3], 0, v[4:5]
	v_cndmask_b32_e64 v5, 0, v9, s[4:5]
	v_cndmask_b32_e64 v4, 0, v8, s[4:5]
	;; [unrolled: 3-line block ×4, first 2 shown]
	v_mbcnt_lo_u32_b32 v1, -1, 0
	v_lshl_add_u64 v[2:3], v[2:3], 0, v[4:5]
	v_cndmask_b32_e64 v5, 0, v15, s[10:11]
	v_cndmask_b32_e64 v4, 0, v14, s[10:11]
	v_mbcnt_hi_u32_b32 v1, -1, v1
	v_lshl_add_u64 v[2:3], v[2:3], 0, v[4:5]
	v_cndmask_b32_e64 v5, 0, v17, s[12:13]
	v_cndmask_b32_e64 v4, 0, v16, s[12:13]
	v_and_b32_e32 v9, 63, v1
	v_lshl_add_u64 v[2:3], v[2:3], 0, v[4:5]
	s_min_u32 s6, s18, 0x100
	v_and_b32_e32 v4, 0xc0, v0
	v_cmp_ne_u32_e32 vcc, 63, v9
	v_sub_u32_e64 v8, s6, v4 clamp
	v_mov_b32_e32 v6, 0
	v_addc_co_u32_e32 v4, vcc, 0, v1, vcc
	v_lshlrev_b32_e32 v5, 2, v4
	ds_bpermute_b32 v4, v5, v2
	ds_bpermute_b32 v7, v5, v3
	v_add_u32_e32 v10, 1, v9
	v_mov_b32_e32 v5, v6
	v_cmp_lt_u32_e64 s[0:1], v10, v8
	s_waitcnt lgkmcnt(1)
	v_lshl_add_u64 v[4:5], v[2:3], 0, v[4:5]
	v_cmp_gt_u32_e32 vcc, 62, v9
	s_waitcnt lgkmcnt(0)
	v_lshl_add_u64 v[6:7], v[4:5], 0, v[6:7]
	v_cndmask_b32_e64 v12, v2, v4, s[0:1]
	v_cndmask_b32_e64 v4, 0, 2, vcc
	v_cndmask_b32_e64 v5, v3, v7, s[0:1]
	v_add_lshl_u32 v4, v4, v1, 2
	ds_bpermute_b32 v10, v4, v12
	ds_bpermute_b32 v11, v4, v5
	v_cndmask_b32_e64 v4, v2, v6, s[0:1]
	v_add_u32_e32 v13, 2, v9
	v_cmp_lt_u32_e32 vcc, v13, v8
	v_cmp_gt_u32_e64 s[4:5], 60, v9
	s_waitcnt lgkmcnt(0)
	v_lshl_add_u64 v[6:7], v[10:11], 0, v[4:5]
	v_cndmask_b32_e32 v5, v5, v7, vcc
	v_cndmask_b32_e64 v7, 0, 4, s[4:5]
	v_cndmask_b32_e32 v12, v12, v6, vcc
	v_add_lshl_u32 v7, v7, v1, 2
	ds_bpermute_b32 v10, v7, v12
	ds_bpermute_b32 v11, v7, v5
	v_cndmask_b32_e32 v4, v4, v6, vcc
	v_add_u32_e32 v13, 4, v9
	v_cmp_lt_u32_e32 vcc, v13, v8
	v_cmp_gt_u32_e64 s[4:5], 56, v9
	s_waitcnt lgkmcnt(0)
	v_lshl_add_u64 v[6:7], v[10:11], 0, v[4:5]
	v_cndmask_b32_e32 v5, v5, v7, vcc
	v_cndmask_b32_e64 v7, 0, 8, s[4:5]
	v_cndmask_b32_e32 v12, v12, v6, vcc
	v_add_lshl_u32 v7, v7, v1, 2
	ds_bpermute_b32 v10, v7, v12
	ds_bpermute_b32 v11, v7, v5
	v_cndmask_b32_e32 v4, v4, v6, vcc
	;; [unrolled: 12-line block ×3, first 2 shown]
	v_add_u32_e32 v13, 16, v9
	v_cmp_lt_u32_e32 vcc, v13, v8
	s_waitcnt lgkmcnt(0)
	v_lshl_add_u64 v[6:7], v[10:11], 0, v[4:5]
	v_lshlrev_b32_e32 v10, 2, v1
	v_cndmask_b32_e32 v13, v5, v7, vcc
	v_cndmask_b32_e32 v11, v12, v6, vcc
	v_or_b32_e32 v12, 0x80, v10
	ds_bpermute_b32 v11, v12, v11
	ds_bpermute_b32 v12, v12, v13
	s_and_saveexec_b64 s[4:5], s[0:1]
	s_cbranch_execz .LBB158_85
; %bb.84:
	v_add_u32_e32 v9, 32, v9
	v_cndmask_b32_e32 v3, v5, v7, vcc
	v_cndmask_b32_e32 v2, v4, v6, vcc
	v_cmp_lt_u32_e32 vcc, v9, v8
	s_waitcnt lgkmcnt(0)
	s_nop 0
	v_cndmask_b32_e32 v5, 0, v12, vcc
	v_cndmask_b32_e32 v4, 0, v11, vcc
	v_lshl_add_u64 v[2:3], v[2:3], 0, v[4:5]
.LBB158_85:
	s_or_b64 exec, exec, s[4:5]
	v_cmp_eq_u32_e32 vcc, 0, v1
	s_and_saveexec_b64 s[0:1], vcc
; %bb.86:
	v_lshrrev_b32_e32 v4, 3, v0
	v_and_b32_e32 v4, 24, v4
	ds_write_b64 v4, v[2:3] offset:160
; %bb.87:
	s_or_b64 exec, exec, s[0:1]
	v_cmp_gt_u32_e32 vcc, 4, v0
	s_waitcnt lgkmcnt(0)
	s_barrier
	s_and_saveexec_b64 s[0:1], vcc
	s_cbranch_execz .LBB158_91
; %bb.88:
	v_lshlrev_b32_e32 v2, 3, v1
	ds_read_b64 v[2:3], v2 offset:160
	v_and_b32_e32 v6, 3, v1
	v_cmp_ne_u32_e32 vcc, 3, v6
	v_mov_b32_e32 v8, 0
	s_add_i32 s6, s6, 63
	v_addc_co_u32_e32 v1, vcc, 0, v1, vcc
	v_lshlrev_b32_e32 v1, 2, v1
	s_waitcnt lgkmcnt(0)
	ds_bpermute_b32 v4, v1, v2
	ds_bpermute_b32 v9, v1, v3
	v_mov_b32_e32 v5, v8
	s_lshr_b32 s6, s6, 6
	v_add_u32_e32 v1, 1, v6
	s_waitcnt lgkmcnt(1)
	v_lshl_add_u64 v[12:13], v[2:3], 0, v[4:5]
	s_waitcnt lgkmcnt(0)
	v_lshl_add_u64 v[4:5], v[8:9], 0, v[12:13]
	v_cmp_gt_u32_e32 vcc, s6, v1
	v_or_b32_e32 v8, 8, v10
	s_nop 0
	v_cndmask_b32_e32 v7, v3, v5, vcc
	v_cndmask_b32_e32 v1, v2, v12, vcc
	ds_bpermute_b32 v1, v8, v1
	ds_bpermute_b32 v7, v8, v7
	s_and_saveexec_b64 s[4:5], vcc
	s_cbranch_execz .LBB158_90
; %bb.89:
	v_add_u32_e32 v2, 2, v6
	v_cmp_gt_u32_e32 vcc, s6, v2
	s_waitcnt lgkmcnt(0)
	s_nop 0
	v_cndmask_b32_e32 v3, 0, v7, vcc
	v_cndmask_b32_e32 v2, 0, v1, vcc
	v_lshl_add_u64 v[2:3], v[2:3], 0, v[4:5]
.LBB158_90:
	s_or_b64 exec, exec, s[4:5]
.LBB158_91:
	s_or_b64 exec, exec, s[0:1]
.LBB158_92:
	v_cmp_eq_u32_e64 s[0:1], 0, v0
	v_mov_b64_e32 v[4:5], s[2:3]
.LBB158_93:
	s_branch .LBB158_120
.LBB158_94:
	s_cmp_eq_u32 s33, 4
                                        ; implicit-def: $vgpr2_vgpr3
                                        ; implicit-def: $vgpr4_vgpr5
	s_cbranch_scc0 .LBB158_120
; %bb.95:
	s_mov_b32 s3, 0
	s_lshl_b32 s0, s2, 10
	s_mov_b32 s1, s3
	s_lshr_b64 s[4:5], s[38:39], 10
	s_lshl_b64 s[6:7], s[0:1], 3
	s_add_u32 s6, s36, s6
	s_addc_u32 s7, s37, s7
	s_cmp_lg_u64 s[4:5], s[2:3]
	s_cbranch_scc0 .LBB158_101
; %bb.96:
	v_lshlrev_b32_e32 v2, 3, v0
	v_mov_b32_e32 v3, 0
	v_lshl_add_u64 v[4:5], s[6:7], 0, v[2:3]
	v_add_co_u32_e32 v4, vcc, 0x1000, v4
	v_mov_b32_e32 v14, v3
	s_nop 0
	v_addc_co_u32_e32 v5, vcc, 0, v5, vcc
	s_waitcnt lgkmcnt(0)
	global_load_dwordx2 v[6:7], v2, s[6:7]
	global_load_dwordx2 v[8:9], v2, s[6:7] offset:2048
	global_load_dwordx2 v[10:11], v[4:5], off
	global_load_dwordx2 v[12:13], v[4:5], off offset:2048
	v_mov_b32_e32 v16, v3
	v_mov_b32_e32 v18, v3
	;; [unrolled: 1-line block ×3, first 2 shown]
	v_mbcnt_lo_u32_b32 v1, -1, 0
	v_mov_b32_e32 v22, v3
	v_mbcnt_hi_u32_b32 v1, -1, v1
	v_lshlrev_b32_e32 v4, 2, v1
	v_or_b32_e32 v5, 0xfc, v4
	v_cmp_eq_u32_e32 vcc, 0, v1
	s_waitcnt vmcnt(2)
	v_lshl_add_u64 v[6:7], v[8:9], 0, v[6:7]
	s_waitcnt vmcnt(1)
	v_lshl_add_u64 v[6:7], v[6:7], 0, v[10:11]
	;; [unrolled: 2-line block ×3, first 2 shown]
	s_nop 1
	v_mov_b32_dpp v2, v6 quad_perm:[1,0,3,2] row_mask:0xf bank_mask:0xf bound_ctrl:1
	v_mov_b32_dpp v15, v7 quad_perm:[1,0,3,2] row_mask:0xf bank_mask:0xf bound_ctrl:1
	v_lshl_add_u64 v[6:7], v[6:7], 0, v[2:3]
	v_lshl_add_u64 v[8:9], v[14:15], 0, v[6:7]
	s_nop 0
	v_mov_b32_dpp v2, v6 quad_perm:[2,3,0,1] row_mask:0xf bank_mask:0xf bound_ctrl:1
	v_mov_b32_dpp v17, v9 quad_perm:[2,3,0,1] row_mask:0xf bank_mask:0xf bound_ctrl:1
	v_lshl_add_u64 v[6:7], v[8:9], 0, v[2:3]
	v_lshl_add_u64 v[8:9], v[6:7], 0, v[16:17]
	s_nop 0
	v_mov_b32_dpp v2, v6 row_ror:4 row_mask:0xf bank_mask:0xf bound_ctrl:1
	v_mov_b32_dpp v19, v9 row_ror:4 row_mask:0xf bank_mask:0xf bound_ctrl:1
	v_lshl_add_u64 v[6:7], v[8:9], 0, v[2:3]
	v_lshl_add_u64 v[8:9], v[6:7], 0, v[18:19]
	s_nop 0
	v_mov_b32_dpp v2, v6 row_ror:8 row_mask:0xf bank_mask:0xf bound_ctrl:1
	v_mov_b32_dpp v21, v9 row_ror:8 row_mask:0xf bank_mask:0xf bound_ctrl:1
	v_lshl_add_u64 v[6:7], v[8:9], 0, v[2:3]
	v_lshl_add_u64 v[8:9], v[6:7], 0, v[20:21]
	s_nop 0
	v_mov_b32_dpp v2, v6 row_bcast:15 row_mask:0xf bank_mask:0xf bound_ctrl:1
	v_mov_b32_dpp v23, v9 row_bcast:15 row_mask:0xf bank_mask:0xf bound_ctrl:1
	v_lshl_add_u64 v[6:7], v[8:9], 0, v[2:3]
	v_lshl_add_u64 v[8:9], v[6:7], 0, v[22:23]
	s_nop 0
	v_mov_b32_dpp v2, v6 row_bcast:31 row_mask:0xf bank_mask:0xf bound_ctrl:1
	v_lshl_add_u64 v[2:3], v[8:9], 0, v[2:3]
	ds_bpermute_b32 v2, v5, v2
	s_nop 0
	v_add_u32_dpp v3, v9, v3 row_bcast:31 row_mask:0xf bank_mask:0xf bound_ctrl:1
	ds_bpermute_b32 v3, v5, v3
	s_and_saveexec_b64 s[4:5], vcc
	s_cbranch_execz .LBB158_98
; %bb.97:
	v_lshrrev_b32_e32 v5, 3, v0
	v_and_b32_e32 v5, 24, v5
	s_waitcnt lgkmcnt(0)
	ds_write_b64 v5, v[2:3] offset:96
.LBB158_98:
	s_or_b64 exec, exec, s[4:5]
	v_cmp_gt_u32_e32 vcc, 64, v0
	s_waitcnt lgkmcnt(0)
	s_barrier
	s_and_saveexec_b64 s[4:5], vcc
	s_cbranch_execz .LBB158_100
; %bb.99:
	v_and_b32_e32 v5, 3, v1
	v_lshlrev_b32_e32 v2, 3, v5
	ds_read_b64 v[2:3], v2 offset:96
	v_cmp_ne_u32_e32 vcc, 3, v5
	v_mov_b32_e32 v8, 0
	v_mov_b32_e32 v7, v8
	v_addc_co_u32_e32 v1, vcc, 0, v1, vcc
	v_lshlrev_b32_e32 v1, 2, v1
	s_waitcnt lgkmcnt(0)
	ds_bpermute_b32 v6, v1, v2
	ds_bpermute_b32 v9, v1, v3
	v_or_b32_e32 v1, 8, v4
	s_waitcnt lgkmcnt(1)
	v_lshl_add_u64 v[2:3], v[2:3], 0, v[6:7]
	s_waitcnt lgkmcnt(0)
	v_lshl_add_u64 v[4:5], v[8:9], 0, v[2:3]
	ds_bpermute_b32 v2, v1, v2
	ds_bpermute_b32 v9, v1, v5
	v_mov_b32_e32 v3, v8
	s_waitcnt lgkmcnt(1)
	v_lshl_add_u64 v[2:3], v[4:5], 0, v[2:3]
	s_waitcnt lgkmcnt(0)
	v_lshl_add_u64 v[2:3], v[2:3], 0, v[8:9]
.LBB158_100:
	s_or_b64 exec, exec, s[4:5]
	s_branch .LBB158_119
.LBB158_101:
                                        ; implicit-def: $vgpr2_vgpr3
	s_cbranch_execz .LBB158_119
; %bb.102:
	s_sub_i32 s10, s38, s0
	v_mov_b32_e32 v2, 0
	v_cmp_gt_u32_e32 vcc, s10, v0
	v_mov_b32_e32 v3, v2
	v_mov_b32_e32 v4, v2
	;; [unrolled: 1-line block ×4, first 2 shown]
	s_waitcnt lgkmcnt(0)
	v_mov_b32_e32 v7, v2
	v_mov_b32_e32 v8, v2
	v_mov_b32_e32 v9, v2
	s_and_saveexec_b64 s[0:1], vcc
	s_cbranch_execz .LBB158_104
; %bb.103:
	v_lshlrev_b32_e32 v1, 3, v0
	global_load_dwordx2 v[4:5], v1, s[6:7]
	v_mov_b32_e32 v6, v2
	v_mov_b32_e32 v7, v2
	;; [unrolled: 1-line block ×6, first 2 shown]
	s_waitcnt vmcnt(0)
	v_mov_b64_e32 v[2:3], v[4:5]
	v_mov_b64_e32 v[4:5], v[6:7]
	;; [unrolled: 1-line block ×4, first 2 shown]
.LBB158_104:
	s_or_b64 exec, exec, s[0:1]
	v_or_b32_e32 v1, 0x100, v0
	v_cmp_gt_u32_e32 vcc, s10, v1
	s_and_saveexec_b64 s[0:1], vcc
	s_cbranch_execz .LBB158_106
; %bb.105:
	v_lshlrev_b32_e32 v1, 3, v0
	global_load_dwordx2 v[4:5], v1, s[6:7] offset:2048
.LBB158_106:
	s_or_b64 exec, exec, s[0:1]
	v_or_b32_e32 v1, 0x200, v0
	v_cmp_gt_u32_e64 s[0:1], s10, v1
	s_and_saveexec_b64 s[4:5], s[0:1]
	s_cbranch_execz .LBB158_108
; %bb.107:
	v_lshlrev_b32_e32 v1, 3, v1
	global_load_dwordx2 v[6:7], v1, s[6:7]
.LBB158_108:
	s_or_b64 exec, exec, s[4:5]
	v_or_b32_e32 v1, 0x300, v0
	v_cmp_gt_u32_e64 s[4:5], s10, v1
	s_and_saveexec_b64 s[8:9], s[4:5]
	s_cbranch_execz .LBB158_110
; %bb.109:
	v_lshlrev_b32_e32 v1, 3, v1
	global_load_dwordx2 v[8:9], v1, s[6:7]
.LBB158_110:
	s_or_b64 exec, exec, s[8:9]
	s_waitcnt vmcnt(0)
	v_cndmask_b32_e32 v5, 0, v5, vcc
	v_cndmask_b32_e32 v4, 0, v4, vcc
	v_mbcnt_lo_u32_b32 v1, -1, 0
	v_lshl_add_u64 v[2:3], v[4:5], 0, v[2:3]
	v_cndmask_b32_e64 v5, 0, v7, s[0:1]
	v_cndmask_b32_e64 v4, 0, v6, s[0:1]
	v_mbcnt_hi_u32_b32 v1, -1, v1
	v_lshl_add_u64 v[2:3], v[2:3], 0, v[4:5]
	v_cndmask_b32_e64 v5, 0, v9, s[4:5]
	v_cndmask_b32_e64 v4, 0, v8, s[4:5]
	v_and_b32_e32 v9, 63, v1
	v_lshl_add_u64 v[2:3], v[2:3], 0, v[4:5]
	s_min_u32 s6, s10, 0x100
	v_and_b32_e32 v4, 0xc0, v0
	v_cmp_ne_u32_e32 vcc, 63, v9
	v_sub_u32_e64 v8, s6, v4 clamp
	v_mov_b32_e32 v6, 0
	v_addc_co_u32_e32 v4, vcc, 0, v1, vcc
	v_lshlrev_b32_e32 v5, 2, v4
	ds_bpermute_b32 v4, v5, v2
	ds_bpermute_b32 v7, v5, v3
	v_add_u32_e32 v10, 1, v9
	v_mov_b32_e32 v5, v6
	v_cmp_lt_u32_e64 s[0:1], v10, v8
	s_waitcnt lgkmcnt(1)
	v_lshl_add_u64 v[4:5], v[2:3], 0, v[4:5]
	v_cmp_gt_u32_e32 vcc, 62, v9
	s_waitcnt lgkmcnt(0)
	v_lshl_add_u64 v[6:7], v[6:7], 0, v[4:5]
	v_cndmask_b32_e64 v12, v2, v4, s[0:1]
	v_cndmask_b32_e64 v4, 0, 2, vcc
	v_cndmask_b32_e64 v5, v3, v7, s[0:1]
	v_add_lshl_u32 v4, v4, v1, 2
	ds_bpermute_b32 v10, v4, v12
	ds_bpermute_b32 v11, v4, v5
	v_cndmask_b32_e64 v4, v2, v6, s[0:1]
	v_add_u32_e32 v13, 2, v9
	v_cmp_lt_u32_e32 vcc, v13, v8
	v_cmp_gt_u32_e64 s[4:5], 60, v9
	s_waitcnt lgkmcnt(0)
	v_lshl_add_u64 v[6:7], v[10:11], 0, v[4:5]
	v_cndmask_b32_e32 v5, v5, v7, vcc
	v_cndmask_b32_e64 v7, 0, 4, s[4:5]
	v_cndmask_b32_e32 v12, v12, v6, vcc
	v_add_lshl_u32 v7, v7, v1, 2
	ds_bpermute_b32 v10, v7, v12
	ds_bpermute_b32 v11, v7, v5
	v_cndmask_b32_e32 v4, v4, v6, vcc
	v_add_u32_e32 v13, 4, v9
	v_cmp_lt_u32_e32 vcc, v13, v8
	v_cmp_gt_u32_e64 s[4:5], 56, v9
	s_waitcnt lgkmcnt(0)
	v_lshl_add_u64 v[6:7], v[10:11], 0, v[4:5]
	v_cndmask_b32_e32 v5, v5, v7, vcc
	v_cndmask_b32_e64 v7, 0, 8, s[4:5]
	v_cndmask_b32_e32 v12, v12, v6, vcc
	v_add_lshl_u32 v7, v7, v1, 2
	ds_bpermute_b32 v10, v7, v12
	ds_bpermute_b32 v11, v7, v5
	v_cndmask_b32_e32 v4, v4, v6, vcc
	;; [unrolled: 12-line block ×3, first 2 shown]
	v_add_u32_e32 v13, 16, v9
	v_cmp_lt_u32_e32 vcc, v13, v8
	s_waitcnt lgkmcnt(0)
	v_lshl_add_u64 v[6:7], v[10:11], 0, v[4:5]
	v_lshlrev_b32_e32 v10, 2, v1
	v_cndmask_b32_e32 v13, v5, v7, vcc
	v_cndmask_b32_e32 v11, v12, v6, vcc
	v_or_b32_e32 v12, 0x80, v10
	ds_bpermute_b32 v11, v12, v11
	ds_bpermute_b32 v12, v12, v13
	s_and_saveexec_b64 s[4:5], s[0:1]
	s_cbranch_execz .LBB158_112
; %bb.111:
	v_add_u32_e32 v9, 32, v9
	v_cndmask_b32_e32 v3, v5, v7, vcc
	v_cndmask_b32_e32 v2, v4, v6, vcc
	v_cmp_lt_u32_e32 vcc, v9, v8
	s_waitcnt lgkmcnt(0)
	s_nop 0
	v_cndmask_b32_e32 v5, 0, v12, vcc
	v_cndmask_b32_e32 v4, 0, v11, vcc
	v_lshl_add_u64 v[2:3], v[4:5], 0, v[2:3]
.LBB158_112:
	s_or_b64 exec, exec, s[4:5]
	v_cmp_eq_u32_e32 vcc, 0, v1
	s_and_saveexec_b64 s[0:1], vcc
; %bb.113:
	v_lshrrev_b32_e32 v4, 3, v0
	v_and_b32_e32 v4, 24, v4
	ds_write_b64 v4, v[2:3] offset:160
; %bb.114:
	s_or_b64 exec, exec, s[0:1]
	v_cmp_gt_u32_e32 vcc, 4, v0
	s_waitcnt lgkmcnt(0)
	s_barrier
	s_and_saveexec_b64 s[0:1], vcc
	s_cbranch_execz .LBB158_118
; %bb.115:
	v_lshlrev_b32_e32 v2, 3, v1
	ds_read_b64 v[2:3], v2 offset:160
	v_and_b32_e32 v6, 3, v1
	v_cmp_ne_u32_e32 vcc, 3, v6
	v_mov_b32_e32 v8, 0
	s_add_i32 s6, s6, 63
	v_addc_co_u32_e32 v1, vcc, 0, v1, vcc
	v_lshlrev_b32_e32 v1, 2, v1
	s_waitcnt lgkmcnt(0)
	ds_bpermute_b32 v4, v1, v2
	ds_bpermute_b32 v9, v1, v3
	v_mov_b32_e32 v5, v8
	s_lshr_b32 s6, s6, 6
	v_add_u32_e32 v1, 1, v6
	s_waitcnt lgkmcnt(1)
	v_lshl_add_u64 v[12:13], v[2:3], 0, v[4:5]
	s_waitcnt lgkmcnt(0)
	v_lshl_add_u64 v[4:5], v[8:9], 0, v[12:13]
	v_cmp_gt_u32_e32 vcc, s6, v1
	v_or_b32_e32 v8, 8, v10
	s_nop 0
	v_cndmask_b32_e32 v7, v3, v5, vcc
	v_cndmask_b32_e32 v1, v2, v12, vcc
	ds_bpermute_b32 v1, v8, v1
	ds_bpermute_b32 v7, v8, v7
	s_and_saveexec_b64 s[4:5], vcc
	s_cbranch_execz .LBB158_117
; %bb.116:
	v_add_u32_e32 v2, 2, v6
	v_cmp_gt_u32_e32 vcc, s6, v2
	s_waitcnt lgkmcnt(0)
	s_nop 0
	v_cndmask_b32_e32 v3, 0, v7, vcc
	v_cndmask_b32_e32 v2, 0, v1, vcc
	v_lshl_add_u64 v[2:3], v[2:3], 0, v[4:5]
.LBB158_117:
	s_or_b64 exec, exec, s[4:5]
.LBB158_118:
	s_or_b64 exec, exec, s[0:1]
.LBB158_119:
	v_cmp_eq_u32_e64 s[0:1], 0, v0
	v_mov_b64_e32 v[4:5], s[2:3]
.LBB158_120:
	s_branch .LBB158_166
.LBB158_121:
	s_cmp_gt_i32 s33, 1
	s_cbranch_scc0 .LBB158_129
; %bb.122:
	s_cmp_eq_u32 s33, 2
                                        ; implicit-def: $vgpr2_vgpr3
                                        ; implicit-def: $vgpr4_vgpr5
	s_cbranch_scc0 .LBB158_130
; %bb.123:
	s_mov_b32 s3, 0
	s_lshl_b32 s4, s2, 9
	s_mov_b32 s5, s3
	s_lshr_b64 s[6:7], s[38:39], 9
	s_lshl_b64 s[0:1], s[4:5], 3
	s_add_u32 s0, s36, s0
	s_addc_u32 s1, s37, s1
	s_cmp_lg_u64 s[6:7], s[2:3]
	s_cbranch_scc0 .LBB158_131
; %bb.124:
	s_waitcnt lgkmcnt(1)
	v_lshlrev_b32_e32 v1, 3, v0
	global_load_dwordx2 v[2:3], v1, s[0:1]
	s_waitcnt lgkmcnt(0)
	global_load_dwordx2 v[6:7], v1, s[0:1] offset:2048
	v_mov_b32_e32 v8, 0
	v_mov_b32_e32 v11, v8
	;; [unrolled: 1-line block ×6, first 2 shown]
	v_mbcnt_lo_u32_b32 v1, -1, 0
	v_mbcnt_hi_u32_b32 v1, -1, v1
	v_mov_b32_e32 v21, v8
	v_lshlrev_b32_e32 v4, 2, v1
	v_or_b32_e32 v5, 0xfc, v4
	v_cmp_eq_u32_e32 vcc, 0, v1
	s_waitcnt vmcnt(0)
	v_lshl_add_u64 v[2:3], v[6:7], 0, v[2:3]
	s_nop 1
	v_mov_b32_dpp v10, v2 quad_perm:[1,0,3,2] row_mask:0xf bank_mask:0xf bound_ctrl:1
	v_mov_b32_dpp v9, v3 quad_perm:[1,0,3,2] row_mask:0xf bank_mask:0xf bound_ctrl:1
	v_lshl_add_u64 v[2:3], v[2:3], 0, v[10:11]
	v_lshl_add_u64 v[6:7], v[8:9], 0, v[2:3]
	s_nop 0
	v_mov_b32_dpp v12, v2 quad_perm:[2,3,0,1] row_mask:0xf bank_mask:0xf bound_ctrl:1
	v_mov_b32_dpp v9, v7 quad_perm:[2,3,0,1] row_mask:0xf bank_mask:0xf bound_ctrl:1
	v_lshl_add_u64 v[2:3], v[6:7], 0, v[12:13]
	v_lshl_add_u64 v[6:7], v[2:3], 0, v[8:9]
	s_nop 0
	v_mov_b32_dpp v14, v2 row_ror:4 row_mask:0xf bank_mask:0xf bound_ctrl:1
	v_mov_b32_dpp v9, v7 row_ror:4 row_mask:0xf bank_mask:0xf bound_ctrl:1
	v_lshl_add_u64 v[2:3], v[6:7], 0, v[14:15]
	v_lshl_add_u64 v[6:7], v[2:3], 0, v[8:9]
	s_nop 0
	v_mov_b32_dpp v16, v2 row_ror:8 row_mask:0xf bank_mask:0xf bound_ctrl:1
	v_mov_b32_dpp v9, v7 row_ror:8 row_mask:0xf bank_mask:0xf bound_ctrl:1
	v_lshl_add_u64 v[2:3], v[6:7], 0, v[16:17]
	v_lshl_add_u64 v[6:7], v[2:3], 0, v[8:9]
	s_nop 0
	v_mov_b32_dpp v18, v2 row_bcast:15 row_mask:0xf bank_mask:0xf bound_ctrl:1
	v_mov_b32_dpp v9, v7 row_bcast:15 row_mask:0xf bank_mask:0xf bound_ctrl:1
	v_lshl_add_u64 v[2:3], v[6:7], 0, v[18:19]
	v_lshl_add_u64 v[6:7], v[2:3], 0, v[8:9]
	s_nop 0
	v_mov_b32_dpp v20, v2 row_bcast:31 row_mask:0xf bank_mask:0xf bound_ctrl:1
	v_lshl_add_u64 v[2:3], v[6:7], 0, v[20:21]
	ds_bpermute_b32 v2, v5, v2
	s_nop 0
	v_add_u32_dpp v3, v7, v3 row_bcast:31 row_mask:0xf bank_mask:0xf bound_ctrl:1
	ds_bpermute_b32 v3, v5, v3
	s_and_saveexec_b64 s[6:7], vcc
	s_cbranch_execz .LBB158_126
; %bb.125:
	v_lshrrev_b32_e32 v5, 3, v0
	v_and_b32_e32 v5, 24, v5
	s_waitcnt lgkmcnt(0)
	ds_write_b64 v5, v[2:3] offset:64
.LBB158_126:
	s_or_b64 exec, exec, s[6:7]
	v_cmp_gt_u32_e32 vcc, 64, v0
	s_waitcnt lgkmcnt(0)
	s_barrier
	s_and_saveexec_b64 s[6:7], vcc
	s_cbranch_execz .LBB158_128
; %bb.127:
	v_and_b32_e32 v5, 3, v1
	v_lshlrev_b32_e32 v2, 3, v5
	ds_read_b64 v[2:3], v2 offset:64
	v_cmp_ne_u32_e32 vcc, 3, v5
	v_mov_b32_e32 v8, 0
	v_mov_b32_e32 v7, v8
	v_addc_co_u32_e32 v1, vcc, 0, v1, vcc
	v_lshlrev_b32_e32 v1, 2, v1
	s_waitcnt lgkmcnt(0)
	ds_bpermute_b32 v6, v1, v2
	ds_bpermute_b32 v9, v1, v3
	v_or_b32_e32 v1, 8, v4
	s_waitcnt lgkmcnt(1)
	v_lshl_add_u64 v[2:3], v[2:3], 0, v[6:7]
	s_waitcnt lgkmcnt(0)
	v_lshl_add_u64 v[4:5], v[8:9], 0, v[2:3]
	ds_bpermute_b32 v2, v1, v2
	ds_bpermute_b32 v9, v1, v5
	v_mov_b32_e32 v3, v8
	s_waitcnt lgkmcnt(1)
	v_lshl_add_u64 v[2:3], v[4:5], 0, v[2:3]
	s_waitcnt lgkmcnt(0)
	v_lshl_add_u64 v[2:3], v[2:3], 0, v[8:9]
.LBB158_128:
	s_or_b64 exec, exec, s[6:7]
	s_branch .LBB158_145
.LBB158_129:
                                        ; implicit-def: $vgpr2_vgpr3
                                        ; implicit-def: $vgpr4_vgpr5
	s_cbranch_execnz .LBB158_146
	s_branch .LBB158_166
.LBB158_130:
	s_branch .LBB158_166
.LBB158_131:
                                        ; implicit-def: $vgpr2_vgpr3
	s_cbranch_execz .LBB158_145
; %bb.132:
	s_sub_i32 s6, s38, s4
	v_mov_b32_e32 v2, 0
	v_cmp_gt_u32_e32 vcc, s6, v0
	v_mov_b32_e32 v3, v2
	v_mov_b32_e32 v4, v2
	;; [unrolled: 1-line block ×3, first 2 shown]
	s_and_saveexec_b64 s[4:5], vcc
	s_cbranch_execz .LBB158_134
; %bb.133:
	s_waitcnt lgkmcnt(1)
	v_lshlrev_b32_e32 v1, 3, v0
	global_load_dwordx2 v[4:5], v1, s[0:1]
	v_mov_b32_e32 v6, v2
	s_waitcnt lgkmcnt(0)
	v_mov_b32_e32 v7, v2
	s_waitcnt vmcnt(0)
	v_mov_b64_e32 v[2:3], v[4:5]
	v_mov_b64_e32 v[4:5], v[6:7]
.LBB158_134:
	s_or_b64 exec, exec, s[4:5]
	s_waitcnt lgkmcnt(1)
	v_or_b32_e32 v1, 0x100, v0
	v_cmp_gt_u32_e32 vcc, s6, v1
	s_and_saveexec_b64 s[4:5], vcc
	s_cbranch_execz .LBB158_136
; %bb.135:
	v_lshlrev_b32_e32 v1, 3, v0
	global_load_dwordx2 v[4:5], v1, s[0:1] offset:2048
.LBB158_136:
	s_or_b64 exec, exec, s[4:5]
	v_mbcnt_lo_u32_b32 v1, -1, 0
	v_mbcnt_hi_u32_b32 v1, -1, v1
	s_waitcnt vmcnt(0)
	v_cndmask_b32_e32 v5, 0, v5, vcc
	v_cndmask_b32_e32 v4, 0, v4, vcc
	v_and_b32_e32 v9, 63, v1
	v_lshl_add_u64 v[2:3], v[4:5], 0, v[2:3]
	s_min_u32 s6, s6, 0x100
	v_and_b32_e32 v4, 0xc0, v0
	v_cmp_ne_u32_e32 vcc, 63, v9
	v_sub_u32_e64 v8, s6, v4 clamp
	v_mov_b32_e32 v6, 0
	v_addc_co_u32_e32 v4, vcc, 0, v1, vcc
	v_lshlrev_b32_e32 v5, 2, v4
	ds_bpermute_b32 v4, v5, v2
	s_waitcnt lgkmcnt(1)
	ds_bpermute_b32 v7, v5, v3
	v_add_u32_e32 v10, 1, v9
	v_mov_b32_e32 v5, v6
	v_cmp_lt_u32_e64 s[0:1], v10, v8
	s_waitcnt lgkmcnt(1)
	v_lshl_add_u64 v[4:5], v[2:3], 0, v[4:5]
	v_cmp_gt_u32_e32 vcc, 62, v9
	s_waitcnt lgkmcnt(0)
	v_lshl_add_u64 v[6:7], v[6:7], 0, v[4:5]
	v_cndmask_b32_e64 v12, v2, v4, s[0:1]
	v_cndmask_b32_e64 v4, 0, 2, vcc
	v_cndmask_b32_e64 v5, v3, v7, s[0:1]
	v_add_lshl_u32 v4, v4, v1, 2
	ds_bpermute_b32 v10, v4, v12
	ds_bpermute_b32 v11, v4, v5
	v_cndmask_b32_e64 v4, v2, v6, s[0:1]
	v_add_u32_e32 v13, 2, v9
	v_cmp_lt_u32_e32 vcc, v13, v8
	v_cmp_gt_u32_e64 s[4:5], 60, v9
	s_waitcnt lgkmcnt(0)
	v_lshl_add_u64 v[6:7], v[10:11], 0, v[4:5]
	v_cndmask_b32_e32 v5, v5, v7, vcc
	v_cndmask_b32_e64 v7, 0, 4, s[4:5]
	v_cndmask_b32_e32 v12, v12, v6, vcc
	v_add_lshl_u32 v7, v7, v1, 2
	ds_bpermute_b32 v10, v7, v12
	ds_bpermute_b32 v11, v7, v5
	v_cndmask_b32_e32 v4, v4, v6, vcc
	v_add_u32_e32 v13, 4, v9
	v_cmp_lt_u32_e32 vcc, v13, v8
	v_cmp_gt_u32_e64 s[4:5], 56, v9
	s_waitcnt lgkmcnt(0)
	v_lshl_add_u64 v[6:7], v[10:11], 0, v[4:5]
	v_cndmask_b32_e32 v5, v5, v7, vcc
	v_cndmask_b32_e64 v7, 0, 8, s[4:5]
	v_cndmask_b32_e32 v12, v12, v6, vcc
	v_add_lshl_u32 v7, v7, v1, 2
	ds_bpermute_b32 v10, v7, v12
	ds_bpermute_b32 v11, v7, v5
	v_cndmask_b32_e32 v4, v4, v6, vcc
	;; [unrolled: 12-line block ×3, first 2 shown]
	v_add_u32_e32 v13, 16, v9
	v_cmp_lt_u32_e32 vcc, v13, v8
	s_waitcnt lgkmcnt(0)
	v_lshl_add_u64 v[6:7], v[10:11], 0, v[4:5]
	v_lshlrev_b32_e32 v10, 2, v1
	v_cndmask_b32_e32 v13, v5, v7, vcc
	v_cndmask_b32_e32 v11, v12, v6, vcc
	v_or_b32_e32 v12, 0x80, v10
	ds_bpermute_b32 v11, v12, v11
	ds_bpermute_b32 v12, v12, v13
	s_and_saveexec_b64 s[4:5], s[0:1]
	s_cbranch_execz .LBB158_138
; %bb.137:
	v_add_u32_e32 v9, 32, v9
	v_cndmask_b32_e32 v3, v5, v7, vcc
	v_cndmask_b32_e32 v2, v4, v6, vcc
	v_cmp_lt_u32_e32 vcc, v9, v8
	s_waitcnt lgkmcnt(0)
	s_nop 0
	v_cndmask_b32_e32 v5, 0, v12, vcc
	v_cndmask_b32_e32 v4, 0, v11, vcc
	v_lshl_add_u64 v[2:3], v[4:5], 0, v[2:3]
.LBB158_138:
	s_or_b64 exec, exec, s[4:5]
	v_cmp_eq_u32_e32 vcc, 0, v1
	s_and_saveexec_b64 s[0:1], vcc
; %bb.139:
	v_lshrrev_b32_e32 v4, 3, v0
	v_and_b32_e32 v4, 24, v4
	ds_write_b64 v4, v[2:3] offset:160
; %bb.140:
	s_or_b64 exec, exec, s[0:1]
	v_cmp_gt_u32_e32 vcc, 4, v0
	s_waitcnt lgkmcnt(0)
	s_barrier
	s_and_saveexec_b64 s[0:1], vcc
	s_cbranch_execz .LBB158_144
; %bb.141:
	v_lshlrev_b32_e32 v2, 3, v1
	ds_read_b64 v[2:3], v2 offset:160
	v_and_b32_e32 v6, 3, v1
	v_cmp_ne_u32_e32 vcc, 3, v6
	v_mov_b32_e32 v8, 0
	s_add_i32 s6, s6, 63
	v_addc_co_u32_e32 v1, vcc, 0, v1, vcc
	v_lshlrev_b32_e32 v1, 2, v1
	s_waitcnt lgkmcnt(0)
	ds_bpermute_b32 v4, v1, v2
	ds_bpermute_b32 v9, v1, v3
	v_mov_b32_e32 v5, v8
	s_lshr_b32 s6, s6, 6
	v_add_u32_e32 v1, 1, v6
	s_waitcnt lgkmcnt(1)
	v_lshl_add_u64 v[12:13], v[2:3], 0, v[4:5]
	s_waitcnt lgkmcnt(0)
	v_lshl_add_u64 v[4:5], v[8:9], 0, v[12:13]
	v_cmp_gt_u32_e32 vcc, s6, v1
	v_or_b32_e32 v8, 8, v10
	s_nop 0
	v_cndmask_b32_e32 v7, v3, v5, vcc
	v_cndmask_b32_e32 v1, v2, v12, vcc
	ds_bpermute_b32 v1, v8, v1
	ds_bpermute_b32 v7, v8, v7
	s_and_saveexec_b64 s[4:5], vcc
	s_cbranch_execz .LBB158_143
; %bb.142:
	v_add_u32_e32 v2, 2, v6
	v_cmp_gt_u32_e32 vcc, s6, v2
	s_waitcnt lgkmcnt(0)
	s_nop 0
	v_cndmask_b32_e32 v3, 0, v7, vcc
	v_cndmask_b32_e32 v2, 0, v1, vcc
	v_lshl_add_u64 v[2:3], v[2:3], 0, v[4:5]
.LBB158_143:
	s_or_b64 exec, exec, s[4:5]
.LBB158_144:
	s_or_b64 exec, exec, s[0:1]
.LBB158_145:
	v_cmp_eq_u32_e64 s[0:1], 0, v0
	v_mov_b64_e32 v[4:5], s[2:3]
	s_branch .LBB158_166
.LBB158_146:
	s_cmp_eq_u32 s33, 1
                                        ; implicit-def: $vgpr2_vgpr3
                                        ; implicit-def: $vgpr4_vgpr5
	s_cbranch_scc0 .LBB158_166
; %bb.147:
	s_mov_b32 s1, 0
	s_lshl_b32 s0, s2, 8
	s_mov_b32 s3, s1
	s_lshr_b64 s[4:5], s[38:39], 8
	s_cmp_lg_u64 s[4:5], s[2:3]
	s_waitcnt lgkmcnt(1)
	v_mbcnt_lo_u32_b32 v1, -1, 0
	s_cbranch_scc0 .LBB158_153
; %bb.148:
	s_lshl_b64 s[4:5], s[0:1], 3
	s_add_u32 s4, s36, s4
	s_addc_u32 s5, s37, s5
	v_lshlrev_b32_e32 v2, 3, v0
	global_load_dwordx2 v[2:3], v2, s[4:5]
	v_mov_b32_e32 v6, 0
	v_mov_b32_e32 v9, v6
	;; [unrolled: 1-line block ×6, first 2 shown]
	v_mbcnt_hi_u32_b32 v4, -1, v1
	v_mov_b32_e32 v19, v6
	v_lshlrev_b32_e32 v5, 2, v4
	v_or_b32_e32 v20, 0xfc, v5
	v_cmp_eq_u32_e32 vcc, 0, v4
	s_waitcnt vmcnt(0)
	v_mov_b32_dpp v8, v2 quad_perm:[1,0,3,2] row_mask:0xf bank_mask:0xf bound_ctrl:1
	s_waitcnt lgkmcnt(0)
	v_mov_b32_dpp v7, v3 quad_perm:[1,0,3,2] row_mask:0xf bank_mask:0xf bound_ctrl:1
	v_lshl_add_u64 v[2:3], v[2:3], 0, v[8:9]
	v_lshl_add_u64 v[8:9], v[6:7], 0, v[2:3]
	s_nop 0
	v_mov_b32_dpp v10, v2 quad_perm:[2,3,0,1] row_mask:0xf bank_mask:0xf bound_ctrl:1
	v_mov_b32_dpp v7, v9 quad_perm:[2,3,0,1] row_mask:0xf bank_mask:0xf bound_ctrl:1
	v_lshl_add_u64 v[2:3], v[8:9], 0, v[10:11]
	v_lshl_add_u64 v[8:9], v[2:3], 0, v[6:7]
	s_nop 0
	v_mov_b32_dpp v12, v2 row_ror:4 row_mask:0xf bank_mask:0xf bound_ctrl:1
	v_mov_b32_dpp v7, v9 row_ror:4 row_mask:0xf bank_mask:0xf bound_ctrl:1
	v_lshl_add_u64 v[2:3], v[8:9], 0, v[12:13]
	v_lshl_add_u64 v[8:9], v[2:3], 0, v[6:7]
	s_nop 0
	v_mov_b32_dpp v14, v2 row_ror:8 row_mask:0xf bank_mask:0xf bound_ctrl:1
	v_mov_b32_dpp v7, v9 row_ror:8 row_mask:0xf bank_mask:0xf bound_ctrl:1
	v_lshl_add_u64 v[2:3], v[8:9], 0, v[14:15]
	v_lshl_add_u64 v[8:9], v[2:3], 0, v[6:7]
	s_nop 0
	v_mov_b32_dpp v16, v2 row_bcast:15 row_mask:0xf bank_mask:0xf bound_ctrl:1
	v_mov_b32_dpp v7, v9 row_bcast:15 row_mask:0xf bank_mask:0xf bound_ctrl:1
	v_lshl_add_u64 v[2:3], v[8:9], 0, v[16:17]
	v_lshl_add_u64 v[6:7], v[2:3], 0, v[6:7]
	s_nop 0
	v_mov_b32_dpp v18, v2 row_bcast:31 row_mask:0xf bank_mask:0xf bound_ctrl:1
	v_lshl_add_u64 v[2:3], v[6:7], 0, v[18:19]
	ds_bpermute_b32 v2, v20, v2
	s_nop 0
	v_add_u32_dpp v3, v7, v3 row_bcast:31 row_mask:0xf bank_mask:0xf bound_ctrl:1
	ds_bpermute_b32 v3, v20, v3
	s_and_saveexec_b64 s[4:5], vcc
	s_cbranch_execz .LBB158_150
; %bb.149:
	v_lshrrev_b32_e32 v6, 3, v0
	v_and_b32_e32 v6, 24, v6
	s_waitcnt lgkmcnt(0)
	ds_write_b64 v6, v[2:3] offset:32
.LBB158_150:
	s_or_b64 exec, exec, s[4:5]
	v_cmp_gt_u32_e32 vcc, 64, v0
	s_waitcnt lgkmcnt(0)
	s_barrier
	s_and_saveexec_b64 s[4:5], vcc
	s_cbranch_execz .LBB158_152
; %bb.151:
	v_and_b32_e32 v6, 3, v4
	v_lshlrev_b32_e32 v2, 3, v6
	ds_read_b64 v[2:3], v2 offset:32
	v_cmp_ne_u32_e32 vcc, 3, v6
	v_or_b32_e32 v8, 8, v5
	s_nop 0
	v_addc_co_u32_e32 v4, vcc, 0, v4, vcc
	v_lshlrev_b32_e32 v6, 2, v4
	s_waitcnt lgkmcnt(0)
	ds_bpermute_b32 v4, v6, v2
	ds_bpermute_b32 v7, v6, v3
	v_mov_b32_e32 v6, 0
	v_mov_b32_e32 v5, v6
	s_waitcnt lgkmcnt(1)
	v_lshl_add_u64 v[2:3], v[2:3], 0, v[4:5]
	s_waitcnt lgkmcnt(0)
	v_lshl_add_u64 v[4:5], v[6:7], 0, v[2:3]
	ds_bpermute_b32 v2, v8, v2
	ds_bpermute_b32 v7, v8, v5
	v_mov_b32_e32 v3, v6
	s_waitcnt lgkmcnt(1)
	v_lshl_add_u64 v[2:3], v[4:5], 0, v[2:3]
	s_waitcnt lgkmcnt(0)
	v_lshl_add_u64 v[2:3], v[2:3], 0, v[6:7]
.LBB158_152:
	s_or_b64 exec, exec, s[4:5]
	s_branch .LBB158_165
.LBB158_153:
                                        ; implicit-def: $vgpr2_vgpr3
	s_cbranch_execz .LBB158_165
; %bb.154:
	s_sub_i32 s6, s38, s0
	v_cmp_gt_u32_e32 vcc, s6, v0
                                        ; implicit-def: $vgpr2_vgpr3
	s_and_saveexec_b64 s[4:5], vcc
	s_cbranch_execz .LBB158_156
; %bb.155:
	s_lshl_b64 s[0:1], s[0:1], 3
	s_add_u32 s0, s36, s0
	s_addc_u32 s1, s37, s1
	v_lshlrev_b32_e32 v2, 3, v0
	global_load_dwordx2 v[2:3], v2, s[0:1]
.LBB158_156:
	s_or_b64 exec, exec, s[4:5]
	v_mbcnt_hi_u32_b32 v1, -1, v1
	v_and_b32_e32 v9, 63, v1
	s_min_u32 s6, s6, 0x100
	v_and_b32_e32 v4, 0xc0, v0
	v_cmp_ne_u32_e32 vcc, 63, v9
	v_sub_u32_e64 v8, s6, v4 clamp
	v_mov_b32_e32 v6, 0
	v_addc_co_u32_e32 v4, vcc, 0, v1, vcc
	v_lshlrev_b32_e32 v5, 2, v4
	s_waitcnt vmcnt(0)
	ds_bpermute_b32 v4, v5, v2
	s_waitcnt lgkmcnt(1)
	ds_bpermute_b32 v7, v5, v3
	v_add_u32_e32 v10, 1, v9
	v_mov_b32_e32 v5, v6
	v_cmp_lt_u32_e64 s[0:1], v10, v8
	s_waitcnt lgkmcnt(1)
	v_lshl_add_u64 v[4:5], v[2:3], 0, v[4:5]
	v_cmp_gt_u32_e32 vcc, 62, v9
	s_waitcnt lgkmcnt(0)
	v_lshl_add_u64 v[6:7], v[6:7], 0, v[4:5]
	v_cndmask_b32_e64 v12, v2, v4, s[0:1]
	v_cndmask_b32_e64 v4, 0, 2, vcc
	v_cndmask_b32_e64 v5, v3, v7, s[0:1]
	v_add_lshl_u32 v4, v4, v1, 2
	ds_bpermute_b32 v10, v4, v12
	ds_bpermute_b32 v11, v4, v5
	v_cndmask_b32_e64 v4, v2, v6, s[0:1]
	v_add_u32_e32 v13, 2, v9
	v_cmp_lt_u32_e32 vcc, v13, v8
	v_cmp_gt_u32_e64 s[4:5], 60, v9
	s_waitcnt lgkmcnt(0)
	v_lshl_add_u64 v[6:7], v[10:11], 0, v[4:5]
	v_cndmask_b32_e32 v5, v5, v7, vcc
	v_cndmask_b32_e64 v7, 0, 4, s[4:5]
	v_cndmask_b32_e32 v12, v12, v6, vcc
	v_add_lshl_u32 v7, v7, v1, 2
	ds_bpermute_b32 v10, v7, v12
	ds_bpermute_b32 v11, v7, v5
	v_cndmask_b32_e32 v4, v4, v6, vcc
	v_add_u32_e32 v13, 4, v9
	v_cmp_lt_u32_e32 vcc, v13, v8
	v_cmp_gt_u32_e64 s[4:5], 56, v9
	s_waitcnt lgkmcnt(0)
	v_lshl_add_u64 v[6:7], v[10:11], 0, v[4:5]
	v_cndmask_b32_e32 v5, v5, v7, vcc
	v_cndmask_b32_e64 v7, 0, 8, s[4:5]
	v_cndmask_b32_e32 v12, v12, v6, vcc
	v_add_lshl_u32 v7, v7, v1, 2
	ds_bpermute_b32 v10, v7, v12
	ds_bpermute_b32 v11, v7, v5
	v_cndmask_b32_e32 v4, v4, v6, vcc
	;; [unrolled: 12-line block ×3, first 2 shown]
	v_add_u32_e32 v13, 16, v9
	v_cmp_lt_u32_e32 vcc, v13, v8
	s_waitcnt lgkmcnt(0)
	v_lshl_add_u64 v[6:7], v[10:11], 0, v[4:5]
	v_lshlrev_b32_e32 v10, 2, v1
	v_cndmask_b32_e32 v13, v5, v7, vcc
	v_cndmask_b32_e32 v11, v12, v6, vcc
	v_or_b32_e32 v12, 0x80, v10
	ds_bpermute_b32 v11, v12, v11
	ds_bpermute_b32 v12, v12, v13
	s_and_saveexec_b64 s[4:5], s[0:1]
	s_cbranch_execz .LBB158_158
; %bb.157:
	v_add_u32_e32 v9, 32, v9
	v_cndmask_b32_e32 v3, v5, v7, vcc
	v_cndmask_b32_e32 v2, v4, v6, vcc
	v_cmp_lt_u32_e32 vcc, v9, v8
	s_waitcnt lgkmcnt(0)
	s_nop 0
	v_cndmask_b32_e32 v5, 0, v12, vcc
	v_cndmask_b32_e32 v4, 0, v11, vcc
	v_lshl_add_u64 v[2:3], v[4:5], 0, v[2:3]
.LBB158_158:
	s_or_b64 exec, exec, s[4:5]
	v_cmp_eq_u32_e32 vcc, 0, v1
	s_and_saveexec_b64 s[0:1], vcc
; %bb.159:
	v_lshrrev_b32_e32 v4, 3, v0
	v_and_b32_e32 v4, 24, v4
	ds_write_b64 v4, v[2:3] offset:160
; %bb.160:
	s_or_b64 exec, exec, s[0:1]
	v_cmp_gt_u32_e32 vcc, 4, v0
	s_waitcnt lgkmcnt(0)
	s_barrier
	s_and_saveexec_b64 s[0:1], vcc
	s_cbranch_execz .LBB158_164
; %bb.161:
	v_lshlrev_b32_e32 v2, 3, v1
	ds_read_b64 v[2:3], v2 offset:160
	v_and_b32_e32 v6, 3, v1
	v_cmp_ne_u32_e32 vcc, 3, v6
	v_mov_b32_e32 v8, 0
	s_add_i32 s6, s6, 63
	v_addc_co_u32_e32 v1, vcc, 0, v1, vcc
	v_lshlrev_b32_e32 v1, 2, v1
	s_waitcnt lgkmcnt(0)
	ds_bpermute_b32 v4, v1, v2
	ds_bpermute_b32 v9, v1, v3
	v_mov_b32_e32 v5, v8
	s_lshr_b32 s6, s6, 6
	v_add_u32_e32 v1, 1, v6
	s_waitcnt lgkmcnt(1)
	v_lshl_add_u64 v[12:13], v[2:3], 0, v[4:5]
	s_waitcnt lgkmcnt(0)
	v_lshl_add_u64 v[4:5], v[8:9], 0, v[12:13]
	v_cmp_gt_u32_e32 vcc, s6, v1
	v_or_b32_e32 v8, 8, v10
	s_nop 0
	v_cndmask_b32_e32 v7, v3, v5, vcc
	v_cndmask_b32_e32 v1, v2, v12, vcc
	ds_bpermute_b32 v1, v8, v1
	ds_bpermute_b32 v7, v8, v7
	s_and_saveexec_b64 s[4:5], vcc
	s_cbranch_execz .LBB158_163
; %bb.162:
	v_add_u32_e32 v2, 2, v6
	v_cmp_gt_u32_e32 vcc, s6, v2
	s_waitcnt lgkmcnt(0)
	s_nop 0
	v_cndmask_b32_e32 v3, 0, v7, vcc
	v_cndmask_b32_e32 v2, 0, v1, vcc
	v_lshl_add_u64 v[2:3], v[2:3], 0, v[4:5]
.LBB158_163:
	s_or_b64 exec, exec, s[4:5]
.LBB158_164:
	s_or_b64 exec, exec, s[0:1]
.LBB158_165:
	v_cmp_eq_u32_e64 s[0:1], 0, v0
	v_mov_b64_e32 v[4:5], s[2:3]
.LBB158_166:
	s_and_saveexec_b64 s[2:3], s[0:1]
	s_cbranch_execz .LBB158_168
; %bb.167:
	s_cmp_lg_u64 s[38:39], 0
	s_cselect_b64 vcc, -1, 0
	s_waitcnt lgkmcnt(1)
	v_lshlrev_b64 v[0:1], 3, v[4:5]
	v_cndmask_b32_e32 v3, 0, v3, vcc
	v_cndmask_b32_e32 v2, 0, v2, vcc
	v_lshl_add_u64 v[0:1], s[40:41], 0, v[0:1]
	v_lshl_add_u64 v[2:3], v[2:3], 0, s[42:43]
	global_store_dwordx2 v[0:1], v[2:3], off
.LBB158_168:
	s_endpgm
	.section	.rodata,"a",@progbits
	.p2align	6, 0x0
	.amdhsa_kernel _ZN7rocprim17ROCPRIM_400000_NS6detail17trampoline_kernelINS0_14default_configENS1_22reduce_config_selectorIlEEZNS1_11reduce_implILb1ES3_PlS7_lN6hipcub16HIPCUB_304000_NS6detail34convert_binary_result_type_wrapperINS9_3SumENS9_22TransformInputIteratorIb7NonZeroIiEPilEElEEEE10hipError_tPvRmT1_T2_T3_mT4_P12ihipStream_tbEUlT_E1_NS1_11comp_targetILNS1_3genE0ELNS1_11target_archE4294967295ELNS1_3gpuE0ELNS1_3repE0EEENS1_30default_config_static_selectorELNS0_4arch9wavefront6targetE1EEEvSM_
		.amdhsa_group_segment_fixed_size 192
		.amdhsa_private_segment_fixed_size 0
		.amdhsa_kernarg_size 48
		.amdhsa_user_sgpr_count 2
		.amdhsa_user_sgpr_dispatch_ptr 0
		.amdhsa_user_sgpr_queue_ptr 0
		.amdhsa_user_sgpr_kernarg_segment_ptr 1
		.amdhsa_user_sgpr_dispatch_id 0
		.amdhsa_user_sgpr_kernarg_preload_length 0
		.amdhsa_user_sgpr_kernarg_preload_offset 0
		.amdhsa_user_sgpr_private_segment_size 0
		.amdhsa_uses_dynamic_stack 0
		.amdhsa_enable_private_segment 0
		.amdhsa_system_sgpr_workgroup_id_x 1
		.amdhsa_system_sgpr_workgroup_id_y 0
		.amdhsa_system_sgpr_workgroup_id_z 0
		.amdhsa_system_sgpr_workgroup_info 0
		.amdhsa_system_vgpr_workitem_id 0
		.amdhsa_next_free_vgpr 48
		.amdhsa_next_free_sgpr 47
		.amdhsa_accum_offset 48
		.amdhsa_reserve_vcc 1
		.amdhsa_float_round_mode_32 0
		.amdhsa_float_round_mode_16_64 0
		.amdhsa_float_denorm_mode_32 3
		.amdhsa_float_denorm_mode_16_64 3
		.amdhsa_dx10_clamp 1
		.amdhsa_ieee_mode 1
		.amdhsa_fp16_overflow 0
		.amdhsa_tg_split 0
		.amdhsa_exception_fp_ieee_invalid_op 0
		.amdhsa_exception_fp_denorm_src 0
		.amdhsa_exception_fp_ieee_div_zero 0
		.amdhsa_exception_fp_ieee_overflow 0
		.amdhsa_exception_fp_ieee_underflow 0
		.amdhsa_exception_fp_ieee_inexact 0
		.amdhsa_exception_int_div_zero 0
	.end_amdhsa_kernel
	.section	.text._ZN7rocprim17ROCPRIM_400000_NS6detail17trampoline_kernelINS0_14default_configENS1_22reduce_config_selectorIlEEZNS1_11reduce_implILb1ES3_PlS7_lN6hipcub16HIPCUB_304000_NS6detail34convert_binary_result_type_wrapperINS9_3SumENS9_22TransformInputIteratorIb7NonZeroIiEPilEElEEEE10hipError_tPvRmT1_T2_T3_mT4_P12ihipStream_tbEUlT_E1_NS1_11comp_targetILNS1_3genE0ELNS1_11target_archE4294967295ELNS1_3gpuE0ELNS1_3repE0EEENS1_30default_config_static_selectorELNS0_4arch9wavefront6targetE1EEEvSM_,"axG",@progbits,_ZN7rocprim17ROCPRIM_400000_NS6detail17trampoline_kernelINS0_14default_configENS1_22reduce_config_selectorIlEEZNS1_11reduce_implILb1ES3_PlS7_lN6hipcub16HIPCUB_304000_NS6detail34convert_binary_result_type_wrapperINS9_3SumENS9_22TransformInputIteratorIb7NonZeroIiEPilEElEEEE10hipError_tPvRmT1_T2_T3_mT4_P12ihipStream_tbEUlT_E1_NS1_11comp_targetILNS1_3genE0ELNS1_11target_archE4294967295ELNS1_3gpuE0ELNS1_3repE0EEENS1_30default_config_static_selectorELNS0_4arch9wavefront6targetE1EEEvSM_,comdat
.Lfunc_end158:
	.size	_ZN7rocprim17ROCPRIM_400000_NS6detail17trampoline_kernelINS0_14default_configENS1_22reduce_config_selectorIlEEZNS1_11reduce_implILb1ES3_PlS7_lN6hipcub16HIPCUB_304000_NS6detail34convert_binary_result_type_wrapperINS9_3SumENS9_22TransformInputIteratorIb7NonZeroIiEPilEElEEEE10hipError_tPvRmT1_T2_T3_mT4_P12ihipStream_tbEUlT_E1_NS1_11comp_targetILNS1_3genE0ELNS1_11target_archE4294967295ELNS1_3gpuE0ELNS1_3repE0EEENS1_30default_config_static_selectorELNS0_4arch9wavefront6targetE1EEEvSM_, .Lfunc_end158-_ZN7rocprim17ROCPRIM_400000_NS6detail17trampoline_kernelINS0_14default_configENS1_22reduce_config_selectorIlEEZNS1_11reduce_implILb1ES3_PlS7_lN6hipcub16HIPCUB_304000_NS6detail34convert_binary_result_type_wrapperINS9_3SumENS9_22TransformInputIteratorIb7NonZeroIiEPilEElEEEE10hipError_tPvRmT1_T2_T3_mT4_P12ihipStream_tbEUlT_E1_NS1_11comp_targetILNS1_3genE0ELNS1_11target_archE4294967295ELNS1_3gpuE0ELNS1_3repE0EEENS1_30default_config_static_selectorELNS0_4arch9wavefront6targetE1EEEvSM_
                                        ; -- End function
	.set _ZN7rocprim17ROCPRIM_400000_NS6detail17trampoline_kernelINS0_14default_configENS1_22reduce_config_selectorIlEEZNS1_11reduce_implILb1ES3_PlS7_lN6hipcub16HIPCUB_304000_NS6detail34convert_binary_result_type_wrapperINS9_3SumENS9_22TransformInputIteratorIb7NonZeroIiEPilEElEEEE10hipError_tPvRmT1_T2_T3_mT4_P12ihipStream_tbEUlT_E1_NS1_11comp_targetILNS1_3genE0ELNS1_11target_archE4294967295ELNS1_3gpuE0ELNS1_3repE0EEENS1_30default_config_static_selectorELNS0_4arch9wavefront6targetE1EEEvSM_.num_vgpr, 48
	.set _ZN7rocprim17ROCPRIM_400000_NS6detail17trampoline_kernelINS0_14default_configENS1_22reduce_config_selectorIlEEZNS1_11reduce_implILb1ES3_PlS7_lN6hipcub16HIPCUB_304000_NS6detail34convert_binary_result_type_wrapperINS9_3SumENS9_22TransformInputIteratorIb7NonZeroIiEPilEElEEEE10hipError_tPvRmT1_T2_T3_mT4_P12ihipStream_tbEUlT_E1_NS1_11comp_targetILNS1_3genE0ELNS1_11target_archE4294967295ELNS1_3gpuE0ELNS1_3repE0EEENS1_30default_config_static_selectorELNS0_4arch9wavefront6targetE1EEEvSM_.num_agpr, 0
	.set _ZN7rocprim17ROCPRIM_400000_NS6detail17trampoline_kernelINS0_14default_configENS1_22reduce_config_selectorIlEEZNS1_11reduce_implILb1ES3_PlS7_lN6hipcub16HIPCUB_304000_NS6detail34convert_binary_result_type_wrapperINS9_3SumENS9_22TransformInputIteratorIb7NonZeroIiEPilEElEEEE10hipError_tPvRmT1_T2_T3_mT4_P12ihipStream_tbEUlT_E1_NS1_11comp_targetILNS1_3genE0ELNS1_11target_archE4294967295ELNS1_3gpuE0ELNS1_3repE0EEENS1_30default_config_static_selectorELNS0_4arch9wavefront6targetE1EEEvSM_.numbered_sgpr, 47
	.set _ZN7rocprim17ROCPRIM_400000_NS6detail17trampoline_kernelINS0_14default_configENS1_22reduce_config_selectorIlEEZNS1_11reduce_implILb1ES3_PlS7_lN6hipcub16HIPCUB_304000_NS6detail34convert_binary_result_type_wrapperINS9_3SumENS9_22TransformInputIteratorIb7NonZeroIiEPilEElEEEE10hipError_tPvRmT1_T2_T3_mT4_P12ihipStream_tbEUlT_E1_NS1_11comp_targetILNS1_3genE0ELNS1_11target_archE4294967295ELNS1_3gpuE0ELNS1_3repE0EEENS1_30default_config_static_selectorELNS0_4arch9wavefront6targetE1EEEvSM_.num_named_barrier, 0
	.set _ZN7rocprim17ROCPRIM_400000_NS6detail17trampoline_kernelINS0_14default_configENS1_22reduce_config_selectorIlEEZNS1_11reduce_implILb1ES3_PlS7_lN6hipcub16HIPCUB_304000_NS6detail34convert_binary_result_type_wrapperINS9_3SumENS9_22TransformInputIteratorIb7NonZeroIiEPilEElEEEE10hipError_tPvRmT1_T2_T3_mT4_P12ihipStream_tbEUlT_E1_NS1_11comp_targetILNS1_3genE0ELNS1_11target_archE4294967295ELNS1_3gpuE0ELNS1_3repE0EEENS1_30default_config_static_selectorELNS0_4arch9wavefront6targetE1EEEvSM_.private_seg_size, 0
	.set _ZN7rocprim17ROCPRIM_400000_NS6detail17trampoline_kernelINS0_14default_configENS1_22reduce_config_selectorIlEEZNS1_11reduce_implILb1ES3_PlS7_lN6hipcub16HIPCUB_304000_NS6detail34convert_binary_result_type_wrapperINS9_3SumENS9_22TransformInputIteratorIb7NonZeroIiEPilEElEEEE10hipError_tPvRmT1_T2_T3_mT4_P12ihipStream_tbEUlT_E1_NS1_11comp_targetILNS1_3genE0ELNS1_11target_archE4294967295ELNS1_3gpuE0ELNS1_3repE0EEENS1_30default_config_static_selectorELNS0_4arch9wavefront6targetE1EEEvSM_.uses_vcc, 1
	.set _ZN7rocprim17ROCPRIM_400000_NS6detail17trampoline_kernelINS0_14default_configENS1_22reduce_config_selectorIlEEZNS1_11reduce_implILb1ES3_PlS7_lN6hipcub16HIPCUB_304000_NS6detail34convert_binary_result_type_wrapperINS9_3SumENS9_22TransformInputIteratorIb7NonZeroIiEPilEElEEEE10hipError_tPvRmT1_T2_T3_mT4_P12ihipStream_tbEUlT_E1_NS1_11comp_targetILNS1_3genE0ELNS1_11target_archE4294967295ELNS1_3gpuE0ELNS1_3repE0EEENS1_30default_config_static_selectorELNS0_4arch9wavefront6targetE1EEEvSM_.uses_flat_scratch, 0
	.set _ZN7rocprim17ROCPRIM_400000_NS6detail17trampoline_kernelINS0_14default_configENS1_22reduce_config_selectorIlEEZNS1_11reduce_implILb1ES3_PlS7_lN6hipcub16HIPCUB_304000_NS6detail34convert_binary_result_type_wrapperINS9_3SumENS9_22TransformInputIteratorIb7NonZeroIiEPilEElEEEE10hipError_tPvRmT1_T2_T3_mT4_P12ihipStream_tbEUlT_E1_NS1_11comp_targetILNS1_3genE0ELNS1_11target_archE4294967295ELNS1_3gpuE0ELNS1_3repE0EEENS1_30default_config_static_selectorELNS0_4arch9wavefront6targetE1EEEvSM_.has_dyn_sized_stack, 0
	.set _ZN7rocprim17ROCPRIM_400000_NS6detail17trampoline_kernelINS0_14default_configENS1_22reduce_config_selectorIlEEZNS1_11reduce_implILb1ES3_PlS7_lN6hipcub16HIPCUB_304000_NS6detail34convert_binary_result_type_wrapperINS9_3SumENS9_22TransformInputIteratorIb7NonZeroIiEPilEElEEEE10hipError_tPvRmT1_T2_T3_mT4_P12ihipStream_tbEUlT_E1_NS1_11comp_targetILNS1_3genE0ELNS1_11target_archE4294967295ELNS1_3gpuE0ELNS1_3repE0EEENS1_30default_config_static_selectorELNS0_4arch9wavefront6targetE1EEEvSM_.has_recursion, 0
	.set _ZN7rocprim17ROCPRIM_400000_NS6detail17trampoline_kernelINS0_14default_configENS1_22reduce_config_selectorIlEEZNS1_11reduce_implILb1ES3_PlS7_lN6hipcub16HIPCUB_304000_NS6detail34convert_binary_result_type_wrapperINS9_3SumENS9_22TransformInputIteratorIb7NonZeroIiEPilEElEEEE10hipError_tPvRmT1_T2_T3_mT4_P12ihipStream_tbEUlT_E1_NS1_11comp_targetILNS1_3genE0ELNS1_11target_archE4294967295ELNS1_3gpuE0ELNS1_3repE0EEENS1_30default_config_static_selectorELNS0_4arch9wavefront6targetE1EEEvSM_.has_indirect_call, 0
	.section	.AMDGPU.csdata,"",@progbits
; Kernel info:
; codeLenInByte = 9732
; TotalNumSgprs: 53
; NumVgprs: 48
; NumAgprs: 0
; TotalNumVgprs: 48
; ScratchSize: 0
; MemoryBound: 0
; FloatMode: 240
; IeeeMode: 1
; LDSByteSize: 192 bytes/workgroup (compile time only)
; SGPRBlocks: 6
; VGPRBlocks: 5
; NumSGPRsForWavesPerEU: 53
; NumVGPRsForWavesPerEU: 48
; AccumOffset: 48
; Occupancy: 8
; WaveLimiterHint : 1
; COMPUTE_PGM_RSRC2:SCRATCH_EN: 0
; COMPUTE_PGM_RSRC2:USER_SGPR: 2
; COMPUTE_PGM_RSRC2:TRAP_HANDLER: 0
; COMPUTE_PGM_RSRC2:TGID_X_EN: 1
; COMPUTE_PGM_RSRC2:TGID_Y_EN: 0
; COMPUTE_PGM_RSRC2:TGID_Z_EN: 0
; COMPUTE_PGM_RSRC2:TIDIG_COMP_CNT: 0
; COMPUTE_PGM_RSRC3_GFX90A:ACCUM_OFFSET: 11
; COMPUTE_PGM_RSRC3_GFX90A:TG_SPLIT: 0
	.section	.text._ZN7rocprim17ROCPRIM_400000_NS6detail17trampoline_kernelINS0_14default_configENS1_22reduce_config_selectorIlEEZNS1_11reduce_implILb1ES3_PlS7_lN6hipcub16HIPCUB_304000_NS6detail34convert_binary_result_type_wrapperINS9_3SumENS9_22TransformInputIteratorIb7NonZeroIiEPilEElEEEE10hipError_tPvRmT1_T2_T3_mT4_P12ihipStream_tbEUlT_E1_NS1_11comp_targetILNS1_3genE5ELNS1_11target_archE942ELNS1_3gpuE9ELNS1_3repE0EEENS1_30default_config_static_selectorELNS0_4arch9wavefront6targetE1EEEvSM_,"axG",@progbits,_ZN7rocprim17ROCPRIM_400000_NS6detail17trampoline_kernelINS0_14default_configENS1_22reduce_config_selectorIlEEZNS1_11reduce_implILb1ES3_PlS7_lN6hipcub16HIPCUB_304000_NS6detail34convert_binary_result_type_wrapperINS9_3SumENS9_22TransformInputIteratorIb7NonZeroIiEPilEElEEEE10hipError_tPvRmT1_T2_T3_mT4_P12ihipStream_tbEUlT_E1_NS1_11comp_targetILNS1_3genE5ELNS1_11target_archE942ELNS1_3gpuE9ELNS1_3repE0EEENS1_30default_config_static_selectorELNS0_4arch9wavefront6targetE1EEEvSM_,comdat
	.protected	_ZN7rocprim17ROCPRIM_400000_NS6detail17trampoline_kernelINS0_14default_configENS1_22reduce_config_selectorIlEEZNS1_11reduce_implILb1ES3_PlS7_lN6hipcub16HIPCUB_304000_NS6detail34convert_binary_result_type_wrapperINS9_3SumENS9_22TransformInputIteratorIb7NonZeroIiEPilEElEEEE10hipError_tPvRmT1_T2_T3_mT4_P12ihipStream_tbEUlT_E1_NS1_11comp_targetILNS1_3genE5ELNS1_11target_archE942ELNS1_3gpuE9ELNS1_3repE0EEENS1_30default_config_static_selectorELNS0_4arch9wavefront6targetE1EEEvSM_ ; -- Begin function _ZN7rocprim17ROCPRIM_400000_NS6detail17trampoline_kernelINS0_14default_configENS1_22reduce_config_selectorIlEEZNS1_11reduce_implILb1ES3_PlS7_lN6hipcub16HIPCUB_304000_NS6detail34convert_binary_result_type_wrapperINS9_3SumENS9_22TransformInputIteratorIb7NonZeroIiEPilEElEEEE10hipError_tPvRmT1_T2_T3_mT4_P12ihipStream_tbEUlT_E1_NS1_11comp_targetILNS1_3genE5ELNS1_11target_archE942ELNS1_3gpuE9ELNS1_3repE0EEENS1_30default_config_static_selectorELNS0_4arch9wavefront6targetE1EEEvSM_
	.globl	_ZN7rocprim17ROCPRIM_400000_NS6detail17trampoline_kernelINS0_14default_configENS1_22reduce_config_selectorIlEEZNS1_11reduce_implILb1ES3_PlS7_lN6hipcub16HIPCUB_304000_NS6detail34convert_binary_result_type_wrapperINS9_3SumENS9_22TransformInputIteratorIb7NonZeroIiEPilEElEEEE10hipError_tPvRmT1_T2_T3_mT4_P12ihipStream_tbEUlT_E1_NS1_11comp_targetILNS1_3genE5ELNS1_11target_archE942ELNS1_3gpuE9ELNS1_3repE0EEENS1_30default_config_static_selectorELNS0_4arch9wavefront6targetE1EEEvSM_
	.p2align	8
	.type	_ZN7rocprim17ROCPRIM_400000_NS6detail17trampoline_kernelINS0_14default_configENS1_22reduce_config_selectorIlEEZNS1_11reduce_implILb1ES3_PlS7_lN6hipcub16HIPCUB_304000_NS6detail34convert_binary_result_type_wrapperINS9_3SumENS9_22TransformInputIteratorIb7NonZeroIiEPilEElEEEE10hipError_tPvRmT1_T2_T3_mT4_P12ihipStream_tbEUlT_E1_NS1_11comp_targetILNS1_3genE5ELNS1_11target_archE942ELNS1_3gpuE9ELNS1_3repE0EEENS1_30default_config_static_selectorELNS0_4arch9wavefront6targetE1EEEvSM_,@function
_ZN7rocprim17ROCPRIM_400000_NS6detail17trampoline_kernelINS0_14default_configENS1_22reduce_config_selectorIlEEZNS1_11reduce_implILb1ES3_PlS7_lN6hipcub16HIPCUB_304000_NS6detail34convert_binary_result_type_wrapperINS9_3SumENS9_22TransformInputIteratorIb7NonZeroIiEPilEElEEEE10hipError_tPvRmT1_T2_T3_mT4_P12ihipStream_tbEUlT_E1_NS1_11comp_targetILNS1_3genE5ELNS1_11target_archE942ELNS1_3gpuE9ELNS1_3repE0EEENS1_30default_config_static_selectorELNS0_4arch9wavefront6targetE1EEEvSM_: ; @_ZN7rocprim17ROCPRIM_400000_NS6detail17trampoline_kernelINS0_14default_configENS1_22reduce_config_selectorIlEEZNS1_11reduce_implILb1ES3_PlS7_lN6hipcub16HIPCUB_304000_NS6detail34convert_binary_result_type_wrapperINS9_3SumENS9_22TransformInputIteratorIb7NonZeroIiEPilEElEEEE10hipError_tPvRmT1_T2_T3_mT4_P12ihipStream_tbEUlT_E1_NS1_11comp_targetILNS1_3genE5ELNS1_11target_archE942ELNS1_3gpuE9ELNS1_3repE0EEENS1_30default_config_static_selectorELNS0_4arch9wavefront6targetE1EEEvSM_
; %bb.0:
	.section	.rodata,"a",@progbits
	.p2align	6, 0x0
	.amdhsa_kernel _ZN7rocprim17ROCPRIM_400000_NS6detail17trampoline_kernelINS0_14default_configENS1_22reduce_config_selectorIlEEZNS1_11reduce_implILb1ES3_PlS7_lN6hipcub16HIPCUB_304000_NS6detail34convert_binary_result_type_wrapperINS9_3SumENS9_22TransformInputIteratorIb7NonZeroIiEPilEElEEEE10hipError_tPvRmT1_T2_T3_mT4_P12ihipStream_tbEUlT_E1_NS1_11comp_targetILNS1_3genE5ELNS1_11target_archE942ELNS1_3gpuE9ELNS1_3repE0EEENS1_30default_config_static_selectorELNS0_4arch9wavefront6targetE1EEEvSM_
		.amdhsa_group_segment_fixed_size 0
		.amdhsa_private_segment_fixed_size 0
		.amdhsa_kernarg_size 48
		.amdhsa_user_sgpr_count 2
		.amdhsa_user_sgpr_dispatch_ptr 0
		.amdhsa_user_sgpr_queue_ptr 0
		.amdhsa_user_sgpr_kernarg_segment_ptr 1
		.amdhsa_user_sgpr_dispatch_id 0
		.amdhsa_user_sgpr_kernarg_preload_length 0
		.amdhsa_user_sgpr_kernarg_preload_offset 0
		.amdhsa_user_sgpr_private_segment_size 0
		.amdhsa_uses_dynamic_stack 0
		.amdhsa_enable_private_segment 0
		.amdhsa_system_sgpr_workgroup_id_x 1
		.amdhsa_system_sgpr_workgroup_id_y 0
		.amdhsa_system_sgpr_workgroup_id_z 0
		.amdhsa_system_sgpr_workgroup_info 0
		.amdhsa_system_vgpr_workitem_id 0
		.amdhsa_next_free_vgpr 1
		.amdhsa_next_free_sgpr 0
		.amdhsa_accum_offset 4
		.amdhsa_reserve_vcc 0
		.amdhsa_float_round_mode_32 0
		.amdhsa_float_round_mode_16_64 0
		.amdhsa_float_denorm_mode_32 3
		.amdhsa_float_denorm_mode_16_64 3
		.amdhsa_dx10_clamp 1
		.amdhsa_ieee_mode 1
		.amdhsa_fp16_overflow 0
		.amdhsa_tg_split 0
		.amdhsa_exception_fp_ieee_invalid_op 0
		.amdhsa_exception_fp_denorm_src 0
		.amdhsa_exception_fp_ieee_div_zero 0
		.amdhsa_exception_fp_ieee_overflow 0
		.amdhsa_exception_fp_ieee_underflow 0
		.amdhsa_exception_fp_ieee_inexact 0
		.amdhsa_exception_int_div_zero 0
	.end_amdhsa_kernel
	.section	.text._ZN7rocprim17ROCPRIM_400000_NS6detail17trampoline_kernelINS0_14default_configENS1_22reduce_config_selectorIlEEZNS1_11reduce_implILb1ES3_PlS7_lN6hipcub16HIPCUB_304000_NS6detail34convert_binary_result_type_wrapperINS9_3SumENS9_22TransformInputIteratorIb7NonZeroIiEPilEElEEEE10hipError_tPvRmT1_T2_T3_mT4_P12ihipStream_tbEUlT_E1_NS1_11comp_targetILNS1_3genE5ELNS1_11target_archE942ELNS1_3gpuE9ELNS1_3repE0EEENS1_30default_config_static_selectorELNS0_4arch9wavefront6targetE1EEEvSM_,"axG",@progbits,_ZN7rocprim17ROCPRIM_400000_NS6detail17trampoline_kernelINS0_14default_configENS1_22reduce_config_selectorIlEEZNS1_11reduce_implILb1ES3_PlS7_lN6hipcub16HIPCUB_304000_NS6detail34convert_binary_result_type_wrapperINS9_3SumENS9_22TransformInputIteratorIb7NonZeroIiEPilEElEEEE10hipError_tPvRmT1_T2_T3_mT4_P12ihipStream_tbEUlT_E1_NS1_11comp_targetILNS1_3genE5ELNS1_11target_archE942ELNS1_3gpuE9ELNS1_3repE0EEENS1_30default_config_static_selectorELNS0_4arch9wavefront6targetE1EEEvSM_,comdat
.Lfunc_end159:
	.size	_ZN7rocprim17ROCPRIM_400000_NS6detail17trampoline_kernelINS0_14default_configENS1_22reduce_config_selectorIlEEZNS1_11reduce_implILb1ES3_PlS7_lN6hipcub16HIPCUB_304000_NS6detail34convert_binary_result_type_wrapperINS9_3SumENS9_22TransformInputIteratorIb7NonZeroIiEPilEElEEEE10hipError_tPvRmT1_T2_T3_mT4_P12ihipStream_tbEUlT_E1_NS1_11comp_targetILNS1_3genE5ELNS1_11target_archE942ELNS1_3gpuE9ELNS1_3repE0EEENS1_30default_config_static_selectorELNS0_4arch9wavefront6targetE1EEEvSM_, .Lfunc_end159-_ZN7rocprim17ROCPRIM_400000_NS6detail17trampoline_kernelINS0_14default_configENS1_22reduce_config_selectorIlEEZNS1_11reduce_implILb1ES3_PlS7_lN6hipcub16HIPCUB_304000_NS6detail34convert_binary_result_type_wrapperINS9_3SumENS9_22TransformInputIteratorIb7NonZeroIiEPilEElEEEE10hipError_tPvRmT1_T2_T3_mT4_P12ihipStream_tbEUlT_E1_NS1_11comp_targetILNS1_3genE5ELNS1_11target_archE942ELNS1_3gpuE9ELNS1_3repE0EEENS1_30default_config_static_selectorELNS0_4arch9wavefront6targetE1EEEvSM_
                                        ; -- End function
	.set _ZN7rocprim17ROCPRIM_400000_NS6detail17trampoline_kernelINS0_14default_configENS1_22reduce_config_selectorIlEEZNS1_11reduce_implILb1ES3_PlS7_lN6hipcub16HIPCUB_304000_NS6detail34convert_binary_result_type_wrapperINS9_3SumENS9_22TransformInputIteratorIb7NonZeroIiEPilEElEEEE10hipError_tPvRmT1_T2_T3_mT4_P12ihipStream_tbEUlT_E1_NS1_11comp_targetILNS1_3genE5ELNS1_11target_archE942ELNS1_3gpuE9ELNS1_3repE0EEENS1_30default_config_static_selectorELNS0_4arch9wavefront6targetE1EEEvSM_.num_vgpr, 0
	.set _ZN7rocprim17ROCPRIM_400000_NS6detail17trampoline_kernelINS0_14default_configENS1_22reduce_config_selectorIlEEZNS1_11reduce_implILb1ES3_PlS7_lN6hipcub16HIPCUB_304000_NS6detail34convert_binary_result_type_wrapperINS9_3SumENS9_22TransformInputIteratorIb7NonZeroIiEPilEElEEEE10hipError_tPvRmT1_T2_T3_mT4_P12ihipStream_tbEUlT_E1_NS1_11comp_targetILNS1_3genE5ELNS1_11target_archE942ELNS1_3gpuE9ELNS1_3repE0EEENS1_30default_config_static_selectorELNS0_4arch9wavefront6targetE1EEEvSM_.num_agpr, 0
	.set _ZN7rocprim17ROCPRIM_400000_NS6detail17trampoline_kernelINS0_14default_configENS1_22reduce_config_selectorIlEEZNS1_11reduce_implILb1ES3_PlS7_lN6hipcub16HIPCUB_304000_NS6detail34convert_binary_result_type_wrapperINS9_3SumENS9_22TransformInputIteratorIb7NonZeroIiEPilEElEEEE10hipError_tPvRmT1_T2_T3_mT4_P12ihipStream_tbEUlT_E1_NS1_11comp_targetILNS1_3genE5ELNS1_11target_archE942ELNS1_3gpuE9ELNS1_3repE0EEENS1_30default_config_static_selectorELNS0_4arch9wavefront6targetE1EEEvSM_.numbered_sgpr, 0
	.set _ZN7rocprim17ROCPRIM_400000_NS6detail17trampoline_kernelINS0_14default_configENS1_22reduce_config_selectorIlEEZNS1_11reduce_implILb1ES3_PlS7_lN6hipcub16HIPCUB_304000_NS6detail34convert_binary_result_type_wrapperINS9_3SumENS9_22TransformInputIteratorIb7NonZeroIiEPilEElEEEE10hipError_tPvRmT1_T2_T3_mT4_P12ihipStream_tbEUlT_E1_NS1_11comp_targetILNS1_3genE5ELNS1_11target_archE942ELNS1_3gpuE9ELNS1_3repE0EEENS1_30default_config_static_selectorELNS0_4arch9wavefront6targetE1EEEvSM_.num_named_barrier, 0
	.set _ZN7rocprim17ROCPRIM_400000_NS6detail17trampoline_kernelINS0_14default_configENS1_22reduce_config_selectorIlEEZNS1_11reduce_implILb1ES3_PlS7_lN6hipcub16HIPCUB_304000_NS6detail34convert_binary_result_type_wrapperINS9_3SumENS9_22TransformInputIteratorIb7NonZeroIiEPilEElEEEE10hipError_tPvRmT1_T2_T3_mT4_P12ihipStream_tbEUlT_E1_NS1_11comp_targetILNS1_3genE5ELNS1_11target_archE942ELNS1_3gpuE9ELNS1_3repE0EEENS1_30default_config_static_selectorELNS0_4arch9wavefront6targetE1EEEvSM_.private_seg_size, 0
	.set _ZN7rocprim17ROCPRIM_400000_NS6detail17trampoline_kernelINS0_14default_configENS1_22reduce_config_selectorIlEEZNS1_11reduce_implILb1ES3_PlS7_lN6hipcub16HIPCUB_304000_NS6detail34convert_binary_result_type_wrapperINS9_3SumENS9_22TransformInputIteratorIb7NonZeroIiEPilEElEEEE10hipError_tPvRmT1_T2_T3_mT4_P12ihipStream_tbEUlT_E1_NS1_11comp_targetILNS1_3genE5ELNS1_11target_archE942ELNS1_3gpuE9ELNS1_3repE0EEENS1_30default_config_static_selectorELNS0_4arch9wavefront6targetE1EEEvSM_.uses_vcc, 0
	.set _ZN7rocprim17ROCPRIM_400000_NS6detail17trampoline_kernelINS0_14default_configENS1_22reduce_config_selectorIlEEZNS1_11reduce_implILb1ES3_PlS7_lN6hipcub16HIPCUB_304000_NS6detail34convert_binary_result_type_wrapperINS9_3SumENS9_22TransformInputIteratorIb7NonZeroIiEPilEElEEEE10hipError_tPvRmT1_T2_T3_mT4_P12ihipStream_tbEUlT_E1_NS1_11comp_targetILNS1_3genE5ELNS1_11target_archE942ELNS1_3gpuE9ELNS1_3repE0EEENS1_30default_config_static_selectorELNS0_4arch9wavefront6targetE1EEEvSM_.uses_flat_scratch, 0
	.set _ZN7rocprim17ROCPRIM_400000_NS6detail17trampoline_kernelINS0_14default_configENS1_22reduce_config_selectorIlEEZNS1_11reduce_implILb1ES3_PlS7_lN6hipcub16HIPCUB_304000_NS6detail34convert_binary_result_type_wrapperINS9_3SumENS9_22TransformInputIteratorIb7NonZeroIiEPilEElEEEE10hipError_tPvRmT1_T2_T3_mT4_P12ihipStream_tbEUlT_E1_NS1_11comp_targetILNS1_3genE5ELNS1_11target_archE942ELNS1_3gpuE9ELNS1_3repE0EEENS1_30default_config_static_selectorELNS0_4arch9wavefront6targetE1EEEvSM_.has_dyn_sized_stack, 0
	.set _ZN7rocprim17ROCPRIM_400000_NS6detail17trampoline_kernelINS0_14default_configENS1_22reduce_config_selectorIlEEZNS1_11reduce_implILb1ES3_PlS7_lN6hipcub16HIPCUB_304000_NS6detail34convert_binary_result_type_wrapperINS9_3SumENS9_22TransformInputIteratorIb7NonZeroIiEPilEElEEEE10hipError_tPvRmT1_T2_T3_mT4_P12ihipStream_tbEUlT_E1_NS1_11comp_targetILNS1_3genE5ELNS1_11target_archE942ELNS1_3gpuE9ELNS1_3repE0EEENS1_30default_config_static_selectorELNS0_4arch9wavefront6targetE1EEEvSM_.has_recursion, 0
	.set _ZN7rocprim17ROCPRIM_400000_NS6detail17trampoline_kernelINS0_14default_configENS1_22reduce_config_selectorIlEEZNS1_11reduce_implILb1ES3_PlS7_lN6hipcub16HIPCUB_304000_NS6detail34convert_binary_result_type_wrapperINS9_3SumENS9_22TransformInputIteratorIb7NonZeroIiEPilEElEEEE10hipError_tPvRmT1_T2_T3_mT4_P12ihipStream_tbEUlT_E1_NS1_11comp_targetILNS1_3genE5ELNS1_11target_archE942ELNS1_3gpuE9ELNS1_3repE0EEENS1_30default_config_static_selectorELNS0_4arch9wavefront6targetE1EEEvSM_.has_indirect_call, 0
	.section	.AMDGPU.csdata,"",@progbits
; Kernel info:
; codeLenInByte = 0
; TotalNumSgprs: 6
; NumVgprs: 0
; NumAgprs: 0
; TotalNumVgprs: 0
; ScratchSize: 0
; MemoryBound: 0
; FloatMode: 240
; IeeeMode: 1
; LDSByteSize: 0 bytes/workgroup (compile time only)
; SGPRBlocks: 0
; VGPRBlocks: 0
; NumSGPRsForWavesPerEU: 6
; NumVGPRsForWavesPerEU: 1
; AccumOffset: 4
; Occupancy: 8
; WaveLimiterHint : 0
; COMPUTE_PGM_RSRC2:SCRATCH_EN: 0
; COMPUTE_PGM_RSRC2:USER_SGPR: 2
; COMPUTE_PGM_RSRC2:TRAP_HANDLER: 0
; COMPUTE_PGM_RSRC2:TGID_X_EN: 1
; COMPUTE_PGM_RSRC2:TGID_Y_EN: 0
; COMPUTE_PGM_RSRC2:TGID_Z_EN: 0
; COMPUTE_PGM_RSRC2:TIDIG_COMP_CNT: 0
; COMPUTE_PGM_RSRC3_GFX90A:ACCUM_OFFSET: 0
; COMPUTE_PGM_RSRC3_GFX90A:TG_SPLIT: 0
	.section	.text._ZN7rocprim17ROCPRIM_400000_NS6detail17trampoline_kernelINS0_14default_configENS1_22reduce_config_selectorIlEEZNS1_11reduce_implILb1ES3_PlS7_lN6hipcub16HIPCUB_304000_NS6detail34convert_binary_result_type_wrapperINS9_3SumENS9_22TransformInputIteratorIb7NonZeroIiEPilEElEEEE10hipError_tPvRmT1_T2_T3_mT4_P12ihipStream_tbEUlT_E1_NS1_11comp_targetILNS1_3genE4ELNS1_11target_archE910ELNS1_3gpuE8ELNS1_3repE0EEENS1_30default_config_static_selectorELNS0_4arch9wavefront6targetE1EEEvSM_,"axG",@progbits,_ZN7rocprim17ROCPRIM_400000_NS6detail17trampoline_kernelINS0_14default_configENS1_22reduce_config_selectorIlEEZNS1_11reduce_implILb1ES3_PlS7_lN6hipcub16HIPCUB_304000_NS6detail34convert_binary_result_type_wrapperINS9_3SumENS9_22TransformInputIteratorIb7NonZeroIiEPilEElEEEE10hipError_tPvRmT1_T2_T3_mT4_P12ihipStream_tbEUlT_E1_NS1_11comp_targetILNS1_3genE4ELNS1_11target_archE910ELNS1_3gpuE8ELNS1_3repE0EEENS1_30default_config_static_selectorELNS0_4arch9wavefront6targetE1EEEvSM_,comdat
	.protected	_ZN7rocprim17ROCPRIM_400000_NS6detail17trampoline_kernelINS0_14default_configENS1_22reduce_config_selectorIlEEZNS1_11reduce_implILb1ES3_PlS7_lN6hipcub16HIPCUB_304000_NS6detail34convert_binary_result_type_wrapperINS9_3SumENS9_22TransformInputIteratorIb7NonZeroIiEPilEElEEEE10hipError_tPvRmT1_T2_T3_mT4_P12ihipStream_tbEUlT_E1_NS1_11comp_targetILNS1_3genE4ELNS1_11target_archE910ELNS1_3gpuE8ELNS1_3repE0EEENS1_30default_config_static_selectorELNS0_4arch9wavefront6targetE1EEEvSM_ ; -- Begin function _ZN7rocprim17ROCPRIM_400000_NS6detail17trampoline_kernelINS0_14default_configENS1_22reduce_config_selectorIlEEZNS1_11reduce_implILb1ES3_PlS7_lN6hipcub16HIPCUB_304000_NS6detail34convert_binary_result_type_wrapperINS9_3SumENS9_22TransformInputIteratorIb7NonZeroIiEPilEElEEEE10hipError_tPvRmT1_T2_T3_mT4_P12ihipStream_tbEUlT_E1_NS1_11comp_targetILNS1_3genE4ELNS1_11target_archE910ELNS1_3gpuE8ELNS1_3repE0EEENS1_30default_config_static_selectorELNS0_4arch9wavefront6targetE1EEEvSM_
	.globl	_ZN7rocprim17ROCPRIM_400000_NS6detail17trampoline_kernelINS0_14default_configENS1_22reduce_config_selectorIlEEZNS1_11reduce_implILb1ES3_PlS7_lN6hipcub16HIPCUB_304000_NS6detail34convert_binary_result_type_wrapperINS9_3SumENS9_22TransformInputIteratorIb7NonZeroIiEPilEElEEEE10hipError_tPvRmT1_T2_T3_mT4_P12ihipStream_tbEUlT_E1_NS1_11comp_targetILNS1_3genE4ELNS1_11target_archE910ELNS1_3gpuE8ELNS1_3repE0EEENS1_30default_config_static_selectorELNS0_4arch9wavefront6targetE1EEEvSM_
	.p2align	8
	.type	_ZN7rocprim17ROCPRIM_400000_NS6detail17trampoline_kernelINS0_14default_configENS1_22reduce_config_selectorIlEEZNS1_11reduce_implILb1ES3_PlS7_lN6hipcub16HIPCUB_304000_NS6detail34convert_binary_result_type_wrapperINS9_3SumENS9_22TransformInputIteratorIb7NonZeroIiEPilEElEEEE10hipError_tPvRmT1_T2_T3_mT4_P12ihipStream_tbEUlT_E1_NS1_11comp_targetILNS1_3genE4ELNS1_11target_archE910ELNS1_3gpuE8ELNS1_3repE0EEENS1_30default_config_static_selectorELNS0_4arch9wavefront6targetE1EEEvSM_,@function
_ZN7rocprim17ROCPRIM_400000_NS6detail17trampoline_kernelINS0_14default_configENS1_22reduce_config_selectorIlEEZNS1_11reduce_implILb1ES3_PlS7_lN6hipcub16HIPCUB_304000_NS6detail34convert_binary_result_type_wrapperINS9_3SumENS9_22TransformInputIteratorIb7NonZeroIiEPilEElEEEE10hipError_tPvRmT1_T2_T3_mT4_P12ihipStream_tbEUlT_E1_NS1_11comp_targetILNS1_3genE4ELNS1_11target_archE910ELNS1_3gpuE8ELNS1_3repE0EEENS1_30default_config_static_selectorELNS0_4arch9wavefront6targetE1EEEvSM_: ; @_ZN7rocprim17ROCPRIM_400000_NS6detail17trampoline_kernelINS0_14default_configENS1_22reduce_config_selectorIlEEZNS1_11reduce_implILb1ES3_PlS7_lN6hipcub16HIPCUB_304000_NS6detail34convert_binary_result_type_wrapperINS9_3SumENS9_22TransformInputIteratorIb7NonZeroIiEPilEElEEEE10hipError_tPvRmT1_T2_T3_mT4_P12ihipStream_tbEUlT_E1_NS1_11comp_targetILNS1_3genE4ELNS1_11target_archE910ELNS1_3gpuE8ELNS1_3repE0EEENS1_30default_config_static_selectorELNS0_4arch9wavefront6targetE1EEEvSM_
; %bb.0:
	.section	.rodata,"a",@progbits
	.p2align	6, 0x0
	.amdhsa_kernel _ZN7rocprim17ROCPRIM_400000_NS6detail17trampoline_kernelINS0_14default_configENS1_22reduce_config_selectorIlEEZNS1_11reduce_implILb1ES3_PlS7_lN6hipcub16HIPCUB_304000_NS6detail34convert_binary_result_type_wrapperINS9_3SumENS9_22TransformInputIteratorIb7NonZeroIiEPilEElEEEE10hipError_tPvRmT1_T2_T3_mT4_P12ihipStream_tbEUlT_E1_NS1_11comp_targetILNS1_3genE4ELNS1_11target_archE910ELNS1_3gpuE8ELNS1_3repE0EEENS1_30default_config_static_selectorELNS0_4arch9wavefront6targetE1EEEvSM_
		.amdhsa_group_segment_fixed_size 0
		.amdhsa_private_segment_fixed_size 0
		.amdhsa_kernarg_size 48
		.amdhsa_user_sgpr_count 2
		.amdhsa_user_sgpr_dispatch_ptr 0
		.amdhsa_user_sgpr_queue_ptr 0
		.amdhsa_user_sgpr_kernarg_segment_ptr 1
		.amdhsa_user_sgpr_dispatch_id 0
		.amdhsa_user_sgpr_kernarg_preload_length 0
		.amdhsa_user_sgpr_kernarg_preload_offset 0
		.amdhsa_user_sgpr_private_segment_size 0
		.amdhsa_uses_dynamic_stack 0
		.amdhsa_enable_private_segment 0
		.amdhsa_system_sgpr_workgroup_id_x 1
		.amdhsa_system_sgpr_workgroup_id_y 0
		.amdhsa_system_sgpr_workgroup_id_z 0
		.amdhsa_system_sgpr_workgroup_info 0
		.amdhsa_system_vgpr_workitem_id 0
		.amdhsa_next_free_vgpr 1
		.amdhsa_next_free_sgpr 0
		.amdhsa_accum_offset 4
		.amdhsa_reserve_vcc 0
		.amdhsa_float_round_mode_32 0
		.amdhsa_float_round_mode_16_64 0
		.amdhsa_float_denorm_mode_32 3
		.amdhsa_float_denorm_mode_16_64 3
		.amdhsa_dx10_clamp 1
		.amdhsa_ieee_mode 1
		.amdhsa_fp16_overflow 0
		.amdhsa_tg_split 0
		.amdhsa_exception_fp_ieee_invalid_op 0
		.amdhsa_exception_fp_denorm_src 0
		.amdhsa_exception_fp_ieee_div_zero 0
		.amdhsa_exception_fp_ieee_overflow 0
		.amdhsa_exception_fp_ieee_underflow 0
		.amdhsa_exception_fp_ieee_inexact 0
		.amdhsa_exception_int_div_zero 0
	.end_amdhsa_kernel
	.section	.text._ZN7rocprim17ROCPRIM_400000_NS6detail17trampoline_kernelINS0_14default_configENS1_22reduce_config_selectorIlEEZNS1_11reduce_implILb1ES3_PlS7_lN6hipcub16HIPCUB_304000_NS6detail34convert_binary_result_type_wrapperINS9_3SumENS9_22TransformInputIteratorIb7NonZeroIiEPilEElEEEE10hipError_tPvRmT1_T2_T3_mT4_P12ihipStream_tbEUlT_E1_NS1_11comp_targetILNS1_3genE4ELNS1_11target_archE910ELNS1_3gpuE8ELNS1_3repE0EEENS1_30default_config_static_selectorELNS0_4arch9wavefront6targetE1EEEvSM_,"axG",@progbits,_ZN7rocprim17ROCPRIM_400000_NS6detail17trampoline_kernelINS0_14default_configENS1_22reduce_config_selectorIlEEZNS1_11reduce_implILb1ES3_PlS7_lN6hipcub16HIPCUB_304000_NS6detail34convert_binary_result_type_wrapperINS9_3SumENS9_22TransformInputIteratorIb7NonZeroIiEPilEElEEEE10hipError_tPvRmT1_T2_T3_mT4_P12ihipStream_tbEUlT_E1_NS1_11comp_targetILNS1_3genE4ELNS1_11target_archE910ELNS1_3gpuE8ELNS1_3repE0EEENS1_30default_config_static_selectorELNS0_4arch9wavefront6targetE1EEEvSM_,comdat
.Lfunc_end160:
	.size	_ZN7rocprim17ROCPRIM_400000_NS6detail17trampoline_kernelINS0_14default_configENS1_22reduce_config_selectorIlEEZNS1_11reduce_implILb1ES3_PlS7_lN6hipcub16HIPCUB_304000_NS6detail34convert_binary_result_type_wrapperINS9_3SumENS9_22TransformInputIteratorIb7NonZeroIiEPilEElEEEE10hipError_tPvRmT1_T2_T3_mT4_P12ihipStream_tbEUlT_E1_NS1_11comp_targetILNS1_3genE4ELNS1_11target_archE910ELNS1_3gpuE8ELNS1_3repE0EEENS1_30default_config_static_selectorELNS0_4arch9wavefront6targetE1EEEvSM_, .Lfunc_end160-_ZN7rocprim17ROCPRIM_400000_NS6detail17trampoline_kernelINS0_14default_configENS1_22reduce_config_selectorIlEEZNS1_11reduce_implILb1ES3_PlS7_lN6hipcub16HIPCUB_304000_NS6detail34convert_binary_result_type_wrapperINS9_3SumENS9_22TransformInputIteratorIb7NonZeroIiEPilEElEEEE10hipError_tPvRmT1_T2_T3_mT4_P12ihipStream_tbEUlT_E1_NS1_11comp_targetILNS1_3genE4ELNS1_11target_archE910ELNS1_3gpuE8ELNS1_3repE0EEENS1_30default_config_static_selectorELNS0_4arch9wavefront6targetE1EEEvSM_
                                        ; -- End function
	.set _ZN7rocprim17ROCPRIM_400000_NS6detail17trampoline_kernelINS0_14default_configENS1_22reduce_config_selectorIlEEZNS1_11reduce_implILb1ES3_PlS7_lN6hipcub16HIPCUB_304000_NS6detail34convert_binary_result_type_wrapperINS9_3SumENS9_22TransformInputIteratorIb7NonZeroIiEPilEElEEEE10hipError_tPvRmT1_T2_T3_mT4_P12ihipStream_tbEUlT_E1_NS1_11comp_targetILNS1_3genE4ELNS1_11target_archE910ELNS1_3gpuE8ELNS1_3repE0EEENS1_30default_config_static_selectorELNS0_4arch9wavefront6targetE1EEEvSM_.num_vgpr, 0
	.set _ZN7rocprim17ROCPRIM_400000_NS6detail17trampoline_kernelINS0_14default_configENS1_22reduce_config_selectorIlEEZNS1_11reduce_implILb1ES3_PlS7_lN6hipcub16HIPCUB_304000_NS6detail34convert_binary_result_type_wrapperINS9_3SumENS9_22TransformInputIteratorIb7NonZeroIiEPilEElEEEE10hipError_tPvRmT1_T2_T3_mT4_P12ihipStream_tbEUlT_E1_NS1_11comp_targetILNS1_3genE4ELNS1_11target_archE910ELNS1_3gpuE8ELNS1_3repE0EEENS1_30default_config_static_selectorELNS0_4arch9wavefront6targetE1EEEvSM_.num_agpr, 0
	.set _ZN7rocprim17ROCPRIM_400000_NS6detail17trampoline_kernelINS0_14default_configENS1_22reduce_config_selectorIlEEZNS1_11reduce_implILb1ES3_PlS7_lN6hipcub16HIPCUB_304000_NS6detail34convert_binary_result_type_wrapperINS9_3SumENS9_22TransformInputIteratorIb7NonZeroIiEPilEElEEEE10hipError_tPvRmT1_T2_T3_mT4_P12ihipStream_tbEUlT_E1_NS1_11comp_targetILNS1_3genE4ELNS1_11target_archE910ELNS1_3gpuE8ELNS1_3repE0EEENS1_30default_config_static_selectorELNS0_4arch9wavefront6targetE1EEEvSM_.numbered_sgpr, 0
	.set _ZN7rocprim17ROCPRIM_400000_NS6detail17trampoline_kernelINS0_14default_configENS1_22reduce_config_selectorIlEEZNS1_11reduce_implILb1ES3_PlS7_lN6hipcub16HIPCUB_304000_NS6detail34convert_binary_result_type_wrapperINS9_3SumENS9_22TransformInputIteratorIb7NonZeroIiEPilEElEEEE10hipError_tPvRmT1_T2_T3_mT4_P12ihipStream_tbEUlT_E1_NS1_11comp_targetILNS1_3genE4ELNS1_11target_archE910ELNS1_3gpuE8ELNS1_3repE0EEENS1_30default_config_static_selectorELNS0_4arch9wavefront6targetE1EEEvSM_.num_named_barrier, 0
	.set _ZN7rocprim17ROCPRIM_400000_NS6detail17trampoline_kernelINS0_14default_configENS1_22reduce_config_selectorIlEEZNS1_11reduce_implILb1ES3_PlS7_lN6hipcub16HIPCUB_304000_NS6detail34convert_binary_result_type_wrapperINS9_3SumENS9_22TransformInputIteratorIb7NonZeroIiEPilEElEEEE10hipError_tPvRmT1_T2_T3_mT4_P12ihipStream_tbEUlT_E1_NS1_11comp_targetILNS1_3genE4ELNS1_11target_archE910ELNS1_3gpuE8ELNS1_3repE0EEENS1_30default_config_static_selectorELNS0_4arch9wavefront6targetE1EEEvSM_.private_seg_size, 0
	.set _ZN7rocprim17ROCPRIM_400000_NS6detail17trampoline_kernelINS0_14default_configENS1_22reduce_config_selectorIlEEZNS1_11reduce_implILb1ES3_PlS7_lN6hipcub16HIPCUB_304000_NS6detail34convert_binary_result_type_wrapperINS9_3SumENS9_22TransformInputIteratorIb7NonZeroIiEPilEElEEEE10hipError_tPvRmT1_T2_T3_mT4_P12ihipStream_tbEUlT_E1_NS1_11comp_targetILNS1_3genE4ELNS1_11target_archE910ELNS1_3gpuE8ELNS1_3repE0EEENS1_30default_config_static_selectorELNS0_4arch9wavefront6targetE1EEEvSM_.uses_vcc, 0
	.set _ZN7rocprim17ROCPRIM_400000_NS6detail17trampoline_kernelINS0_14default_configENS1_22reduce_config_selectorIlEEZNS1_11reduce_implILb1ES3_PlS7_lN6hipcub16HIPCUB_304000_NS6detail34convert_binary_result_type_wrapperINS9_3SumENS9_22TransformInputIteratorIb7NonZeroIiEPilEElEEEE10hipError_tPvRmT1_T2_T3_mT4_P12ihipStream_tbEUlT_E1_NS1_11comp_targetILNS1_3genE4ELNS1_11target_archE910ELNS1_3gpuE8ELNS1_3repE0EEENS1_30default_config_static_selectorELNS0_4arch9wavefront6targetE1EEEvSM_.uses_flat_scratch, 0
	.set _ZN7rocprim17ROCPRIM_400000_NS6detail17trampoline_kernelINS0_14default_configENS1_22reduce_config_selectorIlEEZNS1_11reduce_implILb1ES3_PlS7_lN6hipcub16HIPCUB_304000_NS6detail34convert_binary_result_type_wrapperINS9_3SumENS9_22TransformInputIteratorIb7NonZeroIiEPilEElEEEE10hipError_tPvRmT1_T2_T3_mT4_P12ihipStream_tbEUlT_E1_NS1_11comp_targetILNS1_3genE4ELNS1_11target_archE910ELNS1_3gpuE8ELNS1_3repE0EEENS1_30default_config_static_selectorELNS0_4arch9wavefront6targetE1EEEvSM_.has_dyn_sized_stack, 0
	.set _ZN7rocprim17ROCPRIM_400000_NS6detail17trampoline_kernelINS0_14default_configENS1_22reduce_config_selectorIlEEZNS1_11reduce_implILb1ES3_PlS7_lN6hipcub16HIPCUB_304000_NS6detail34convert_binary_result_type_wrapperINS9_3SumENS9_22TransformInputIteratorIb7NonZeroIiEPilEElEEEE10hipError_tPvRmT1_T2_T3_mT4_P12ihipStream_tbEUlT_E1_NS1_11comp_targetILNS1_3genE4ELNS1_11target_archE910ELNS1_3gpuE8ELNS1_3repE0EEENS1_30default_config_static_selectorELNS0_4arch9wavefront6targetE1EEEvSM_.has_recursion, 0
	.set _ZN7rocprim17ROCPRIM_400000_NS6detail17trampoline_kernelINS0_14default_configENS1_22reduce_config_selectorIlEEZNS1_11reduce_implILb1ES3_PlS7_lN6hipcub16HIPCUB_304000_NS6detail34convert_binary_result_type_wrapperINS9_3SumENS9_22TransformInputIteratorIb7NonZeroIiEPilEElEEEE10hipError_tPvRmT1_T2_T3_mT4_P12ihipStream_tbEUlT_E1_NS1_11comp_targetILNS1_3genE4ELNS1_11target_archE910ELNS1_3gpuE8ELNS1_3repE0EEENS1_30default_config_static_selectorELNS0_4arch9wavefront6targetE1EEEvSM_.has_indirect_call, 0
	.section	.AMDGPU.csdata,"",@progbits
; Kernel info:
; codeLenInByte = 0
; TotalNumSgprs: 6
; NumVgprs: 0
; NumAgprs: 0
; TotalNumVgprs: 0
; ScratchSize: 0
; MemoryBound: 0
; FloatMode: 240
; IeeeMode: 1
; LDSByteSize: 0 bytes/workgroup (compile time only)
; SGPRBlocks: 0
; VGPRBlocks: 0
; NumSGPRsForWavesPerEU: 6
; NumVGPRsForWavesPerEU: 1
; AccumOffset: 4
; Occupancy: 8
; WaveLimiterHint : 0
; COMPUTE_PGM_RSRC2:SCRATCH_EN: 0
; COMPUTE_PGM_RSRC2:USER_SGPR: 2
; COMPUTE_PGM_RSRC2:TRAP_HANDLER: 0
; COMPUTE_PGM_RSRC2:TGID_X_EN: 1
; COMPUTE_PGM_RSRC2:TGID_Y_EN: 0
; COMPUTE_PGM_RSRC2:TGID_Z_EN: 0
; COMPUTE_PGM_RSRC2:TIDIG_COMP_CNT: 0
; COMPUTE_PGM_RSRC3_GFX90A:ACCUM_OFFSET: 0
; COMPUTE_PGM_RSRC3_GFX90A:TG_SPLIT: 0
	.section	.text._ZN7rocprim17ROCPRIM_400000_NS6detail17trampoline_kernelINS0_14default_configENS1_22reduce_config_selectorIlEEZNS1_11reduce_implILb1ES3_PlS7_lN6hipcub16HIPCUB_304000_NS6detail34convert_binary_result_type_wrapperINS9_3SumENS9_22TransformInputIteratorIb7NonZeroIiEPilEElEEEE10hipError_tPvRmT1_T2_T3_mT4_P12ihipStream_tbEUlT_E1_NS1_11comp_targetILNS1_3genE3ELNS1_11target_archE908ELNS1_3gpuE7ELNS1_3repE0EEENS1_30default_config_static_selectorELNS0_4arch9wavefront6targetE1EEEvSM_,"axG",@progbits,_ZN7rocprim17ROCPRIM_400000_NS6detail17trampoline_kernelINS0_14default_configENS1_22reduce_config_selectorIlEEZNS1_11reduce_implILb1ES3_PlS7_lN6hipcub16HIPCUB_304000_NS6detail34convert_binary_result_type_wrapperINS9_3SumENS9_22TransformInputIteratorIb7NonZeroIiEPilEElEEEE10hipError_tPvRmT1_T2_T3_mT4_P12ihipStream_tbEUlT_E1_NS1_11comp_targetILNS1_3genE3ELNS1_11target_archE908ELNS1_3gpuE7ELNS1_3repE0EEENS1_30default_config_static_selectorELNS0_4arch9wavefront6targetE1EEEvSM_,comdat
	.protected	_ZN7rocprim17ROCPRIM_400000_NS6detail17trampoline_kernelINS0_14default_configENS1_22reduce_config_selectorIlEEZNS1_11reduce_implILb1ES3_PlS7_lN6hipcub16HIPCUB_304000_NS6detail34convert_binary_result_type_wrapperINS9_3SumENS9_22TransformInputIteratorIb7NonZeroIiEPilEElEEEE10hipError_tPvRmT1_T2_T3_mT4_P12ihipStream_tbEUlT_E1_NS1_11comp_targetILNS1_3genE3ELNS1_11target_archE908ELNS1_3gpuE7ELNS1_3repE0EEENS1_30default_config_static_selectorELNS0_4arch9wavefront6targetE1EEEvSM_ ; -- Begin function _ZN7rocprim17ROCPRIM_400000_NS6detail17trampoline_kernelINS0_14default_configENS1_22reduce_config_selectorIlEEZNS1_11reduce_implILb1ES3_PlS7_lN6hipcub16HIPCUB_304000_NS6detail34convert_binary_result_type_wrapperINS9_3SumENS9_22TransformInputIteratorIb7NonZeroIiEPilEElEEEE10hipError_tPvRmT1_T2_T3_mT4_P12ihipStream_tbEUlT_E1_NS1_11comp_targetILNS1_3genE3ELNS1_11target_archE908ELNS1_3gpuE7ELNS1_3repE0EEENS1_30default_config_static_selectorELNS0_4arch9wavefront6targetE1EEEvSM_
	.globl	_ZN7rocprim17ROCPRIM_400000_NS6detail17trampoline_kernelINS0_14default_configENS1_22reduce_config_selectorIlEEZNS1_11reduce_implILb1ES3_PlS7_lN6hipcub16HIPCUB_304000_NS6detail34convert_binary_result_type_wrapperINS9_3SumENS9_22TransformInputIteratorIb7NonZeroIiEPilEElEEEE10hipError_tPvRmT1_T2_T3_mT4_P12ihipStream_tbEUlT_E1_NS1_11comp_targetILNS1_3genE3ELNS1_11target_archE908ELNS1_3gpuE7ELNS1_3repE0EEENS1_30default_config_static_selectorELNS0_4arch9wavefront6targetE1EEEvSM_
	.p2align	8
	.type	_ZN7rocprim17ROCPRIM_400000_NS6detail17trampoline_kernelINS0_14default_configENS1_22reduce_config_selectorIlEEZNS1_11reduce_implILb1ES3_PlS7_lN6hipcub16HIPCUB_304000_NS6detail34convert_binary_result_type_wrapperINS9_3SumENS9_22TransformInputIteratorIb7NonZeroIiEPilEElEEEE10hipError_tPvRmT1_T2_T3_mT4_P12ihipStream_tbEUlT_E1_NS1_11comp_targetILNS1_3genE3ELNS1_11target_archE908ELNS1_3gpuE7ELNS1_3repE0EEENS1_30default_config_static_selectorELNS0_4arch9wavefront6targetE1EEEvSM_,@function
_ZN7rocprim17ROCPRIM_400000_NS6detail17trampoline_kernelINS0_14default_configENS1_22reduce_config_selectorIlEEZNS1_11reduce_implILb1ES3_PlS7_lN6hipcub16HIPCUB_304000_NS6detail34convert_binary_result_type_wrapperINS9_3SumENS9_22TransformInputIteratorIb7NonZeroIiEPilEElEEEE10hipError_tPvRmT1_T2_T3_mT4_P12ihipStream_tbEUlT_E1_NS1_11comp_targetILNS1_3genE3ELNS1_11target_archE908ELNS1_3gpuE7ELNS1_3repE0EEENS1_30default_config_static_selectorELNS0_4arch9wavefront6targetE1EEEvSM_: ; @_ZN7rocprim17ROCPRIM_400000_NS6detail17trampoline_kernelINS0_14default_configENS1_22reduce_config_selectorIlEEZNS1_11reduce_implILb1ES3_PlS7_lN6hipcub16HIPCUB_304000_NS6detail34convert_binary_result_type_wrapperINS9_3SumENS9_22TransformInputIteratorIb7NonZeroIiEPilEElEEEE10hipError_tPvRmT1_T2_T3_mT4_P12ihipStream_tbEUlT_E1_NS1_11comp_targetILNS1_3genE3ELNS1_11target_archE908ELNS1_3gpuE7ELNS1_3repE0EEENS1_30default_config_static_selectorELNS0_4arch9wavefront6targetE1EEEvSM_
; %bb.0:
	.section	.rodata,"a",@progbits
	.p2align	6, 0x0
	.amdhsa_kernel _ZN7rocprim17ROCPRIM_400000_NS6detail17trampoline_kernelINS0_14default_configENS1_22reduce_config_selectorIlEEZNS1_11reduce_implILb1ES3_PlS7_lN6hipcub16HIPCUB_304000_NS6detail34convert_binary_result_type_wrapperINS9_3SumENS9_22TransformInputIteratorIb7NonZeroIiEPilEElEEEE10hipError_tPvRmT1_T2_T3_mT4_P12ihipStream_tbEUlT_E1_NS1_11comp_targetILNS1_3genE3ELNS1_11target_archE908ELNS1_3gpuE7ELNS1_3repE0EEENS1_30default_config_static_selectorELNS0_4arch9wavefront6targetE1EEEvSM_
		.amdhsa_group_segment_fixed_size 0
		.amdhsa_private_segment_fixed_size 0
		.amdhsa_kernarg_size 48
		.amdhsa_user_sgpr_count 2
		.amdhsa_user_sgpr_dispatch_ptr 0
		.amdhsa_user_sgpr_queue_ptr 0
		.amdhsa_user_sgpr_kernarg_segment_ptr 1
		.amdhsa_user_sgpr_dispatch_id 0
		.amdhsa_user_sgpr_kernarg_preload_length 0
		.amdhsa_user_sgpr_kernarg_preload_offset 0
		.amdhsa_user_sgpr_private_segment_size 0
		.amdhsa_uses_dynamic_stack 0
		.amdhsa_enable_private_segment 0
		.amdhsa_system_sgpr_workgroup_id_x 1
		.amdhsa_system_sgpr_workgroup_id_y 0
		.amdhsa_system_sgpr_workgroup_id_z 0
		.amdhsa_system_sgpr_workgroup_info 0
		.amdhsa_system_vgpr_workitem_id 0
		.amdhsa_next_free_vgpr 1
		.amdhsa_next_free_sgpr 0
		.amdhsa_accum_offset 4
		.amdhsa_reserve_vcc 0
		.amdhsa_float_round_mode_32 0
		.amdhsa_float_round_mode_16_64 0
		.amdhsa_float_denorm_mode_32 3
		.amdhsa_float_denorm_mode_16_64 3
		.amdhsa_dx10_clamp 1
		.amdhsa_ieee_mode 1
		.amdhsa_fp16_overflow 0
		.amdhsa_tg_split 0
		.amdhsa_exception_fp_ieee_invalid_op 0
		.amdhsa_exception_fp_denorm_src 0
		.amdhsa_exception_fp_ieee_div_zero 0
		.amdhsa_exception_fp_ieee_overflow 0
		.amdhsa_exception_fp_ieee_underflow 0
		.amdhsa_exception_fp_ieee_inexact 0
		.amdhsa_exception_int_div_zero 0
	.end_amdhsa_kernel
	.section	.text._ZN7rocprim17ROCPRIM_400000_NS6detail17trampoline_kernelINS0_14default_configENS1_22reduce_config_selectorIlEEZNS1_11reduce_implILb1ES3_PlS7_lN6hipcub16HIPCUB_304000_NS6detail34convert_binary_result_type_wrapperINS9_3SumENS9_22TransformInputIteratorIb7NonZeroIiEPilEElEEEE10hipError_tPvRmT1_T2_T3_mT4_P12ihipStream_tbEUlT_E1_NS1_11comp_targetILNS1_3genE3ELNS1_11target_archE908ELNS1_3gpuE7ELNS1_3repE0EEENS1_30default_config_static_selectorELNS0_4arch9wavefront6targetE1EEEvSM_,"axG",@progbits,_ZN7rocprim17ROCPRIM_400000_NS6detail17trampoline_kernelINS0_14default_configENS1_22reduce_config_selectorIlEEZNS1_11reduce_implILb1ES3_PlS7_lN6hipcub16HIPCUB_304000_NS6detail34convert_binary_result_type_wrapperINS9_3SumENS9_22TransformInputIteratorIb7NonZeroIiEPilEElEEEE10hipError_tPvRmT1_T2_T3_mT4_P12ihipStream_tbEUlT_E1_NS1_11comp_targetILNS1_3genE3ELNS1_11target_archE908ELNS1_3gpuE7ELNS1_3repE0EEENS1_30default_config_static_selectorELNS0_4arch9wavefront6targetE1EEEvSM_,comdat
.Lfunc_end161:
	.size	_ZN7rocprim17ROCPRIM_400000_NS6detail17trampoline_kernelINS0_14default_configENS1_22reduce_config_selectorIlEEZNS1_11reduce_implILb1ES3_PlS7_lN6hipcub16HIPCUB_304000_NS6detail34convert_binary_result_type_wrapperINS9_3SumENS9_22TransformInputIteratorIb7NonZeroIiEPilEElEEEE10hipError_tPvRmT1_T2_T3_mT4_P12ihipStream_tbEUlT_E1_NS1_11comp_targetILNS1_3genE3ELNS1_11target_archE908ELNS1_3gpuE7ELNS1_3repE0EEENS1_30default_config_static_selectorELNS0_4arch9wavefront6targetE1EEEvSM_, .Lfunc_end161-_ZN7rocprim17ROCPRIM_400000_NS6detail17trampoline_kernelINS0_14default_configENS1_22reduce_config_selectorIlEEZNS1_11reduce_implILb1ES3_PlS7_lN6hipcub16HIPCUB_304000_NS6detail34convert_binary_result_type_wrapperINS9_3SumENS9_22TransformInputIteratorIb7NonZeroIiEPilEElEEEE10hipError_tPvRmT1_T2_T3_mT4_P12ihipStream_tbEUlT_E1_NS1_11comp_targetILNS1_3genE3ELNS1_11target_archE908ELNS1_3gpuE7ELNS1_3repE0EEENS1_30default_config_static_selectorELNS0_4arch9wavefront6targetE1EEEvSM_
                                        ; -- End function
	.set _ZN7rocprim17ROCPRIM_400000_NS6detail17trampoline_kernelINS0_14default_configENS1_22reduce_config_selectorIlEEZNS1_11reduce_implILb1ES3_PlS7_lN6hipcub16HIPCUB_304000_NS6detail34convert_binary_result_type_wrapperINS9_3SumENS9_22TransformInputIteratorIb7NonZeroIiEPilEElEEEE10hipError_tPvRmT1_T2_T3_mT4_P12ihipStream_tbEUlT_E1_NS1_11comp_targetILNS1_3genE3ELNS1_11target_archE908ELNS1_3gpuE7ELNS1_3repE0EEENS1_30default_config_static_selectorELNS0_4arch9wavefront6targetE1EEEvSM_.num_vgpr, 0
	.set _ZN7rocprim17ROCPRIM_400000_NS6detail17trampoline_kernelINS0_14default_configENS1_22reduce_config_selectorIlEEZNS1_11reduce_implILb1ES3_PlS7_lN6hipcub16HIPCUB_304000_NS6detail34convert_binary_result_type_wrapperINS9_3SumENS9_22TransformInputIteratorIb7NonZeroIiEPilEElEEEE10hipError_tPvRmT1_T2_T3_mT4_P12ihipStream_tbEUlT_E1_NS1_11comp_targetILNS1_3genE3ELNS1_11target_archE908ELNS1_3gpuE7ELNS1_3repE0EEENS1_30default_config_static_selectorELNS0_4arch9wavefront6targetE1EEEvSM_.num_agpr, 0
	.set _ZN7rocprim17ROCPRIM_400000_NS6detail17trampoline_kernelINS0_14default_configENS1_22reduce_config_selectorIlEEZNS1_11reduce_implILb1ES3_PlS7_lN6hipcub16HIPCUB_304000_NS6detail34convert_binary_result_type_wrapperINS9_3SumENS9_22TransformInputIteratorIb7NonZeroIiEPilEElEEEE10hipError_tPvRmT1_T2_T3_mT4_P12ihipStream_tbEUlT_E1_NS1_11comp_targetILNS1_3genE3ELNS1_11target_archE908ELNS1_3gpuE7ELNS1_3repE0EEENS1_30default_config_static_selectorELNS0_4arch9wavefront6targetE1EEEvSM_.numbered_sgpr, 0
	.set _ZN7rocprim17ROCPRIM_400000_NS6detail17trampoline_kernelINS0_14default_configENS1_22reduce_config_selectorIlEEZNS1_11reduce_implILb1ES3_PlS7_lN6hipcub16HIPCUB_304000_NS6detail34convert_binary_result_type_wrapperINS9_3SumENS9_22TransformInputIteratorIb7NonZeroIiEPilEElEEEE10hipError_tPvRmT1_T2_T3_mT4_P12ihipStream_tbEUlT_E1_NS1_11comp_targetILNS1_3genE3ELNS1_11target_archE908ELNS1_3gpuE7ELNS1_3repE0EEENS1_30default_config_static_selectorELNS0_4arch9wavefront6targetE1EEEvSM_.num_named_barrier, 0
	.set _ZN7rocprim17ROCPRIM_400000_NS6detail17trampoline_kernelINS0_14default_configENS1_22reduce_config_selectorIlEEZNS1_11reduce_implILb1ES3_PlS7_lN6hipcub16HIPCUB_304000_NS6detail34convert_binary_result_type_wrapperINS9_3SumENS9_22TransformInputIteratorIb7NonZeroIiEPilEElEEEE10hipError_tPvRmT1_T2_T3_mT4_P12ihipStream_tbEUlT_E1_NS1_11comp_targetILNS1_3genE3ELNS1_11target_archE908ELNS1_3gpuE7ELNS1_3repE0EEENS1_30default_config_static_selectorELNS0_4arch9wavefront6targetE1EEEvSM_.private_seg_size, 0
	.set _ZN7rocprim17ROCPRIM_400000_NS6detail17trampoline_kernelINS0_14default_configENS1_22reduce_config_selectorIlEEZNS1_11reduce_implILb1ES3_PlS7_lN6hipcub16HIPCUB_304000_NS6detail34convert_binary_result_type_wrapperINS9_3SumENS9_22TransformInputIteratorIb7NonZeroIiEPilEElEEEE10hipError_tPvRmT1_T2_T3_mT4_P12ihipStream_tbEUlT_E1_NS1_11comp_targetILNS1_3genE3ELNS1_11target_archE908ELNS1_3gpuE7ELNS1_3repE0EEENS1_30default_config_static_selectorELNS0_4arch9wavefront6targetE1EEEvSM_.uses_vcc, 0
	.set _ZN7rocprim17ROCPRIM_400000_NS6detail17trampoline_kernelINS0_14default_configENS1_22reduce_config_selectorIlEEZNS1_11reduce_implILb1ES3_PlS7_lN6hipcub16HIPCUB_304000_NS6detail34convert_binary_result_type_wrapperINS9_3SumENS9_22TransformInputIteratorIb7NonZeroIiEPilEElEEEE10hipError_tPvRmT1_T2_T3_mT4_P12ihipStream_tbEUlT_E1_NS1_11comp_targetILNS1_3genE3ELNS1_11target_archE908ELNS1_3gpuE7ELNS1_3repE0EEENS1_30default_config_static_selectorELNS0_4arch9wavefront6targetE1EEEvSM_.uses_flat_scratch, 0
	.set _ZN7rocprim17ROCPRIM_400000_NS6detail17trampoline_kernelINS0_14default_configENS1_22reduce_config_selectorIlEEZNS1_11reduce_implILb1ES3_PlS7_lN6hipcub16HIPCUB_304000_NS6detail34convert_binary_result_type_wrapperINS9_3SumENS9_22TransformInputIteratorIb7NonZeroIiEPilEElEEEE10hipError_tPvRmT1_T2_T3_mT4_P12ihipStream_tbEUlT_E1_NS1_11comp_targetILNS1_3genE3ELNS1_11target_archE908ELNS1_3gpuE7ELNS1_3repE0EEENS1_30default_config_static_selectorELNS0_4arch9wavefront6targetE1EEEvSM_.has_dyn_sized_stack, 0
	.set _ZN7rocprim17ROCPRIM_400000_NS6detail17trampoline_kernelINS0_14default_configENS1_22reduce_config_selectorIlEEZNS1_11reduce_implILb1ES3_PlS7_lN6hipcub16HIPCUB_304000_NS6detail34convert_binary_result_type_wrapperINS9_3SumENS9_22TransformInputIteratorIb7NonZeroIiEPilEElEEEE10hipError_tPvRmT1_T2_T3_mT4_P12ihipStream_tbEUlT_E1_NS1_11comp_targetILNS1_3genE3ELNS1_11target_archE908ELNS1_3gpuE7ELNS1_3repE0EEENS1_30default_config_static_selectorELNS0_4arch9wavefront6targetE1EEEvSM_.has_recursion, 0
	.set _ZN7rocprim17ROCPRIM_400000_NS6detail17trampoline_kernelINS0_14default_configENS1_22reduce_config_selectorIlEEZNS1_11reduce_implILb1ES3_PlS7_lN6hipcub16HIPCUB_304000_NS6detail34convert_binary_result_type_wrapperINS9_3SumENS9_22TransformInputIteratorIb7NonZeroIiEPilEElEEEE10hipError_tPvRmT1_T2_T3_mT4_P12ihipStream_tbEUlT_E1_NS1_11comp_targetILNS1_3genE3ELNS1_11target_archE908ELNS1_3gpuE7ELNS1_3repE0EEENS1_30default_config_static_selectorELNS0_4arch9wavefront6targetE1EEEvSM_.has_indirect_call, 0
	.section	.AMDGPU.csdata,"",@progbits
; Kernel info:
; codeLenInByte = 0
; TotalNumSgprs: 6
; NumVgprs: 0
; NumAgprs: 0
; TotalNumVgprs: 0
; ScratchSize: 0
; MemoryBound: 0
; FloatMode: 240
; IeeeMode: 1
; LDSByteSize: 0 bytes/workgroup (compile time only)
; SGPRBlocks: 0
; VGPRBlocks: 0
; NumSGPRsForWavesPerEU: 6
; NumVGPRsForWavesPerEU: 1
; AccumOffset: 4
; Occupancy: 8
; WaveLimiterHint : 0
; COMPUTE_PGM_RSRC2:SCRATCH_EN: 0
; COMPUTE_PGM_RSRC2:USER_SGPR: 2
; COMPUTE_PGM_RSRC2:TRAP_HANDLER: 0
; COMPUTE_PGM_RSRC2:TGID_X_EN: 1
; COMPUTE_PGM_RSRC2:TGID_Y_EN: 0
; COMPUTE_PGM_RSRC2:TGID_Z_EN: 0
; COMPUTE_PGM_RSRC2:TIDIG_COMP_CNT: 0
; COMPUTE_PGM_RSRC3_GFX90A:ACCUM_OFFSET: 0
; COMPUTE_PGM_RSRC3_GFX90A:TG_SPLIT: 0
	.section	.text._ZN7rocprim17ROCPRIM_400000_NS6detail17trampoline_kernelINS0_14default_configENS1_22reduce_config_selectorIlEEZNS1_11reduce_implILb1ES3_PlS7_lN6hipcub16HIPCUB_304000_NS6detail34convert_binary_result_type_wrapperINS9_3SumENS9_22TransformInputIteratorIb7NonZeroIiEPilEElEEEE10hipError_tPvRmT1_T2_T3_mT4_P12ihipStream_tbEUlT_E1_NS1_11comp_targetILNS1_3genE2ELNS1_11target_archE906ELNS1_3gpuE6ELNS1_3repE0EEENS1_30default_config_static_selectorELNS0_4arch9wavefront6targetE1EEEvSM_,"axG",@progbits,_ZN7rocprim17ROCPRIM_400000_NS6detail17trampoline_kernelINS0_14default_configENS1_22reduce_config_selectorIlEEZNS1_11reduce_implILb1ES3_PlS7_lN6hipcub16HIPCUB_304000_NS6detail34convert_binary_result_type_wrapperINS9_3SumENS9_22TransformInputIteratorIb7NonZeroIiEPilEElEEEE10hipError_tPvRmT1_T2_T3_mT4_P12ihipStream_tbEUlT_E1_NS1_11comp_targetILNS1_3genE2ELNS1_11target_archE906ELNS1_3gpuE6ELNS1_3repE0EEENS1_30default_config_static_selectorELNS0_4arch9wavefront6targetE1EEEvSM_,comdat
	.protected	_ZN7rocprim17ROCPRIM_400000_NS6detail17trampoline_kernelINS0_14default_configENS1_22reduce_config_selectorIlEEZNS1_11reduce_implILb1ES3_PlS7_lN6hipcub16HIPCUB_304000_NS6detail34convert_binary_result_type_wrapperINS9_3SumENS9_22TransformInputIteratorIb7NonZeroIiEPilEElEEEE10hipError_tPvRmT1_T2_T3_mT4_P12ihipStream_tbEUlT_E1_NS1_11comp_targetILNS1_3genE2ELNS1_11target_archE906ELNS1_3gpuE6ELNS1_3repE0EEENS1_30default_config_static_selectorELNS0_4arch9wavefront6targetE1EEEvSM_ ; -- Begin function _ZN7rocprim17ROCPRIM_400000_NS6detail17trampoline_kernelINS0_14default_configENS1_22reduce_config_selectorIlEEZNS1_11reduce_implILb1ES3_PlS7_lN6hipcub16HIPCUB_304000_NS6detail34convert_binary_result_type_wrapperINS9_3SumENS9_22TransformInputIteratorIb7NonZeroIiEPilEElEEEE10hipError_tPvRmT1_T2_T3_mT4_P12ihipStream_tbEUlT_E1_NS1_11comp_targetILNS1_3genE2ELNS1_11target_archE906ELNS1_3gpuE6ELNS1_3repE0EEENS1_30default_config_static_selectorELNS0_4arch9wavefront6targetE1EEEvSM_
	.globl	_ZN7rocprim17ROCPRIM_400000_NS6detail17trampoline_kernelINS0_14default_configENS1_22reduce_config_selectorIlEEZNS1_11reduce_implILb1ES3_PlS7_lN6hipcub16HIPCUB_304000_NS6detail34convert_binary_result_type_wrapperINS9_3SumENS9_22TransformInputIteratorIb7NonZeroIiEPilEElEEEE10hipError_tPvRmT1_T2_T3_mT4_P12ihipStream_tbEUlT_E1_NS1_11comp_targetILNS1_3genE2ELNS1_11target_archE906ELNS1_3gpuE6ELNS1_3repE0EEENS1_30default_config_static_selectorELNS0_4arch9wavefront6targetE1EEEvSM_
	.p2align	8
	.type	_ZN7rocprim17ROCPRIM_400000_NS6detail17trampoline_kernelINS0_14default_configENS1_22reduce_config_selectorIlEEZNS1_11reduce_implILb1ES3_PlS7_lN6hipcub16HIPCUB_304000_NS6detail34convert_binary_result_type_wrapperINS9_3SumENS9_22TransformInputIteratorIb7NonZeroIiEPilEElEEEE10hipError_tPvRmT1_T2_T3_mT4_P12ihipStream_tbEUlT_E1_NS1_11comp_targetILNS1_3genE2ELNS1_11target_archE906ELNS1_3gpuE6ELNS1_3repE0EEENS1_30default_config_static_selectorELNS0_4arch9wavefront6targetE1EEEvSM_,@function
_ZN7rocprim17ROCPRIM_400000_NS6detail17trampoline_kernelINS0_14default_configENS1_22reduce_config_selectorIlEEZNS1_11reduce_implILb1ES3_PlS7_lN6hipcub16HIPCUB_304000_NS6detail34convert_binary_result_type_wrapperINS9_3SumENS9_22TransformInputIteratorIb7NonZeroIiEPilEElEEEE10hipError_tPvRmT1_T2_T3_mT4_P12ihipStream_tbEUlT_E1_NS1_11comp_targetILNS1_3genE2ELNS1_11target_archE906ELNS1_3gpuE6ELNS1_3repE0EEENS1_30default_config_static_selectorELNS0_4arch9wavefront6targetE1EEEvSM_: ; @_ZN7rocprim17ROCPRIM_400000_NS6detail17trampoline_kernelINS0_14default_configENS1_22reduce_config_selectorIlEEZNS1_11reduce_implILb1ES3_PlS7_lN6hipcub16HIPCUB_304000_NS6detail34convert_binary_result_type_wrapperINS9_3SumENS9_22TransformInputIteratorIb7NonZeroIiEPilEElEEEE10hipError_tPvRmT1_T2_T3_mT4_P12ihipStream_tbEUlT_E1_NS1_11comp_targetILNS1_3genE2ELNS1_11target_archE906ELNS1_3gpuE6ELNS1_3repE0EEENS1_30default_config_static_selectorELNS0_4arch9wavefront6targetE1EEEvSM_
; %bb.0:
	.section	.rodata,"a",@progbits
	.p2align	6, 0x0
	.amdhsa_kernel _ZN7rocprim17ROCPRIM_400000_NS6detail17trampoline_kernelINS0_14default_configENS1_22reduce_config_selectorIlEEZNS1_11reduce_implILb1ES3_PlS7_lN6hipcub16HIPCUB_304000_NS6detail34convert_binary_result_type_wrapperINS9_3SumENS9_22TransformInputIteratorIb7NonZeroIiEPilEElEEEE10hipError_tPvRmT1_T2_T3_mT4_P12ihipStream_tbEUlT_E1_NS1_11comp_targetILNS1_3genE2ELNS1_11target_archE906ELNS1_3gpuE6ELNS1_3repE0EEENS1_30default_config_static_selectorELNS0_4arch9wavefront6targetE1EEEvSM_
		.amdhsa_group_segment_fixed_size 0
		.amdhsa_private_segment_fixed_size 0
		.amdhsa_kernarg_size 48
		.amdhsa_user_sgpr_count 2
		.amdhsa_user_sgpr_dispatch_ptr 0
		.amdhsa_user_sgpr_queue_ptr 0
		.amdhsa_user_sgpr_kernarg_segment_ptr 1
		.amdhsa_user_sgpr_dispatch_id 0
		.amdhsa_user_sgpr_kernarg_preload_length 0
		.amdhsa_user_sgpr_kernarg_preload_offset 0
		.amdhsa_user_sgpr_private_segment_size 0
		.amdhsa_uses_dynamic_stack 0
		.amdhsa_enable_private_segment 0
		.amdhsa_system_sgpr_workgroup_id_x 1
		.amdhsa_system_sgpr_workgroup_id_y 0
		.amdhsa_system_sgpr_workgroup_id_z 0
		.amdhsa_system_sgpr_workgroup_info 0
		.amdhsa_system_vgpr_workitem_id 0
		.amdhsa_next_free_vgpr 1
		.amdhsa_next_free_sgpr 0
		.amdhsa_accum_offset 4
		.amdhsa_reserve_vcc 0
		.amdhsa_float_round_mode_32 0
		.amdhsa_float_round_mode_16_64 0
		.amdhsa_float_denorm_mode_32 3
		.amdhsa_float_denorm_mode_16_64 3
		.amdhsa_dx10_clamp 1
		.amdhsa_ieee_mode 1
		.amdhsa_fp16_overflow 0
		.amdhsa_tg_split 0
		.amdhsa_exception_fp_ieee_invalid_op 0
		.amdhsa_exception_fp_denorm_src 0
		.amdhsa_exception_fp_ieee_div_zero 0
		.amdhsa_exception_fp_ieee_overflow 0
		.amdhsa_exception_fp_ieee_underflow 0
		.amdhsa_exception_fp_ieee_inexact 0
		.amdhsa_exception_int_div_zero 0
	.end_amdhsa_kernel
	.section	.text._ZN7rocprim17ROCPRIM_400000_NS6detail17trampoline_kernelINS0_14default_configENS1_22reduce_config_selectorIlEEZNS1_11reduce_implILb1ES3_PlS7_lN6hipcub16HIPCUB_304000_NS6detail34convert_binary_result_type_wrapperINS9_3SumENS9_22TransformInputIteratorIb7NonZeroIiEPilEElEEEE10hipError_tPvRmT1_T2_T3_mT4_P12ihipStream_tbEUlT_E1_NS1_11comp_targetILNS1_3genE2ELNS1_11target_archE906ELNS1_3gpuE6ELNS1_3repE0EEENS1_30default_config_static_selectorELNS0_4arch9wavefront6targetE1EEEvSM_,"axG",@progbits,_ZN7rocprim17ROCPRIM_400000_NS6detail17trampoline_kernelINS0_14default_configENS1_22reduce_config_selectorIlEEZNS1_11reduce_implILb1ES3_PlS7_lN6hipcub16HIPCUB_304000_NS6detail34convert_binary_result_type_wrapperINS9_3SumENS9_22TransformInputIteratorIb7NonZeroIiEPilEElEEEE10hipError_tPvRmT1_T2_T3_mT4_P12ihipStream_tbEUlT_E1_NS1_11comp_targetILNS1_3genE2ELNS1_11target_archE906ELNS1_3gpuE6ELNS1_3repE0EEENS1_30default_config_static_selectorELNS0_4arch9wavefront6targetE1EEEvSM_,comdat
.Lfunc_end162:
	.size	_ZN7rocprim17ROCPRIM_400000_NS6detail17trampoline_kernelINS0_14default_configENS1_22reduce_config_selectorIlEEZNS1_11reduce_implILb1ES3_PlS7_lN6hipcub16HIPCUB_304000_NS6detail34convert_binary_result_type_wrapperINS9_3SumENS9_22TransformInputIteratorIb7NonZeroIiEPilEElEEEE10hipError_tPvRmT1_T2_T3_mT4_P12ihipStream_tbEUlT_E1_NS1_11comp_targetILNS1_3genE2ELNS1_11target_archE906ELNS1_3gpuE6ELNS1_3repE0EEENS1_30default_config_static_selectorELNS0_4arch9wavefront6targetE1EEEvSM_, .Lfunc_end162-_ZN7rocprim17ROCPRIM_400000_NS6detail17trampoline_kernelINS0_14default_configENS1_22reduce_config_selectorIlEEZNS1_11reduce_implILb1ES3_PlS7_lN6hipcub16HIPCUB_304000_NS6detail34convert_binary_result_type_wrapperINS9_3SumENS9_22TransformInputIteratorIb7NonZeroIiEPilEElEEEE10hipError_tPvRmT1_T2_T3_mT4_P12ihipStream_tbEUlT_E1_NS1_11comp_targetILNS1_3genE2ELNS1_11target_archE906ELNS1_3gpuE6ELNS1_3repE0EEENS1_30default_config_static_selectorELNS0_4arch9wavefront6targetE1EEEvSM_
                                        ; -- End function
	.set _ZN7rocprim17ROCPRIM_400000_NS6detail17trampoline_kernelINS0_14default_configENS1_22reduce_config_selectorIlEEZNS1_11reduce_implILb1ES3_PlS7_lN6hipcub16HIPCUB_304000_NS6detail34convert_binary_result_type_wrapperINS9_3SumENS9_22TransformInputIteratorIb7NonZeroIiEPilEElEEEE10hipError_tPvRmT1_T2_T3_mT4_P12ihipStream_tbEUlT_E1_NS1_11comp_targetILNS1_3genE2ELNS1_11target_archE906ELNS1_3gpuE6ELNS1_3repE0EEENS1_30default_config_static_selectorELNS0_4arch9wavefront6targetE1EEEvSM_.num_vgpr, 0
	.set _ZN7rocprim17ROCPRIM_400000_NS6detail17trampoline_kernelINS0_14default_configENS1_22reduce_config_selectorIlEEZNS1_11reduce_implILb1ES3_PlS7_lN6hipcub16HIPCUB_304000_NS6detail34convert_binary_result_type_wrapperINS9_3SumENS9_22TransformInputIteratorIb7NonZeroIiEPilEElEEEE10hipError_tPvRmT1_T2_T3_mT4_P12ihipStream_tbEUlT_E1_NS1_11comp_targetILNS1_3genE2ELNS1_11target_archE906ELNS1_3gpuE6ELNS1_3repE0EEENS1_30default_config_static_selectorELNS0_4arch9wavefront6targetE1EEEvSM_.num_agpr, 0
	.set _ZN7rocprim17ROCPRIM_400000_NS6detail17trampoline_kernelINS0_14default_configENS1_22reduce_config_selectorIlEEZNS1_11reduce_implILb1ES3_PlS7_lN6hipcub16HIPCUB_304000_NS6detail34convert_binary_result_type_wrapperINS9_3SumENS9_22TransformInputIteratorIb7NonZeroIiEPilEElEEEE10hipError_tPvRmT1_T2_T3_mT4_P12ihipStream_tbEUlT_E1_NS1_11comp_targetILNS1_3genE2ELNS1_11target_archE906ELNS1_3gpuE6ELNS1_3repE0EEENS1_30default_config_static_selectorELNS0_4arch9wavefront6targetE1EEEvSM_.numbered_sgpr, 0
	.set _ZN7rocprim17ROCPRIM_400000_NS6detail17trampoline_kernelINS0_14default_configENS1_22reduce_config_selectorIlEEZNS1_11reduce_implILb1ES3_PlS7_lN6hipcub16HIPCUB_304000_NS6detail34convert_binary_result_type_wrapperINS9_3SumENS9_22TransformInputIteratorIb7NonZeroIiEPilEElEEEE10hipError_tPvRmT1_T2_T3_mT4_P12ihipStream_tbEUlT_E1_NS1_11comp_targetILNS1_3genE2ELNS1_11target_archE906ELNS1_3gpuE6ELNS1_3repE0EEENS1_30default_config_static_selectorELNS0_4arch9wavefront6targetE1EEEvSM_.num_named_barrier, 0
	.set _ZN7rocprim17ROCPRIM_400000_NS6detail17trampoline_kernelINS0_14default_configENS1_22reduce_config_selectorIlEEZNS1_11reduce_implILb1ES3_PlS7_lN6hipcub16HIPCUB_304000_NS6detail34convert_binary_result_type_wrapperINS9_3SumENS9_22TransformInputIteratorIb7NonZeroIiEPilEElEEEE10hipError_tPvRmT1_T2_T3_mT4_P12ihipStream_tbEUlT_E1_NS1_11comp_targetILNS1_3genE2ELNS1_11target_archE906ELNS1_3gpuE6ELNS1_3repE0EEENS1_30default_config_static_selectorELNS0_4arch9wavefront6targetE1EEEvSM_.private_seg_size, 0
	.set _ZN7rocprim17ROCPRIM_400000_NS6detail17trampoline_kernelINS0_14default_configENS1_22reduce_config_selectorIlEEZNS1_11reduce_implILb1ES3_PlS7_lN6hipcub16HIPCUB_304000_NS6detail34convert_binary_result_type_wrapperINS9_3SumENS9_22TransformInputIteratorIb7NonZeroIiEPilEElEEEE10hipError_tPvRmT1_T2_T3_mT4_P12ihipStream_tbEUlT_E1_NS1_11comp_targetILNS1_3genE2ELNS1_11target_archE906ELNS1_3gpuE6ELNS1_3repE0EEENS1_30default_config_static_selectorELNS0_4arch9wavefront6targetE1EEEvSM_.uses_vcc, 0
	.set _ZN7rocprim17ROCPRIM_400000_NS6detail17trampoline_kernelINS0_14default_configENS1_22reduce_config_selectorIlEEZNS1_11reduce_implILb1ES3_PlS7_lN6hipcub16HIPCUB_304000_NS6detail34convert_binary_result_type_wrapperINS9_3SumENS9_22TransformInputIteratorIb7NonZeroIiEPilEElEEEE10hipError_tPvRmT1_T2_T3_mT4_P12ihipStream_tbEUlT_E1_NS1_11comp_targetILNS1_3genE2ELNS1_11target_archE906ELNS1_3gpuE6ELNS1_3repE0EEENS1_30default_config_static_selectorELNS0_4arch9wavefront6targetE1EEEvSM_.uses_flat_scratch, 0
	.set _ZN7rocprim17ROCPRIM_400000_NS6detail17trampoline_kernelINS0_14default_configENS1_22reduce_config_selectorIlEEZNS1_11reduce_implILb1ES3_PlS7_lN6hipcub16HIPCUB_304000_NS6detail34convert_binary_result_type_wrapperINS9_3SumENS9_22TransformInputIteratorIb7NonZeroIiEPilEElEEEE10hipError_tPvRmT1_T2_T3_mT4_P12ihipStream_tbEUlT_E1_NS1_11comp_targetILNS1_3genE2ELNS1_11target_archE906ELNS1_3gpuE6ELNS1_3repE0EEENS1_30default_config_static_selectorELNS0_4arch9wavefront6targetE1EEEvSM_.has_dyn_sized_stack, 0
	.set _ZN7rocprim17ROCPRIM_400000_NS6detail17trampoline_kernelINS0_14default_configENS1_22reduce_config_selectorIlEEZNS1_11reduce_implILb1ES3_PlS7_lN6hipcub16HIPCUB_304000_NS6detail34convert_binary_result_type_wrapperINS9_3SumENS9_22TransformInputIteratorIb7NonZeroIiEPilEElEEEE10hipError_tPvRmT1_T2_T3_mT4_P12ihipStream_tbEUlT_E1_NS1_11comp_targetILNS1_3genE2ELNS1_11target_archE906ELNS1_3gpuE6ELNS1_3repE0EEENS1_30default_config_static_selectorELNS0_4arch9wavefront6targetE1EEEvSM_.has_recursion, 0
	.set _ZN7rocprim17ROCPRIM_400000_NS6detail17trampoline_kernelINS0_14default_configENS1_22reduce_config_selectorIlEEZNS1_11reduce_implILb1ES3_PlS7_lN6hipcub16HIPCUB_304000_NS6detail34convert_binary_result_type_wrapperINS9_3SumENS9_22TransformInputIteratorIb7NonZeroIiEPilEElEEEE10hipError_tPvRmT1_T2_T3_mT4_P12ihipStream_tbEUlT_E1_NS1_11comp_targetILNS1_3genE2ELNS1_11target_archE906ELNS1_3gpuE6ELNS1_3repE0EEENS1_30default_config_static_selectorELNS0_4arch9wavefront6targetE1EEEvSM_.has_indirect_call, 0
	.section	.AMDGPU.csdata,"",@progbits
; Kernel info:
; codeLenInByte = 0
; TotalNumSgprs: 6
; NumVgprs: 0
; NumAgprs: 0
; TotalNumVgprs: 0
; ScratchSize: 0
; MemoryBound: 0
; FloatMode: 240
; IeeeMode: 1
; LDSByteSize: 0 bytes/workgroup (compile time only)
; SGPRBlocks: 0
; VGPRBlocks: 0
; NumSGPRsForWavesPerEU: 6
; NumVGPRsForWavesPerEU: 1
; AccumOffset: 4
; Occupancy: 8
; WaveLimiterHint : 0
; COMPUTE_PGM_RSRC2:SCRATCH_EN: 0
; COMPUTE_PGM_RSRC2:USER_SGPR: 2
; COMPUTE_PGM_RSRC2:TRAP_HANDLER: 0
; COMPUTE_PGM_RSRC2:TGID_X_EN: 1
; COMPUTE_PGM_RSRC2:TGID_Y_EN: 0
; COMPUTE_PGM_RSRC2:TGID_Z_EN: 0
; COMPUTE_PGM_RSRC2:TIDIG_COMP_CNT: 0
; COMPUTE_PGM_RSRC3_GFX90A:ACCUM_OFFSET: 0
; COMPUTE_PGM_RSRC3_GFX90A:TG_SPLIT: 0
	.section	.text._ZN7rocprim17ROCPRIM_400000_NS6detail17trampoline_kernelINS0_14default_configENS1_22reduce_config_selectorIlEEZNS1_11reduce_implILb1ES3_PlS7_lN6hipcub16HIPCUB_304000_NS6detail34convert_binary_result_type_wrapperINS9_3SumENS9_22TransformInputIteratorIb7NonZeroIiEPilEElEEEE10hipError_tPvRmT1_T2_T3_mT4_P12ihipStream_tbEUlT_E1_NS1_11comp_targetILNS1_3genE10ELNS1_11target_archE1201ELNS1_3gpuE5ELNS1_3repE0EEENS1_30default_config_static_selectorELNS0_4arch9wavefront6targetE1EEEvSM_,"axG",@progbits,_ZN7rocprim17ROCPRIM_400000_NS6detail17trampoline_kernelINS0_14default_configENS1_22reduce_config_selectorIlEEZNS1_11reduce_implILb1ES3_PlS7_lN6hipcub16HIPCUB_304000_NS6detail34convert_binary_result_type_wrapperINS9_3SumENS9_22TransformInputIteratorIb7NonZeroIiEPilEElEEEE10hipError_tPvRmT1_T2_T3_mT4_P12ihipStream_tbEUlT_E1_NS1_11comp_targetILNS1_3genE10ELNS1_11target_archE1201ELNS1_3gpuE5ELNS1_3repE0EEENS1_30default_config_static_selectorELNS0_4arch9wavefront6targetE1EEEvSM_,comdat
	.protected	_ZN7rocprim17ROCPRIM_400000_NS6detail17trampoline_kernelINS0_14default_configENS1_22reduce_config_selectorIlEEZNS1_11reduce_implILb1ES3_PlS7_lN6hipcub16HIPCUB_304000_NS6detail34convert_binary_result_type_wrapperINS9_3SumENS9_22TransformInputIteratorIb7NonZeroIiEPilEElEEEE10hipError_tPvRmT1_T2_T3_mT4_P12ihipStream_tbEUlT_E1_NS1_11comp_targetILNS1_3genE10ELNS1_11target_archE1201ELNS1_3gpuE5ELNS1_3repE0EEENS1_30default_config_static_selectorELNS0_4arch9wavefront6targetE1EEEvSM_ ; -- Begin function _ZN7rocprim17ROCPRIM_400000_NS6detail17trampoline_kernelINS0_14default_configENS1_22reduce_config_selectorIlEEZNS1_11reduce_implILb1ES3_PlS7_lN6hipcub16HIPCUB_304000_NS6detail34convert_binary_result_type_wrapperINS9_3SumENS9_22TransformInputIteratorIb7NonZeroIiEPilEElEEEE10hipError_tPvRmT1_T2_T3_mT4_P12ihipStream_tbEUlT_E1_NS1_11comp_targetILNS1_3genE10ELNS1_11target_archE1201ELNS1_3gpuE5ELNS1_3repE0EEENS1_30default_config_static_selectorELNS0_4arch9wavefront6targetE1EEEvSM_
	.globl	_ZN7rocprim17ROCPRIM_400000_NS6detail17trampoline_kernelINS0_14default_configENS1_22reduce_config_selectorIlEEZNS1_11reduce_implILb1ES3_PlS7_lN6hipcub16HIPCUB_304000_NS6detail34convert_binary_result_type_wrapperINS9_3SumENS9_22TransformInputIteratorIb7NonZeroIiEPilEElEEEE10hipError_tPvRmT1_T2_T3_mT4_P12ihipStream_tbEUlT_E1_NS1_11comp_targetILNS1_3genE10ELNS1_11target_archE1201ELNS1_3gpuE5ELNS1_3repE0EEENS1_30default_config_static_selectorELNS0_4arch9wavefront6targetE1EEEvSM_
	.p2align	8
	.type	_ZN7rocprim17ROCPRIM_400000_NS6detail17trampoline_kernelINS0_14default_configENS1_22reduce_config_selectorIlEEZNS1_11reduce_implILb1ES3_PlS7_lN6hipcub16HIPCUB_304000_NS6detail34convert_binary_result_type_wrapperINS9_3SumENS9_22TransformInputIteratorIb7NonZeroIiEPilEElEEEE10hipError_tPvRmT1_T2_T3_mT4_P12ihipStream_tbEUlT_E1_NS1_11comp_targetILNS1_3genE10ELNS1_11target_archE1201ELNS1_3gpuE5ELNS1_3repE0EEENS1_30default_config_static_selectorELNS0_4arch9wavefront6targetE1EEEvSM_,@function
_ZN7rocprim17ROCPRIM_400000_NS6detail17trampoline_kernelINS0_14default_configENS1_22reduce_config_selectorIlEEZNS1_11reduce_implILb1ES3_PlS7_lN6hipcub16HIPCUB_304000_NS6detail34convert_binary_result_type_wrapperINS9_3SumENS9_22TransformInputIteratorIb7NonZeroIiEPilEElEEEE10hipError_tPvRmT1_T2_T3_mT4_P12ihipStream_tbEUlT_E1_NS1_11comp_targetILNS1_3genE10ELNS1_11target_archE1201ELNS1_3gpuE5ELNS1_3repE0EEENS1_30default_config_static_selectorELNS0_4arch9wavefront6targetE1EEEvSM_: ; @_ZN7rocprim17ROCPRIM_400000_NS6detail17trampoline_kernelINS0_14default_configENS1_22reduce_config_selectorIlEEZNS1_11reduce_implILb1ES3_PlS7_lN6hipcub16HIPCUB_304000_NS6detail34convert_binary_result_type_wrapperINS9_3SumENS9_22TransformInputIteratorIb7NonZeroIiEPilEElEEEE10hipError_tPvRmT1_T2_T3_mT4_P12ihipStream_tbEUlT_E1_NS1_11comp_targetILNS1_3genE10ELNS1_11target_archE1201ELNS1_3gpuE5ELNS1_3repE0EEENS1_30default_config_static_selectorELNS0_4arch9wavefront6targetE1EEEvSM_
; %bb.0:
	.section	.rodata,"a",@progbits
	.p2align	6, 0x0
	.amdhsa_kernel _ZN7rocprim17ROCPRIM_400000_NS6detail17trampoline_kernelINS0_14default_configENS1_22reduce_config_selectorIlEEZNS1_11reduce_implILb1ES3_PlS7_lN6hipcub16HIPCUB_304000_NS6detail34convert_binary_result_type_wrapperINS9_3SumENS9_22TransformInputIteratorIb7NonZeroIiEPilEElEEEE10hipError_tPvRmT1_T2_T3_mT4_P12ihipStream_tbEUlT_E1_NS1_11comp_targetILNS1_3genE10ELNS1_11target_archE1201ELNS1_3gpuE5ELNS1_3repE0EEENS1_30default_config_static_selectorELNS0_4arch9wavefront6targetE1EEEvSM_
		.amdhsa_group_segment_fixed_size 0
		.amdhsa_private_segment_fixed_size 0
		.amdhsa_kernarg_size 48
		.amdhsa_user_sgpr_count 2
		.amdhsa_user_sgpr_dispatch_ptr 0
		.amdhsa_user_sgpr_queue_ptr 0
		.amdhsa_user_sgpr_kernarg_segment_ptr 1
		.amdhsa_user_sgpr_dispatch_id 0
		.amdhsa_user_sgpr_kernarg_preload_length 0
		.amdhsa_user_sgpr_kernarg_preload_offset 0
		.amdhsa_user_sgpr_private_segment_size 0
		.amdhsa_uses_dynamic_stack 0
		.amdhsa_enable_private_segment 0
		.amdhsa_system_sgpr_workgroup_id_x 1
		.amdhsa_system_sgpr_workgroup_id_y 0
		.amdhsa_system_sgpr_workgroup_id_z 0
		.amdhsa_system_sgpr_workgroup_info 0
		.amdhsa_system_vgpr_workitem_id 0
		.amdhsa_next_free_vgpr 1
		.amdhsa_next_free_sgpr 0
		.amdhsa_accum_offset 4
		.amdhsa_reserve_vcc 0
		.amdhsa_float_round_mode_32 0
		.amdhsa_float_round_mode_16_64 0
		.amdhsa_float_denorm_mode_32 3
		.amdhsa_float_denorm_mode_16_64 3
		.amdhsa_dx10_clamp 1
		.amdhsa_ieee_mode 1
		.amdhsa_fp16_overflow 0
		.amdhsa_tg_split 0
		.amdhsa_exception_fp_ieee_invalid_op 0
		.amdhsa_exception_fp_denorm_src 0
		.amdhsa_exception_fp_ieee_div_zero 0
		.amdhsa_exception_fp_ieee_overflow 0
		.amdhsa_exception_fp_ieee_underflow 0
		.amdhsa_exception_fp_ieee_inexact 0
		.amdhsa_exception_int_div_zero 0
	.end_amdhsa_kernel
	.section	.text._ZN7rocprim17ROCPRIM_400000_NS6detail17trampoline_kernelINS0_14default_configENS1_22reduce_config_selectorIlEEZNS1_11reduce_implILb1ES3_PlS7_lN6hipcub16HIPCUB_304000_NS6detail34convert_binary_result_type_wrapperINS9_3SumENS9_22TransformInputIteratorIb7NonZeroIiEPilEElEEEE10hipError_tPvRmT1_T2_T3_mT4_P12ihipStream_tbEUlT_E1_NS1_11comp_targetILNS1_3genE10ELNS1_11target_archE1201ELNS1_3gpuE5ELNS1_3repE0EEENS1_30default_config_static_selectorELNS0_4arch9wavefront6targetE1EEEvSM_,"axG",@progbits,_ZN7rocprim17ROCPRIM_400000_NS6detail17trampoline_kernelINS0_14default_configENS1_22reduce_config_selectorIlEEZNS1_11reduce_implILb1ES3_PlS7_lN6hipcub16HIPCUB_304000_NS6detail34convert_binary_result_type_wrapperINS9_3SumENS9_22TransformInputIteratorIb7NonZeroIiEPilEElEEEE10hipError_tPvRmT1_T2_T3_mT4_P12ihipStream_tbEUlT_E1_NS1_11comp_targetILNS1_3genE10ELNS1_11target_archE1201ELNS1_3gpuE5ELNS1_3repE0EEENS1_30default_config_static_selectorELNS0_4arch9wavefront6targetE1EEEvSM_,comdat
.Lfunc_end163:
	.size	_ZN7rocprim17ROCPRIM_400000_NS6detail17trampoline_kernelINS0_14default_configENS1_22reduce_config_selectorIlEEZNS1_11reduce_implILb1ES3_PlS7_lN6hipcub16HIPCUB_304000_NS6detail34convert_binary_result_type_wrapperINS9_3SumENS9_22TransformInputIteratorIb7NonZeroIiEPilEElEEEE10hipError_tPvRmT1_T2_T3_mT4_P12ihipStream_tbEUlT_E1_NS1_11comp_targetILNS1_3genE10ELNS1_11target_archE1201ELNS1_3gpuE5ELNS1_3repE0EEENS1_30default_config_static_selectorELNS0_4arch9wavefront6targetE1EEEvSM_, .Lfunc_end163-_ZN7rocprim17ROCPRIM_400000_NS6detail17trampoline_kernelINS0_14default_configENS1_22reduce_config_selectorIlEEZNS1_11reduce_implILb1ES3_PlS7_lN6hipcub16HIPCUB_304000_NS6detail34convert_binary_result_type_wrapperINS9_3SumENS9_22TransformInputIteratorIb7NonZeroIiEPilEElEEEE10hipError_tPvRmT1_T2_T3_mT4_P12ihipStream_tbEUlT_E1_NS1_11comp_targetILNS1_3genE10ELNS1_11target_archE1201ELNS1_3gpuE5ELNS1_3repE0EEENS1_30default_config_static_selectorELNS0_4arch9wavefront6targetE1EEEvSM_
                                        ; -- End function
	.set _ZN7rocprim17ROCPRIM_400000_NS6detail17trampoline_kernelINS0_14default_configENS1_22reduce_config_selectorIlEEZNS1_11reduce_implILb1ES3_PlS7_lN6hipcub16HIPCUB_304000_NS6detail34convert_binary_result_type_wrapperINS9_3SumENS9_22TransformInputIteratorIb7NonZeroIiEPilEElEEEE10hipError_tPvRmT1_T2_T3_mT4_P12ihipStream_tbEUlT_E1_NS1_11comp_targetILNS1_3genE10ELNS1_11target_archE1201ELNS1_3gpuE5ELNS1_3repE0EEENS1_30default_config_static_selectorELNS0_4arch9wavefront6targetE1EEEvSM_.num_vgpr, 0
	.set _ZN7rocprim17ROCPRIM_400000_NS6detail17trampoline_kernelINS0_14default_configENS1_22reduce_config_selectorIlEEZNS1_11reduce_implILb1ES3_PlS7_lN6hipcub16HIPCUB_304000_NS6detail34convert_binary_result_type_wrapperINS9_3SumENS9_22TransformInputIteratorIb7NonZeroIiEPilEElEEEE10hipError_tPvRmT1_T2_T3_mT4_P12ihipStream_tbEUlT_E1_NS1_11comp_targetILNS1_3genE10ELNS1_11target_archE1201ELNS1_3gpuE5ELNS1_3repE0EEENS1_30default_config_static_selectorELNS0_4arch9wavefront6targetE1EEEvSM_.num_agpr, 0
	.set _ZN7rocprim17ROCPRIM_400000_NS6detail17trampoline_kernelINS0_14default_configENS1_22reduce_config_selectorIlEEZNS1_11reduce_implILb1ES3_PlS7_lN6hipcub16HIPCUB_304000_NS6detail34convert_binary_result_type_wrapperINS9_3SumENS9_22TransformInputIteratorIb7NonZeroIiEPilEElEEEE10hipError_tPvRmT1_T2_T3_mT4_P12ihipStream_tbEUlT_E1_NS1_11comp_targetILNS1_3genE10ELNS1_11target_archE1201ELNS1_3gpuE5ELNS1_3repE0EEENS1_30default_config_static_selectorELNS0_4arch9wavefront6targetE1EEEvSM_.numbered_sgpr, 0
	.set _ZN7rocprim17ROCPRIM_400000_NS6detail17trampoline_kernelINS0_14default_configENS1_22reduce_config_selectorIlEEZNS1_11reduce_implILb1ES3_PlS7_lN6hipcub16HIPCUB_304000_NS6detail34convert_binary_result_type_wrapperINS9_3SumENS9_22TransformInputIteratorIb7NonZeroIiEPilEElEEEE10hipError_tPvRmT1_T2_T3_mT4_P12ihipStream_tbEUlT_E1_NS1_11comp_targetILNS1_3genE10ELNS1_11target_archE1201ELNS1_3gpuE5ELNS1_3repE0EEENS1_30default_config_static_selectorELNS0_4arch9wavefront6targetE1EEEvSM_.num_named_barrier, 0
	.set _ZN7rocprim17ROCPRIM_400000_NS6detail17trampoline_kernelINS0_14default_configENS1_22reduce_config_selectorIlEEZNS1_11reduce_implILb1ES3_PlS7_lN6hipcub16HIPCUB_304000_NS6detail34convert_binary_result_type_wrapperINS9_3SumENS9_22TransformInputIteratorIb7NonZeroIiEPilEElEEEE10hipError_tPvRmT1_T2_T3_mT4_P12ihipStream_tbEUlT_E1_NS1_11comp_targetILNS1_3genE10ELNS1_11target_archE1201ELNS1_3gpuE5ELNS1_3repE0EEENS1_30default_config_static_selectorELNS0_4arch9wavefront6targetE1EEEvSM_.private_seg_size, 0
	.set _ZN7rocprim17ROCPRIM_400000_NS6detail17trampoline_kernelINS0_14default_configENS1_22reduce_config_selectorIlEEZNS1_11reduce_implILb1ES3_PlS7_lN6hipcub16HIPCUB_304000_NS6detail34convert_binary_result_type_wrapperINS9_3SumENS9_22TransformInputIteratorIb7NonZeroIiEPilEElEEEE10hipError_tPvRmT1_T2_T3_mT4_P12ihipStream_tbEUlT_E1_NS1_11comp_targetILNS1_3genE10ELNS1_11target_archE1201ELNS1_3gpuE5ELNS1_3repE0EEENS1_30default_config_static_selectorELNS0_4arch9wavefront6targetE1EEEvSM_.uses_vcc, 0
	.set _ZN7rocprim17ROCPRIM_400000_NS6detail17trampoline_kernelINS0_14default_configENS1_22reduce_config_selectorIlEEZNS1_11reduce_implILb1ES3_PlS7_lN6hipcub16HIPCUB_304000_NS6detail34convert_binary_result_type_wrapperINS9_3SumENS9_22TransformInputIteratorIb7NonZeroIiEPilEElEEEE10hipError_tPvRmT1_T2_T3_mT4_P12ihipStream_tbEUlT_E1_NS1_11comp_targetILNS1_3genE10ELNS1_11target_archE1201ELNS1_3gpuE5ELNS1_3repE0EEENS1_30default_config_static_selectorELNS0_4arch9wavefront6targetE1EEEvSM_.uses_flat_scratch, 0
	.set _ZN7rocprim17ROCPRIM_400000_NS6detail17trampoline_kernelINS0_14default_configENS1_22reduce_config_selectorIlEEZNS1_11reduce_implILb1ES3_PlS7_lN6hipcub16HIPCUB_304000_NS6detail34convert_binary_result_type_wrapperINS9_3SumENS9_22TransformInputIteratorIb7NonZeroIiEPilEElEEEE10hipError_tPvRmT1_T2_T3_mT4_P12ihipStream_tbEUlT_E1_NS1_11comp_targetILNS1_3genE10ELNS1_11target_archE1201ELNS1_3gpuE5ELNS1_3repE0EEENS1_30default_config_static_selectorELNS0_4arch9wavefront6targetE1EEEvSM_.has_dyn_sized_stack, 0
	.set _ZN7rocprim17ROCPRIM_400000_NS6detail17trampoline_kernelINS0_14default_configENS1_22reduce_config_selectorIlEEZNS1_11reduce_implILb1ES3_PlS7_lN6hipcub16HIPCUB_304000_NS6detail34convert_binary_result_type_wrapperINS9_3SumENS9_22TransformInputIteratorIb7NonZeroIiEPilEElEEEE10hipError_tPvRmT1_T2_T3_mT4_P12ihipStream_tbEUlT_E1_NS1_11comp_targetILNS1_3genE10ELNS1_11target_archE1201ELNS1_3gpuE5ELNS1_3repE0EEENS1_30default_config_static_selectorELNS0_4arch9wavefront6targetE1EEEvSM_.has_recursion, 0
	.set _ZN7rocprim17ROCPRIM_400000_NS6detail17trampoline_kernelINS0_14default_configENS1_22reduce_config_selectorIlEEZNS1_11reduce_implILb1ES3_PlS7_lN6hipcub16HIPCUB_304000_NS6detail34convert_binary_result_type_wrapperINS9_3SumENS9_22TransformInputIteratorIb7NonZeroIiEPilEElEEEE10hipError_tPvRmT1_T2_T3_mT4_P12ihipStream_tbEUlT_E1_NS1_11comp_targetILNS1_3genE10ELNS1_11target_archE1201ELNS1_3gpuE5ELNS1_3repE0EEENS1_30default_config_static_selectorELNS0_4arch9wavefront6targetE1EEEvSM_.has_indirect_call, 0
	.section	.AMDGPU.csdata,"",@progbits
; Kernel info:
; codeLenInByte = 0
; TotalNumSgprs: 6
; NumVgprs: 0
; NumAgprs: 0
; TotalNumVgprs: 0
; ScratchSize: 0
; MemoryBound: 0
; FloatMode: 240
; IeeeMode: 1
; LDSByteSize: 0 bytes/workgroup (compile time only)
; SGPRBlocks: 0
; VGPRBlocks: 0
; NumSGPRsForWavesPerEU: 6
; NumVGPRsForWavesPerEU: 1
; AccumOffset: 4
; Occupancy: 8
; WaveLimiterHint : 0
; COMPUTE_PGM_RSRC2:SCRATCH_EN: 0
; COMPUTE_PGM_RSRC2:USER_SGPR: 2
; COMPUTE_PGM_RSRC2:TRAP_HANDLER: 0
; COMPUTE_PGM_RSRC2:TGID_X_EN: 1
; COMPUTE_PGM_RSRC2:TGID_Y_EN: 0
; COMPUTE_PGM_RSRC2:TGID_Z_EN: 0
; COMPUTE_PGM_RSRC2:TIDIG_COMP_CNT: 0
; COMPUTE_PGM_RSRC3_GFX90A:ACCUM_OFFSET: 0
; COMPUTE_PGM_RSRC3_GFX90A:TG_SPLIT: 0
	.section	.text._ZN7rocprim17ROCPRIM_400000_NS6detail17trampoline_kernelINS0_14default_configENS1_22reduce_config_selectorIlEEZNS1_11reduce_implILb1ES3_PlS7_lN6hipcub16HIPCUB_304000_NS6detail34convert_binary_result_type_wrapperINS9_3SumENS9_22TransformInputIteratorIb7NonZeroIiEPilEElEEEE10hipError_tPvRmT1_T2_T3_mT4_P12ihipStream_tbEUlT_E1_NS1_11comp_targetILNS1_3genE10ELNS1_11target_archE1200ELNS1_3gpuE4ELNS1_3repE0EEENS1_30default_config_static_selectorELNS0_4arch9wavefront6targetE1EEEvSM_,"axG",@progbits,_ZN7rocprim17ROCPRIM_400000_NS6detail17trampoline_kernelINS0_14default_configENS1_22reduce_config_selectorIlEEZNS1_11reduce_implILb1ES3_PlS7_lN6hipcub16HIPCUB_304000_NS6detail34convert_binary_result_type_wrapperINS9_3SumENS9_22TransformInputIteratorIb7NonZeroIiEPilEElEEEE10hipError_tPvRmT1_T2_T3_mT4_P12ihipStream_tbEUlT_E1_NS1_11comp_targetILNS1_3genE10ELNS1_11target_archE1200ELNS1_3gpuE4ELNS1_3repE0EEENS1_30default_config_static_selectorELNS0_4arch9wavefront6targetE1EEEvSM_,comdat
	.protected	_ZN7rocprim17ROCPRIM_400000_NS6detail17trampoline_kernelINS0_14default_configENS1_22reduce_config_selectorIlEEZNS1_11reduce_implILb1ES3_PlS7_lN6hipcub16HIPCUB_304000_NS6detail34convert_binary_result_type_wrapperINS9_3SumENS9_22TransformInputIteratorIb7NonZeroIiEPilEElEEEE10hipError_tPvRmT1_T2_T3_mT4_P12ihipStream_tbEUlT_E1_NS1_11comp_targetILNS1_3genE10ELNS1_11target_archE1200ELNS1_3gpuE4ELNS1_3repE0EEENS1_30default_config_static_selectorELNS0_4arch9wavefront6targetE1EEEvSM_ ; -- Begin function _ZN7rocprim17ROCPRIM_400000_NS6detail17trampoline_kernelINS0_14default_configENS1_22reduce_config_selectorIlEEZNS1_11reduce_implILb1ES3_PlS7_lN6hipcub16HIPCUB_304000_NS6detail34convert_binary_result_type_wrapperINS9_3SumENS9_22TransformInputIteratorIb7NonZeroIiEPilEElEEEE10hipError_tPvRmT1_T2_T3_mT4_P12ihipStream_tbEUlT_E1_NS1_11comp_targetILNS1_3genE10ELNS1_11target_archE1200ELNS1_3gpuE4ELNS1_3repE0EEENS1_30default_config_static_selectorELNS0_4arch9wavefront6targetE1EEEvSM_
	.globl	_ZN7rocprim17ROCPRIM_400000_NS6detail17trampoline_kernelINS0_14default_configENS1_22reduce_config_selectorIlEEZNS1_11reduce_implILb1ES3_PlS7_lN6hipcub16HIPCUB_304000_NS6detail34convert_binary_result_type_wrapperINS9_3SumENS9_22TransformInputIteratorIb7NonZeroIiEPilEElEEEE10hipError_tPvRmT1_T2_T3_mT4_P12ihipStream_tbEUlT_E1_NS1_11comp_targetILNS1_3genE10ELNS1_11target_archE1200ELNS1_3gpuE4ELNS1_3repE0EEENS1_30default_config_static_selectorELNS0_4arch9wavefront6targetE1EEEvSM_
	.p2align	8
	.type	_ZN7rocprim17ROCPRIM_400000_NS6detail17trampoline_kernelINS0_14default_configENS1_22reduce_config_selectorIlEEZNS1_11reduce_implILb1ES3_PlS7_lN6hipcub16HIPCUB_304000_NS6detail34convert_binary_result_type_wrapperINS9_3SumENS9_22TransformInputIteratorIb7NonZeroIiEPilEElEEEE10hipError_tPvRmT1_T2_T3_mT4_P12ihipStream_tbEUlT_E1_NS1_11comp_targetILNS1_3genE10ELNS1_11target_archE1200ELNS1_3gpuE4ELNS1_3repE0EEENS1_30default_config_static_selectorELNS0_4arch9wavefront6targetE1EEEvSM_,@function
_ZN7rocprim17ROCPRIM_400000_NS6detail17trampoline_kernelINS0_14default_configENS1_22reduce_config_selectorIlEEZNS1_11reduce_implILb1ES3_PlS7_lN6hipcub16HIPCUB_304000_NS6detail34convert_binary_result_type_wrapperINS9_3SumENS9_22TransformInputIteratorIb7NonZeroIiEPilEElEEEE10hipError_tPvRmT1_T2_T3_mT4_P12ihipStream_tbEUlT_E1_NS1_11comp_targetILNS1_3genE10ELNS1_11target_archE1200ELNS1_3gpuE4ELNS1_3repE0EEENS1_30default_config_static_selectorELNS0_4arch9wavefront6targetE1EEEvSM_: ; @_ZN7rocprim17ROCPRIM_400000_NS6detail17trampoline_kernelINS0_14default_configENS1_22reduce_config_selectorIlEEZNS1_11reduce_implILb1ES3_PlS7_lN6hipcub16HIPCUB_304000_NS6detail34convert_binary_result_type_wrapperINS9_3SumENS9_22TransformInputIteratorIb7NonZeroIiEPilEElEEEE10hipError_tPvRmT1_T2_T3_mT4_P12ihipStream_tbEUlT_E1_NS1_11comp_targetILNS1_3genE10ELNS1_11target_archE1200ELNS1_3gpuE4ELNS1_3repE0EEENS1_30default_config_static_selectorELNS0_4arch9wavefront6targetE1EEEvSM_
; %bb.0:
	.section	.rodata,"a",@progbits
	.p2align	6, 0x0
	.amdhsa_kernel _ZN7rocprim17ROCPRIM_400000_NS6detail17trampoline_kernelINS0_14default_configENS1_22reduce_config_selectorIlEEZNS1_11reduce_implILb1ES3_PlS7_lN6hipcub16HIPCUB_304000_NS6detail34convert_binary_result_type_wrapperINS9_3SumENS9_22TransformInputIteratorIb7NonZeroIiEPilEElEEEE10hipError_tPvRmT1_T2_T3_mT4_P12ihipStream_tbEUlT_E1_NS1_11comp_targetILNS1_3genE10ELNS1_11target_archE1200ELNS1_3gpuE4ELNS1_3repE0EEENS1_30default_config_static_selectorELNS0_4arch9wavefront6targetE1EEEvSM_
		.amdhsa_group_segment_fixed_size 0
		.amdhsa_private_segment_fixed_size 0
		.amdhsa_kernarg_size 48
		.amdhsa_user_sgpr_count 2
		.amdhsa_user_sgpr_dispatch_ptr 0
		.amdhsa_user_sgpr_queue_ptr 0
		.amdhsa_user_sgpr_kernarg_segment_ptr 1
		.amdhsa_user_sgpr_dispatch_id 0
		.amdhsa_user_sgpr_kernarg_preload_length 0
		.amdhsa_user_sgpr_kernarg_preload_offset 0
		.amdhsa_user_sgpr_private_segment_size 0
		.amdhsa_uses_dynamic_stack 0
		.amdhsa_enable_private_segment 0
		.amdhsa_system_sgpr_workgroup_id_x 1
		.amdhsa_system_sgpr_workgroup_id_y 0
		.amdhsa_system_sgpr_workgroup_id_z 0
		.amdhsa_system_sgpr_workgroup_info 0
		.amdhsa_system_vgpr_workitem_id 0
		.amdhsa_next_free_vgpr 1
		.amdhsa_next_free_sgpr 0
		.amdhsa_accum_offset 4
		.amdhsa_reserve_vcc 0
		.amdhsa_float_round_mode_32 0
		.amdhsa_float_round_mode_16_64 0
		.amdhsa_float_denorm_mode_32 3
		.amdhsa_float_denorm_mode_16_64 3
		.amdhsa_dx10_clamp 1
		.amdhsa_ieee_mode 1
		.amdhsa_fp16_overflow 0
		.amdhsa_tg_split 0
		.amdhsa_exception_fp_ieee_invalid_op 0
		.amdhsa_exception_fp_denorm_src 0
		.amdhsa_exception_fp_ieee_div_zero 0
		.amdhsa_exception_fp_ieee_overflow 0
		.amdhsa_exception_fp_ieee_underflow 0
		.amdhsa_exception_fp_ieee_inexact 0
		.amdhsa_exception_int_div_zero 0
	.end_amdhsa_kernel
	.section	.text._ZN7rocprim17ROCPRIM_400000_NS6detail17trampoline_kernelINS0_14default_configENS1_22reduce_config_selectorIlEEZNS1_11reduce_implILb1ES3_PlS7_lN6hipcub16HIPCUB_304000_NS6detail34convert_binary_result_type_wrapperINS9_3SumENS9_22TransformInputIteratorIb7NonZeroIiEPilEElEEEE10hipError_tPvRmT1_T2_T3_mT4_P12ihipStream_tbEUlT_E1_NS1_11comp_targetILNS1_3genE10ELNS1_11target_archE1200ELNS1_3gpuE4ELNS1_3repE0EEENS1_30default_config_static_selectorELNS0_4arch9wavefront6targetE1EEEvSM_,"axG",@progbits,_ZN7rocprim17ROCPRIM_400000_NS6detail17trampoline_kernelINS0_14default_configENS1_22reduce_config_selectorIlEEZNS1_11reduce_implILb1ES3_PlS7_lN6hipcub16HIPCUB_304000_NS6detail34convert_binary_result_type_wrapperINS9_3SumENS9_22TransformInputIteratorIb7NonZeroIiEPilEElEEEE10hipError_tPvRmT1_T2_T3_mT4_P12ihipStream_tbEUlT_E1_NS1_11comp_targetILNS1_3genE10ELNS1_11target_archE1200ELNS1_3gpuE4ELNS1_3repE0EEENS1_30default_config_static_selectorELNS0_4arch9wavefront6targetE1EEEvSM_,comdat
.Lfunc_end164:
	.size	_ZN7rocprim17ROCPRIM_400000_NS6detail17trampoline_kernelINS0_14default_configENS1_22reduce_config_selectorIlEEZNS1_11reduce_implILb1ES3_PlS7_lN6hipcub16HIPCUB_304000_NS6detail34convert_binary_result_type_wrapperINS9_3SumENS9_22TransformInputIteratorIb7NonZeroIiEPilEElEEEE10hipError_tPvRmT1_T2_T3_mT4_P12ihipStream_tbEUlT_E1_NS1_11comp_targetILNS1_3genE10ELNS1_11target_archE1200ELNS1_3gpuE4ELNS1_3repE0EEENS1_30default_config_static_selectorELNS0_4arch9wavefront6targetE1EEEvSM_, .Lfunc_end164-_ZN7rocprim17ROCPRIM_400000_NS6detail17trampoline_kernelINS0_14default_configENS1_22reduce_config_selectorIlEEZNS1_11reduce_implILb1ES3_PlS7_lN6hipcub16HIPCUB_304000_NS6detail34convert_binary_result_type_wrapperINS9_3SumENS9_22TransformInputIteratorIb7NonZeroIiEPilEElEEEE10hipError_tPvRmT1_T2_T3_mT4_P12ihipStream_tbEUlT_E1_NS1_11comp_targetILNS1_3genE10ELNS1_11target_archE1200ELNS1_3gpuE4ELNS1_3repE0EEENS1_30default_config_static_selectorELNS0_4arch9wavefront6targetE1EEEvSM_
                                        ; -- End function
	.set _ZN7rocprim17ROCPRIM_400000_NS6detail17trampoline_kernelINS0_14default_configENS1_22reduce_config_selectorIlEEZNS1_11reduce_implILb1ES3_PlS7_lN6hipcub16HIPCUB_304000_NS6detail34convert_binary_result_type_wrapperINS9_3SumENS9_22TransformInputIteratorIb7NonZeroIiEPilEElEEEE10hipError_tPvRmT1_T2_T3_mT4_P12ihipStream_tbEUlT_E1_NS1_11comp_targetILNS1_3genE10ELNS1_11target_archE1200ELNS1_3gpuE4ELNS1_3repE0EEENS1_30default_config_static_selectorELNS0_4arch9wavefront6targetE1EEEvSM_.num_vgpr, 0
	.set _ZN7rocprim17ROCPRIM_400000_NS6detail17trampoline_kernelINS0_14default_configENS1_22reduce_config_selectorIlEEZNS1_11reduce_implILb1ES3_PlS7_lN6hipcub16HIPCUB_304000_NS6detail34convert_binary_result_type_wrapperINS9_3SumENS9_22TransformInputIteratorIb7NonZeroIiEPilEElEEEE10hipError_tPvRmT1_T2_T3_mT4_P12ihipStream_tbEUlT_E1_NS1_11comp_targetILNS1_3genE10ELNS1_11target_archE1200ELNS1_3gpuE4ELNS1_3repE0EEENS1_30default_config_static_selectorELNS0_4arch9wavefront6targetE1EEEvSM_.num_agpr, 0
	.set _ZN7rocprim17ROCPRIM_400000_NS6detail17trampoline_kernelINS0_14default_configENS1_22reduce_config_selectorIlEEZNS1_11reduce_implILb1ES3_PlS7_lN6hipcub16HIPCUB_304000_NS6detail34convert_binary_result_type_wrapperINS9_3SumENS9_22TransformInputIteratorIb7NonZeroIiEPilEElEEEE10hipError_tPvRmT1_T2_T3_mT4_P12ihipStream_tbEUlT_E1_NS1_11comp_targetILNS1_3genE10ELNS1_11target_archE1200ELNS1_3gpuE4ELNS1_3repE0EEENS1_30default_config_static_selectorELNS0_4arch9wavefront6targetE1EEEvSM_.numbered_sgpr, 0
	.set _ZN7rocprim17ROCPRIM_400000_NS6detail17trampoline_kernelINS0_14default_configENS1_22reduce_config_selectorIlEEZNS1_11reduce_implILb1ES3_PlS7_lN6hipcub16HIPCUB_304000_NS6detail34convert_binary_result_type_wrapperINS9_3SumENS9_22TransformInputIteratorIb7NonZeroIiEPilEElEEEE10hipError_tPvRmT1_T2_T3_mT4_P12ihipStream_tbEUlT_E1_NS1_11comp_targetILNS1_3genE10ELNS1_11target_archE1200ELNS1_3gpuE4ELNS1_3repE0EEENS1_30default_config_static_selectorELNS0_4arch9wavefront6targetE1EEEvSM_.num_named_barrier, 0
	.set _ZN7rocprim17ROCPRIM_400000_NS6detail17trampoline_kernelINS0_14default_configENS1_22reduce_config_selectorIlEEZNS1_11reduce_implILb1ES3_PlS7_lN6hipcub16HIPCUB_304000_NS6detail34convert_binary_result_type_wrapperINS9_3SumENS9_22TransformInputIteratorIb7NonZeroIiEPilEElEEEE10hipError_tPvRmT1_T2_T3_mT4_P12ihipStream_tbEUlT_E1_NS1_11comp_targetILNS1_3genE10ELNS1_11target_archE1200ELNS1_3gpuE4ELNS1_3repE0EEENS1_30default_config_static_selectorELNS0_4arch9wavefront6targetE1EEEvSM_.private_seg_size, 0
	.set _ZN7rocprim17ROCPRIM_400000_NS6detail17trampoline_kernelINS0_14default_configENS1_22reduce_config_selectorIlEEZNS1_11reduce_implILb1ES3_PlS7_lN6hipcub16HIPCUB_304000_NS6detail34convert_binary_result_type_wrapperINS9_3SumENS9_22TransformInputIteratorIb7NonZeroIiEPilEElEEEE10hipError_tPvRmT1_T2_T3_mT4_P12ihipStream_tbEUlT_E1_NS1_11comp_targetILNS1_3genE10ELNS1_11target_archE1200ELNS1_3gpuE4ELNS1_3repE0EEENS1_30default_config_static_selectorELNS0_4arch9wavefront6targetE1EEEvSM_.uses_vcc, 0
	.set _ZN7rocprim17ROCPRIM_400000_NS6detail17trampoline_kernelINS0_14default_configENS1_22reduce_config_selectorIlEEZNS1_11reduce_implILb1ES3_PlS7_lN6hipcub16HIPCUB_304000_NS6detail34convert_binary_result_type_wrapperINS9_3SumENS9_22TransformInputIteratorIb7NonZeroIiEPilEElEEEE10hipError_tPvRmT1_T2_T3_mT4_P12ihipStream_tbEUlT_E1_NS1_11comp_targetILNS1_3genE10ELNS1_11target_archE1200ELNS1_3gpuE4ELNS1_3repE0EEENS1_30default_config_static_selectorELNS0_4arch9wavefront6targetE1EEEvSM_.uses_flat_scratch, 0
	.set _ZN7rocprim17ROCPRIM_400000_NS6detail17trampoline_kernelINS0_14default_configENS1_22reduce_config_selectorIlEEZNS1_11reduce_implILb1ES3_PlS7_lN6hipcub16HIPCUB_304000_NS6detail34convert_binary_result_type_wrapperINS9_3SumENS9_22TransformInputIteratorIb7NonZeroIiEPilEElEEEE10hipError_tPvRmT1_T2_T3_mT4_P12ihipStream_tbEUlT_E1_NS1_11comp_targetILNS1_3genE10ELNS1_11target_archE1200ELNS1_3gpuE4ELNS1_3repE0EEENS1_30default_config_static_selectorELNS0_4arch9wavefront6targetE1EEEvSM_.has_dyn_sized_stack, 0
	.set _ZN7rocprim17ROCPRIM_400000_NS6detail17trampoline_kernelINS0_14default_configENS1_22reduce_config_selectorIlEEZNS1_11reduce_implILb1ES3_PlS7_lN6hipcub16HIPCUB_304000_NS6detail34convert_binary_result_type_wrapperINS9_3SumENS9_22TransformInputIteratorIb7NonZeroIiEPilEElEEEE10hipError_tPvRmT1_T2_T3_mT4_P12ihipStream_tbEUlT_E1_NS1_11comp_targetILNS1_3genE10ELNS1_11target_archE1200ELNS1_3gpuE4ELNS1_3repE0EEENS1_30default_config_static_selectorELNS0_4arch9wavefront6targetE1EEEvSM_.has_recursion, 0
	.set _ZN7rocprim17ROCPRIM_400000_NS6detail17trampoline_kernelINS0_14default_configENS1_22reduce_config_selectorIlEEZNS1_11reduce_implILb1ES3_PlS7_lN6hipcub16HIPCUB_304000_NS6detail34convert_binary_result_type_wrapperINS9_3SumENS9_22TransformInputIteratorIb7NonZeroIiEPilEElEEEE10hipError_tPvRmT1_T2_T3_mT4_P12ihipStream_tbEUlT_E1_NS1_11comp_targetILNS1_3genE10ELNS1_11target_archE1200ELNS1_3gpuE4ELNS1_3repE0EEENS1_30default_config_static_selectorELNS0_4arch9wavefront6targetE1EEEvSM_.has_indirect_call, 0
	.section	.AMDGPU.csdata,"",@progbits
; Kernel info:
; codeLenInByte = 0
; TotalNumSgprs: 6
; NumVgprs: 0
; NumAgprs: 0
; TotalNumVgprs: 0
; ScratchSize: 0
; MemoryBound: 0
; FloatMode: 240
; IeeeMode: 1
; LDSByteSize: 0 bytes/workgroup (compile time only)
; SGPRBlocks: 0
; VGPRBlocks: 0
; NumSGPRsForWavesPerEU: 6
; NumVGPRsForWavesPerEU: 1
; AccumOffset: 4
; Occupancy: 8
; WaveLimiterHint : 0
; COMPUTE_PGM_RSRC2:SCRATCH_EN: 0
; COMPUTE_PGM_RSRC2:USER_SGPR: 2
; COMPUTE_PGM_RSRC2:TRAP_HANDLER: 0
; COMPUTE_PGM_RSRC2:TGID_X_EN: 1
; COMPUTE_PGM_RSRC2:TGID_Y_EN: 0
; COMPUTE_PGM_RSRC2:TGID_Z_EN: 0
; COMPUTE_PGM_RSRC2:TIDIG_COMP_CNT: 0
; COMPUTE_PGM_RSRC3_GFX90A:ACCUM_OFFSET: 0
; COMPUTE_PGM_RSRC3_GFX90A:TG_SPLIT: 0
	.section	.text._ZN7rocprim17ROCPRIM_400000_NS6detail17trampoline_kernelINS0_14default_configENS1_22reduce_config_selectorIlEEZNS1_11reduce_implILb1ES3_PlS7_lN6hipcub16HIPCUB_304000_NS6detail34convert_binary_result_type_wrapperINS9_3SumENS9_22TransformInputIteratorIb7NonZeroIiEPilEElEEEE10hipError_tPvRmT1_T2_T3_mT4_P12ihipStream_tbEUlT_E1_NS1_11comp_targetILNS1_3genE9ELNS1_11target_archE1100ELNS1_3gpuE3ELNS1_3repE0EEENS1_30default_config_static_selectorELNS0_4arch9wavefront6targetE1EEEvSM_,"axG",@progbits,_ZN7rocprim17ROCPRIM_400000_NS6detail17trampoline_kernelINS0_14default_configENS1_22reduce_config_selectorIlEEZNS1_11reduce_implILb1ES3_PlS7_lN6hipcub16HIPCUB_304000_NS6detail34convert_binary_result_type_wrapperINS9_3SumENS9_22TransformInputIteratorIb7NonZeroIiEPilEElEEEE10hipError_tPvRmT1_T2_T3_mT4_P12ihipStream_tbEUlT_E1_NS1_11comp_targetILNS1_3genE9ELNS1_11target_archE1100ELNS1_3gpuE3ELNS1_3repE0EEENS1_30default_config_static_selectorELNS0_4arch9wavefront6targetE1EEEvSM_,comdat
	.protected	_ZN7rocprim17ROCPRIM_400000_NS6detail17trampoline_kernelINS0_14default_configENS1_22reduce_config_selectorIlEEZNS1_11reduce_implILb1ES3_PlS7_lN6hipcub16HIPCUB_304000_NS6detail34convert_binary_result_type_wrapperINS9_3SumENS9_22TransformInputIteratorIb7NonZeroIiEPilEElEEEE10hipError_tPvRmT1_T2_T3_mT4_P12ihipStream_tbEUlT_E1_NS1_11comp_targetILNS1_3genE9ELNS1_11target_archE1100ELNS1_3gpuE3ELNS1_3repE0EEENS1_30default_config_static_selectorELNS0_4arch9wavefront6targetE1EEEvSM_ ; -- Begin function _ZN7rocprim17ROCPRIM_400000_NS6detail17trampoline_kernelINS0_14default_configENS1_22reduce_config_selectorIlEEZNS1_11reduce_implILb1ES3_PlS7_lN6hipcub16HIPCUB_304000_NS6detail34convert_binary_result_type_wrapperINS9_3SumENS9_22TransformInputIteratorIb7NonZeroIiEPilEElEEEE10hipError_tPvRmT1_T2_T3_mT4_P12ihipStream_tbEUlT_E1_NS1_11comp_targetILNS1_3genE9ELNS1_11target_archE1100ELNS1_3gpuE3ELNS1_3repE0EEENS1_30default_config_static_selectorELNS0_4arch9wavefront6targetE1EEEvSM_
	.globl	_ZN7rocprim17ROCPRIM_400000_NS6detail17trampoline_kernelINS0_14default_configENS1_22reduce_config_selectorIlEEZNS1_11reduce_implILb1ES3_PlS7_lN6hipcub16HIPCUB_304000_NS6detail34convert_binary_result_type_wrapperINS9_3SumENS9_22TransformInputIteratorIb7NonZeroIiEPilEElEEEE10hipError_tPvRmT1_T2_T3_mT4_P12ihipStream_tbEUlT_E1_NS1_11comp_targetILNS1_3genE9ELNS1_11target_archE1100ELNS1_3gpuE3ELNS1_3repE0EEENS1_30default_config_static_selectorELNS0_4arch9wavefront6targetE1EEEvSM_
	.p2align	8
	.type	_ZN7rocprim17ROCPRIM_400000_NS6detail17trampoline_kernelINS0_14default_configENS1_22reduce_config_selectorIlEEZNS1_11reduce_implILb1ES3_PlS7_lN6hipcub16HIPCUB_304000_NS6detail34convert_binary_result_type_wrapperINS9_3SumENS9_22TransformInputIteratorIb7NonZeroIiEPilEElEEEE10hipError_tPvRmT1_T2_T3_mT4_P12ihipStream_tbEUlT_E1_NS1_11comp_targetILNS1_3genE9ELNS1_11target_archE1100ELNS1_3gpuE3ELNS1_3repE0EEENS1_30default_config_static_selectorELNS0_4arch9wavefront6targetE1EEEvSM_,@function
_ZN7rocprim17ROCPRIM_400000_NS6detail17trampoline_kernelINS0_14default_configENS1_22reduce_config_selectorIlEEZNS1_11reduce_implILb1ES3_PlS7_lN6hipcub16HIPCUB_304000_NS6detail34convert_binary_result_type_wrapperINS9_3SumENS9_22TransformInputIteratorIb7NonZeroIiEPilEElEEEE10hipError_tPvRmT1_T2_T3_mT4_P12ihipStream_tbEUlT_E1_NS1_11comp_targetILNS1_3genE9ELNS1_11target_archE1100ELNS1_3gpuE3ELNS1_3repE0EEENS1_30default_config_static_selectorELNS0_4arch9wavefront6targetE1EEEvSM_: ; @_ZN7rocprim17ROCPRIM_400000_NS6detail17trampoline_kernelINS0_14default_configENS1_22reduce_config_selectorIlEEZNS1_11reduce_implILb1ES3_PlS7_lN6hipcub16HIPCUB_304000_NS6detail34convert_binary_result_type_wrapperINS9_3SumENS9_22TransformInputIteratorIb7NonZeroIiEPilEElEEEE10hipError_tPvRmT1_T2_T3_mT4_P12ihipStream_tbEUlT_E1_NS1_11comp_targetILNS1_3genE9ELNS1_11target_archE1100ELNS1_3gpuE3ELNS1_3repE0EEENS1_30default_config_static_selectorELNS0_4arch9wavefront6targetE1EEEvSM_
; %bb.0:
	.section	.rodata,"a",@progbits
	.p2align	6, 0x0
	.amdhsa_kernel _ZN7rocprim17ROCPRIM_400000_NS6detail17trampoline_kernelINS0_14default_configENS1_22reduce_config_selectorIlEEZNS1_11reduce_implILb1ES3_PlS7_lN6hipcub16HIPCUB_304000_NS6detail34convert_binary_result_type_wrapperINS9_3SumENS9_22TransformInputIteratorIb7NonZeroIiEPilEElEEEE10hipError_tPvRmT1_T2_T3_mT4_P12ihipStream_tbEUlT_E1_NS1_11comp_targetILNS1_3genE9ELNS1_11target_archE1100ELNS1_3gpuE3ELNS1_3repE0EEENS1_30default_config_static_selectorELNS0_4arch9wavefront6targetE1EEEvSM_
		.amdhsa_group_segment_fixed_size 0
		.amdhsa_private_segment_fixed_size 0
		.amdhsa_kernarg_size 48
		.amdhsa_user_sgpr_count 2
		.amdhsa_user_sgpr_dispatch_ptr 0
		.amdhsa_user_sgpr_queue_ptr 0
		.amdhsa_user_sgpr_kernarg_segment_ptr 1
		.amdhsa_user_sgpr_dispatch_id 0
		.amdhsa_user_sgpr_kernarg_preload_length 0
		.amdhsa_user_sgpr_kernarg_preload_offset 0
		.amdhsa_user_sgpr_private_segment_size 0
		.amdhsa_uses_dynamic_stack 0
		.amdhsa_enable_private_segment 0
		.amdhsa_system_sgpr_workgroup_id_x 1
		.amdhsa_system_sgpr_workgroup_id_y 0
		.amdhsa_system_sgpr_workgroup_id_z 0
		.amdhsa_system_sgpr_workgroup_info 0
		.amdhsa_system_vgpr_workitem_id 0
		.amdhsa_next_free_vgpr 1
		.amdhsa_next_free_sgpr 0
		.amdhsa_accum_offset 4
		.amdhsa_reserve_vcc 0
		.amdhsa_float_round_mode_32 0
		.amdhsa_float_round_mode_16_64 0
		.amdhsa_float_denorm_mode_32 3
		.amdhsa_float_denorm_mode_16_64 3
		.amdhsa_dx10_clamp 1
		.amdhsa_ieee_mode 1
		.amdhsa_fp16_overflow 0
		.amdhsa_tg_split 0
		.amdhsa_exception_fp_ieee_invalid_op 0
		.amdhsa_exception_fp_denorm_src 0
		.amdhsa_exception_fp_ieee_div_zero 0
		.amdhsa_exception_fp_ieee_overflow 0
		.amdhsa_exception_fp_ieee_underflow 0
		.amdhsa_exception_fp_ieee_inexact 0
		.amdhsa_exception_int_div_zero 0
	.end_amdhsa_kernel
	.section	.text._ZN7rocprim17ROCPRIM_400000_NS6detail17trampoline_kernelINS0_14default_configENS1_22reduce_config_selectorIlEEZNS1_11reduce_implILb1ES3_PlS7_lN6hipcub16HIPCUB_304000_NS6detail34convert_binary_result_type_wrapperINS9_3SumENS9_22TransformInputIteratorIb7NonZeroIiEPilEElEEEE10hipError_tPvRmT1_T2_T3_mT4_P12ihipStream_tbEUlT_E1_NS1_11comp_targetILNS1_3genE9ELNS1_11target_archE1100ELNS1_3gpuE3ELNS1_3repE0EEENS1_30default_config_static_selectorELNS0_4arch9wavefront6targetE1EEEvSM_,"axG",@progbits,_ZN7rocprim17ROCPRIM_400000_NS6detail17trampoline_kernelINS0_14default_configENS1_22reduce_config_selectorIlEEZNS1_11reduce_implILb1ES3_PlS7_lN6hipcub16HIPCUB_304000_NS6detail34convert_binary_result_type_wrapperINS9_3SumENS9_22TransformInputIteratorIb7NonZeroIiEPilEElEEEE10hipError_tPvRmT1_T2_T3_mT4_P12ihipStream_tbEUlT_E1_NS1_11comp_targetILNS1_3genE9ELNS1_11target_archE1100ELNS1_3gpuE3ELNS1_3repE0EEENS1_30default_config_static_selectorELNS0_4arch9wavefront6targetE1EEEvSM_,comdat
.Lfunc_end165:
	.size	_ZN7rocprim17ROCPRIM_400000_NS6detail17trampoline_kernelINS0_14default_configENS1_22reduce_config_selectorIlEEZNS1_11reduce_implILb1ES3_PlS7_lN6hipcub16HIPCUB_304000_NS6detail34convert_binary_result_type_wrapperINS9_3SumENS9_22TransformInputIteratorIb7NonZeroIiEPilEElEEEE10hipError_tPvRmT1_T2_T3_mT4_P12ihipStream_tbEUlT_E1_NS1_11comp_targetILNS1_3genE9ELNS1_11target_archE1100ELNS1_3gpuE3ELNS1_3repE0EEENS1_30default_config_static_selectorELNS0_4arch9wavefront6targetE1EEEvSM_, .Lfunc_end165-_ZN7rocprim17ROCPRIM_400000_NS6detail17trampoline_kernelINS0_14default_configENS1_22reduce_config_selectorIlEEZNS1_11reduce_implILb1ES3_PlS7_lN6hipcub16HIPCUB_304000_NS6detail34convert_binary_result_type_wrapperINS9_3SumENS9_22TransformInputIteratorIb7NonZeroIiEPilEElEEEE10hipError_tPvRmT1_T2_T3_mT4_P12ihipStream_tbEUlT_E1_NS1_11comp_targetILNS1_3genE9ELNS1_11target_archE1100ELNS1_3gpuE3ELNS1_3repE0EEENS1_30default_config_static_selectorELNS0_4arch9wavefront6targetE1EEEvSM_
                                        ; -- End function
	.set _ZN7rocprim17ROCPRIM_400000_NS6detail17trampoline_kernelINS0_14default_configENS1_22reduce_config_selectorIlEEZNS1_11reduce_implILb1ES3_PlS7_lN6hipcub16HIPCUB_304000_NS6detail34convert_binary_result_type_wrapperINS9_3SumENS9_22TransformInputIteratorIb7NonZeroIiEPilEElEEEE10hipError_tPvRmT1_T2_T3_mT4_P12ihipStream_tbEUlT_E1_NS1_11comp_targetILNS1_3genE9ELNS1_11target_archE1100ELNS1_3gpuE3ELNS1_3repE0EEENS1_30default_config_static_selectorELNS0_4arch9wavefront6targetE1EEEvSM_.num_vgpr, 0
	.set _ZN7rocprim17ROCPRIM_400000_NS6detail17trampoline_kernelINS0_14default_configENS1_22reduce_config_selectorIlEEZNS1_11reduce_implILb1ES3_PlS7_lN6hipcub16HIPCUB_304000_NS6detail34convert_binary_result_type_wrapperINS9_3SumENS9_22TransformInputIteratorIb7NonZeroIiEPilEElEEEE10hipError_tPvRmT1_T2_T3_mT4_P12ihipStream_tbEUlT_E1_NS1_11comp_targetILNS1_3genE9ELNS1_11target_archE1100ELNS1_3gpuE3ELNS1_3repE0EEENS1_30default_config_static_selectorELNS0_4arch9wavefront6targetE1EEEvSM_.num_agpr, 0
	.set _ZN7rocprim17ROCPRIM_400000_NS6detail17trampoline_kernelINS0_14default_configENS1_22reduce_config_selectorIlEEZNS1_11reduce_implILb1ES3_PlS7_lN6hipcub16HIPCUB_304000_NS6detail34convert_binary_result_type_wrapperINS9_3SumENS9_22TransformInputIteratorIb7NonZeroIiEPilEElEEEE10hipError_tPvRmT1_T2_T3_mT4_P12ihipStream_tbEUlT_E1_NS1_11comp_targetILNS1_3genE9ELNS1_11target_archE1100ELNS1_3gpuE3ELNS1_3repE0EEENS1_30default_config_static_selectorELNS0_4arch9wavefront6targetE1EEEvSM_.numbered_sgpr, 0
	.set _ZN7rocprim17ROCPRIM_400000_NS6detail17trampoline_kernelINS0_14default_configENS1_22reduce_config_selectorIlEEZNS1_11reduce_implILb1ES3_PlS7_lN6hipcub16HIPCUB_304000_NS6detail34convert_binary_result_type_wrapperINS9_3SumENS9_22TransformInputIteratorIb7NonZeroIiEPilEElEEEE10hipError_tPvRmT1_T2_T3_mT4_P12ihipStream_tbEUlT_E1_NS1_11comp_targetILNS1_3genE9ELNS1_11target_archE1100ELNS1_3gpuE3ELNS1_3repE0EEENS1_30default_config_static_selectorELNS0_4arch9wavefront6targetE1EEEvSM_.num_named_barrier, 0
	.set _ZN7rocprim17ROCPRIM_400000_NS6detail17trampoline_kernelINS0_14default_configENS1_22reduce_config_selectorIlEEZNS1_11reduce_implILb1ES3_PlS7_lN6hipcub16HIPCUB_304000_NS6detail34convert_binary_result_type_wrapperINS9_3SumENS9_22TransformInputIteratorIb7NonZeroIiEPilEElEEEE10hipError_tPvRmT1_T2_T3_mT4_P12ihipStream_tbEUlT_E1_NS1_11comp_targetILNS1_3genE9ELNS1_11target_archE1100ELNS1_3gpuE3ELNS1_3repE0EEENS1_30default_config_static_selectorELNS0_4arch9wavefront6targetE1EEEvSM_.private_seg_size, 0
	.set _ZN7rocprim17ROCPRIM_400000_NS6detail17trampoline_kernelINS0_14default_configENS1_22reduce_config_selectorIlEEZNS1_11reduce_implILb1ES3_PlS7_lN6hipcub16HIPCUB_304000_NS6detail34convert_binary_result_type_wrapperINS9_3SumENS9_22TransformInputIteratorIb7NonZeroIiEPilEElEEEE10hipError_tPvRmT1_T2_T3_mT4_P12ihipStream_tbEUlT_E1_NS1_11comp_targetILNS1_3genE9ELNS1_11target_archE1100ELNS1_3gpuE3ELNS1_3repE0EEENS1_30default_config_static_selectorELNS0_4arch9wavefront6targetE1EEEvSM_.uses_vcc, 0
	.set _ZN7rocprim17ROCPRIM_400000_NS6detail17trampoline_kernelINS0_14default_configENS1_22reduce_config_selectorIlEEZNS1_11reduce_implILb1ES3_PlS7_lN6hipcub16HIPCUB_304000_NS6detail34convert_binary_result_type_wrapperINS9_3SumENS9_22TransformInputIteratorIb7NonZeroIiEPilEElEEEE10hipError_tPvRmT1_T2_T3_mT4_P12ihipStream_tbEUlT_E1_NS1_11comp_targetILNS1_3genE9ELNS1_11target_archE1100ELNS1_3gpuE3ELNS1_3repE0EEENS1_30default_config_static_selectorELNS0_4arch9wavefront6targetE1EEEvSM_.uses_flat_scratch, 0
	.set _ZN7rocprim17ROCPRIM_400000_NS6detail17trampoline_kernelINS0_14default_configENS1_22reduce_config_selectorIlEEZNS1_11reduce_implILb1ES3_PlS7_lN6hipcub16HIPCUB_304000_NS6detail34convert_binary_result_type_wrapperINS9_3SumENS9_22TransformInputIteratorIb7NonZeroIiEPilEElEEEE10hipError_tPvRmT1_T2_T3_mT4_P12ihipStream_tbEUlT_E1_NS1_11comp_targetILNS1_3genE9ELNS1_11target_archE1100ELNS1_3gpuE3ELNS1_3repE0EEENS1_30default_config_static_selectorELNS0_4arch9wavefront6targetE1EEEvSM_.has_dyn_sized_stack, 0
	.set _ZN7rocprim17ROCPRIM_400000_NS6detail17trampoline_kernelINS0_14default_configENS1_22reduce_config_selectorIlEEZNS1_11reduce_implILb1ES3_PlS7_lN6hipcub16HIPCUB_304000_NS6detail34convert_binary_result_type_wrapperINS9_3SumENS9_22TransformInputIteratorIb7NonZeroIiEPilEElEEEE10hipError_tPvRmT1_T2_T3_mT4_P12ihipStream_tbEUlT_E1_NS1_11comp_targetILNS1_3genE9ELNS1_11target_archE1100ELNS1_3gpuE3ELNS1_3repE0EEENS1_30default_config_static_selectorELNS0_4arch9wavefront6targetE1EEEvSM_.has_recursion, 0
	.set _ZN7rocprim17ROCPRIM_400000_NS6detail17trampoline_kernelINS0_14default_configENS1_22reduce_config_selectorIlEEZNS1_11reduce_implILb1ES3_PlS7_lN6hipcub16HIPCUB_304000_NS6detail34convert_binary_result_type_wrapperINS9_3SumENS9_22TransformInputIteratorIb7NonZeroIiEPilEElEEEE10hipError_tPvRmT1_T2_T3_mT4_P12ihipStream_tbEUlT_E1_NS1_11comp_targetILNS1_3genE9ELNS1_11target_archE1100ELNS1_3gpuE3ELNS1_3repE0EEENS1_30default_config_static_selectorELNS0_4arch9wavefront6targetE1EEEvSM_.has_indirect_call, 0
	.section	.AMDGPU.csdata,"",@progbits
; Kernel info:
; codeLenInByte = 0
; TotalNumSgprs: 6
; NumVgprs: 0
; NumAgprs: 0
; TotalNumVgprs: 0
; ScratchSize: 0
; MemoryBound: 0
; FloatMode: 240
; IeeeMode: 1
; LDSByteSize: 0 bytes/workgroup (compile time only)
; SGPRBlocks: 0
; VGPRBlocks: 0
; NumSGPRsForWavesPerEU: 6
; NumVGPRsForWavesPerEU: 1
; AccumOffset: 4
; Occupancy: 8
; WaveLimiterHint : 0
; COMPUTE_PGM_RSRC2:SCRATCH_EN: 0
; COMPUTE_PGM_RSRC2:USER_SGPR: 2
; COMPUTE_PGM_RSRC2:TRAP_HANDLER: 0
; COMPUTE_PGM_RSRC2:TGID_X_EN: 1
; COMPUTE_PGM_RSRC2:TGID_Y_EN: 0
; COMPUTE_PGM_RSRC2:TGID_Z_EN: 0
; COMPUTE_PGM_RSRC2:TIDIG_COMP_CNT: 0
; COMPUTE_PGM_RSRC3_GFX90A:ACCUM_OFFSET: 0
; COMPUTE_PGM_RSRC3_GFX90A:TG_SPLIT: 0
	.section	.text._ZN7rocprim17ROCPRIM_400000_NS6detail17trampoline_kernelINS0_14default_configENS1_22reduce_config_selectorIlEEZNS1_11reduce_implILb1ES3_PlS7_lN6hipcub16HIPCUB_304000_NS6detail34convert_binary_result_type_wrapperINS9_3SumENS9_22TransformInputIteratorIb7NonZeroIiEPilEElEEEE10hipError_tPvRmT1_T2_T3_mT4_P12ihipStream_tbEUlT_E1_NS1_11comp_targetILNS1_3genE8ELNS1_11target_archE1030ELNS1_3gpuE2ELNS1_3repE0EEENS1_30default_config_static_selectorELNS0_4arch9wavefront6targetE1EEEvSM_,"axG",@progbits,_ZN7rocprim17ROCPRIM_400000_NS6detail17trampoline_kernelINS0_14default_configENS1_22reduce_config_selectorIlEEZNS1_11reduce_implILb1ES3_PlS7_lN6hipcub16HIPCUB_304000_NS6detail34convert_binary_result_type_wrapperINS9_3SumENS9_22TransformInputIteratorIb7NonZeroIiEPilEElEEEE10hipError_tPvRmT1_T2_T3_mT4_P12ihipStream_tbEUlT_E1_NS1_11comp_targetILNS1_3genE8ELNS1_11target_archE1030ELNS1_3gpuE2ELNS1_3repE0EEENS1_30default_config_static_selectorELNS0_4arch9wavefront6targetE1EEEvSM_,comdat
	.protected	_ZN7rocprim17ROCPRIM_400000_NS6detail17trampoline_kernelINS0_14default_configENS1_22reduce_config_selectorIlEEZNS1_11reduce_implILb1ES3_PlS7_lN6hipcub16HIPCUB_304000_NS6detail34convert_binary_result_type_wrapperINS9_3SumENS9_22TransformInputIteratorIb7NonZeroIiEPilEElEEEE10hipError_tPvRmT1_T2_T3_mT4_P12ihipStream_tbEUlT_E1_NS1_11comp_targetILNS1_3genE8ELNS1_11target_archE1030ELNS1_3gpuE2ELNS1_3repE0EEENS1_30default_config_static_selectorELNS0_4arch9wavefront6targetE1EEEvSM_ ; -- Begin function _ZN7rocprim17ROCPRIM_400000_NS6detail17trampoline_kernelINS0_14default_configENS1_22reduce_config_selectorIlEEZNS1_11reduce_implILb1ES3_PlS7_lN6hipcub16HIPCUB_304000_NS6detail34convert_binary_result_type_wrapperINS9_3SumENS9_22TransformInputIteratorIb7NonZeroIiEPilEElEEEE10hipError_tPvRmT1_T2_T3_mT4_P12ihipStream_tbEUlT_E1_NS1_11comp_targetILNS1_3genE8ELNS1_11target_archE1030ELNS1_3gpuE2ELNS1_3repE0EEENS1_30default_config_static_selectorELNS0_4arch9wavefront6targetE1EEEvSM_
	.globl	_ZN7rocprim17ROCPRIM_400000_NS6detail17trampoline_kernelINS0_14default_configENS1_22reduce_config_selectorIlEEZNS1_11reduce_implILb1ES3_PlS7_lN6hipcub16HIPCUB_304000_NS6detail34convert_binary_result_type_wrapperINS9_3SumENS9_22TransformInputIteratorIb7NonZeroIiEPilEElEEEE10hipError_tPvRmT1_T2_T3_mT4_P12ihipStream_tbEUlT_E1_NS1_11comp_targetILNS1_3genE8ELNS1_11target_archE1030ELNS1_3gpuE2ELNS1_3repE0EEENS1_30default_config_static_selectorELNS0_4arch9wavefront6targetE1EEEvSM_
	.p2align	8
	.type	_ZN7rocprim17ROCPRIM_400000_NS6detail17trampoline_kernelINS0_14default_configENS1_22reduce_config_selectorIlEEZNS1_11reduce_implILb1ES3_PlS7_lN6hipcub16HIPCUB_304000_NS6detail34convert_binary_result_type_wrapperINS9_3SumENS9_22TransformInputIteratorIb7NonZeroIiEPilEElEEEE10hipError_tPvRmT1_T2_T3_mT4_P12ihipStream_tbEUlT_E1_NS1_11comp_targetILNS1_3genE8ELNS1_11target_archE1030ELNS1_3gpuE2ELNS1_3repE0EEENS1_30default_config_static_selectorELNS0_4arch9wavefront6targetE1EEEvSM_,@function
_ZN7rocprim17ROCPRIM_400000_NS6detail17trampoline_kernelINS0_14default_configENS1_22reduce_config_selectorIlEEZNS1_11reduce_implILb1ES3_PlS7_lN6hipcub16HIPCUB_304000_NS6detail34convert_binary_result_type_wrapperINS9_3SumENS9_22TransformInputIteratorIb7NonZeroIiEPilEElEEEE10hipError_tPvRmT1_T2_T3_mT4_P12ihipStream_tbEUlT_E1_NS1_11comp_targetILNS1_3genE8ELNS1_11target_archE1030ELNS1_3gpuE2ELNS1_3repE0EEENS1_30default_config_static_selectorELNS0_4arch9wavefront6targetE1EEEvSM_: ; @_ZN7rocprim17ROCPRIM_400000_NS6detail17trampoline_kernelINS0_14default_configENS1_22reduce_config_selectorIlEEZNS1_11reduce_implILb1ES3_PlS7_lN6hipcub16HIPCUB_304000_NS6detail34convert_binary_result_type_wrapperINS9_3SumENS9_22TransformInputIteratorIb7NonZeroIiEPilEElEEEE10hipError_tPvRmT1_T2_T3_mT4_P12ihipStream_tbEUlT_E1_NS1_11comp_targetILNS1_3genE8ELNS1_11target_archE1030ELNS1_3gpuE2ELNS1_3repE0EEENS1_30default_config_static_selectorELNS0_4arch9wavefront6targetE1EEEvSM_
; %bb.0:
	.section	.rodata,"a",@progbits
	.p2align	6, 0x0
	.amdhsa_kernel _ZN7rocprim17ROCPRIM_400000_NS6detail17trampoline_kernelINS0_14default_configENS1_22reduce_config_selectorIlEEZNS1_11reduce_implILb1ES3_PlS7_lN6hipcub16HIPCUB_304000_NS6detail34convert_binary_result_type_wrapperINS9_3SumENS9_22TransformInputIteratorIb7NonZeroIiEPilEElEEEE10hipError_tPvRmT1_T2_T3_mT4_P12ihipStream_tbEUlT_E1_NS1_11comp_targetILNS1_3genE8ELNS1_11target_archE1030ELNS1_3gpuE2ELNS1_3repE0EEENS1_30default_config_static_selectorELNS0_4arch9wavefront6targetE1EEEvSM_
		.amdhsa_group_segment_fixed_size 0
		.amdhsa_private_segment_fixed_size 0
		.amdhsa_kernarg_size 48
		.amdhsa_user_sgpr_count 2
		.amdhsa_user_sgpr_dispatch_ptr 0
		.amdhsa_user_sgpr_queue_ptr 0
		.amdhsa_user_sgpr_kernarg_segment_ptr 1
		.amdhsa_user_sgpr_dispatch_id 0
		.amdhsa_user_sgpr_kernarg_preload_length 0
		.amdhsa_user_sgpr_kernarg_preload_offset 0
		.amdhsa_user_sgpr_private_segment_size 0
		.amdhsa_uses_dynamic_stack 0
		.amdhsa_enable_private_segment 0
		.amdhsa_system_sgpr_workgroup_id_x 1
		.amdhsa_system_sgpr_workgroup_id_y 0
		.amdhsa_system_sgpr_workgroup_id_z 0
		.amdhsa_system_sgpr_workgroup_info 0
		.amdhsa_system_vgpr_workitem_id 0
		.amdhsa_next_free_vgpr 1
		.amdhsa_next_free_sgpr 0
		.amdhsa_accum_offset 4
		.amdhsa_reserve_vcc 0
		.amdhsa_float_round_mode_32 0
		.amdhsa_float_round_mode_16_64 0
		.amdhsa_float_denorm_mode_32 3
		.amdhsa_float_denorm_mode_16_64 3
		.amdhsa_dx10_clamp 1
		.amdhsa_ieee_mode 1
		.amdhsa_fp16_overflow 0
		.amdhsa_tg_split 0
		.amdhsa_exception_fp_ieee_invalid_op 0
		.amdhsa_exception_fp_denorm_src 0
		.amdhsa_exception_fp_ieee_div_zero 0
		.amdhsa_exception_fp_ieee_overflow 0
		.amdhsa_exception_fp_ieee_underflow 0
		.amdhsa_exception_fp_ieee_inexact 0
		.amdhsa_exception_int_div_zero 0
	.end_amdhsa_kernel
	.section	.text._ZN7rocprim17ROCPRIM_400000_NS6detail17trampoline_kernelINS0_14default_configENS1_22reduce_config_selectorIlEEZNS1_11reduce_implILb1ES3_PlS7_lN6hipcub16HIPCUB_304000_NS6detail34convert_binary_result_type_wrapperINS9_3SumENS9_22TransformInputIteratorIb7NonZeroIiEPilEElEEEE10hipError_tPvRmT1_T2_T3_mT4_P12ihipStream_tbEUlT_E1_NS1_11comp_targetILNS1_3genE8ELNS1_11target_archE1030ELNS1_3gpuE2ELNS1_3repE0EEENS1_30default_config_static_selectorELNS0_4arch9wavefront6targetE1EEEvSM_,"axG",@progbits,_ZN7rocprim17ROCPRIM_400000_NS6detail17trampoline_kernelINS0_14default_configENS1_22reduce_config_selectorIlEEZNS1_11reduce_implILb1ES3_PlS7_lN6hipcub16HIPCUB_304000_NS6detail34convert_binary_result_type_wrapperINS9_3SumENS9_22TransformInputIteratorIb7NonZeroIiEPilEElEEEE10hipError_tPvRmT1_T2_T3_mT4_P12ihipStream_tbEUlT_E1_NS1_11comp_targetILNS1_3genE8ELNS1_11target_archE1030ELNS1_3gpuE2ELNS1_3repE0EEENS1_30default_config_static_selectorELNS0_4arch9wavefront6targetE1EEEvSM_,comdat
.Lfunc_end166:
	.size	_ZN7rocprim17ROCPRIM_400000_NS6detail17trampoline_kernelINS0_14default_configENS1_22reduce_config_selectorIlEEZNS1_11reduce_implILb1ES3_PlS7_lN6hipcub16HIPCUB_304000_NS6detail34convert_binary_result_type_wrapperINS9_3SumENS9_22TransformInputIteratorIb7NonZeroIiEPilEElEEEE10hipError_tPvRmT1_T2_T3_mT4_P12ihipStream_tbEUlT_E1_NS1_11comp_targetILNS1_3genE8ELNS1_11target_archE1030ELNS1_3gpuE2ELNS1_3repE0EEENS1_30default_config_static_selectorELNS0_4arch9wavefront6targetE1EEEvSM_, .Lfunc_end166-_ZN7rocprim17ROCPRIM_400000_NS6detail17trampoline_kernelINS0_14default_configENS1_22reduce_config_selectorIlEEZNS1_11reduce_implILb1ES3_PlS7_lN6hipcub16HIPCUB_304000_NS6detail34convert_binary_result_type_wrapperINS9_3SumENS9_22TransformInputIteratorIb7NonZeroIiEPilEElEEEE10hipError_tPvRmT1_T2_T3_mT4_P12ihipStream_tbEUlT_E1_NS1_11comp_targetILNS1_3genE8ELNS1_11target_archE1030ELNS1_3gpuE2ELNS1_3repE0EEENS1_30default_config_static_selectorELNS0_4arch9wavefront6targetE1EEEvSM_
                                        ; -- End function
	.set _ZN7rocprim17ROCPRIM_400000_NS6detail17trampoline_kernelINS0_14default_configENS1_22reduce_config_selectorIlEEZNS1_11reduce_implILb1ES3_PlS7_lN6hipcub16HIPCUB_304000_NS6detail34convert_binary_result_type_wrapperINS9_3SumENS9_22TransformInputIteratorIb7NonZeroIiEPilEElEEEE10hipError_tPvRmT1_T2_T3_mT4_P12ihipStream_tbEUlT_E1_NS1_11comp_targetILNS1_3genE8ELNS1_11target_archE1030ELNS1_3gpuE2ELNS1_3repE0EEENS1_30default_config_static_selectorELNS0_4arch9wavefront6targetE1EEEvSM_.num_vgpr, 0
	.set _ZN7rocprim17ROCPRIM_400000_NS6detail17trampoline_kernelINS0_14default_configENS1_22reduce_config_selectorIlEEZNS1_11reduce_implILb1ES3_PlS7_lN6hipcub16HIPCUB_304000_NS6detail34convert_binary_result_type_wrapperINS9_3SumENS9_22TransformInputIteratorIb7NonZeroIiEPilEElEEEE10hipError_tPvRmT1_T2_T3_mT4_P12ihipStream_tbEUlT_E1_NS1_11comp_targetILNS1_3genE8ELNS1_11target_archE1030ELNS1_3gpuE2ELNS1_3repE0EEENS1_30default_config_static_selectorELNS0_4arch9wavefront6targetE1EEEvSM_.num_agpr, 0
	.set _ZN7rocprim17ROCPRIM_400000_NS6detail17trampoline_kernelINS0_14default_configENS1_22reduce_config_selectorIlEEZNS1_11reduce_implILb1ES3_PlS7_lN6hipcub16HIPCUB_304000_NS6detail34convert_binary_result_type_wrapperINS9_3SumENS9_22TransformInputIteratorIb7NonZeroIiEPilEElEEEE10hipError_tPvRmT1_T2_T3_mT4_P12ihipStream_tbEUlT_E1_NS1_11comp_targetILNS1_3genE8ELNS1_11target_archE1030ELNS1_3gpuE2ELNS1_3repE0EEENS1_30default_config_static_selectorELNS0_4arch9wavefront6targetE1EEEvSM_.numbered_sgpr, 0
	.set _ZN7rocprim17ROCPRIM_400000_NS6detail17trampoline_kernelINS0_14default_configENS1_22reduce_config_selectorIlEEZNS1_11reduce_implILb1ES3_PlS7_lN6hipcub16HIPCUB_304000_NS6detail34convert_binary_result_type_wrapperINS9_3SumENS9_22TransformInputIteratorIb7NonZeroIiEPilEElEEEE10hipError_tPvRmT1_T2_T3_mT4_P12ihipStream_tbEUlT_E1_NS1_11comp_targetILNS1_3genE8ELNS1_11target_archE1030ELNS1_3gpuE2ELNS1_3repE0EEENS1_30default_config_static_selectorELNS0_4arch9wavefront6targetE1EEEvSM_.num_named_barrier, 0
	.set _ZN7rocprim17ROCPRIM_400000_NS6detail17trampoline_kernelINS0_14default_configENS1_22reduce_config_selectorIlEEZNS1_11reduce_implILb1ES3_PlS7_lN6hipcub16HIPCUB_304000_NS6detail34convert_binary_result_type_wrapperINS9_3SumENS9_22TransformInputIteratorIb7NonZeroIiEPilEElEEEE10hipError_tPvRmT1_T2_T3_mT4_P12ihipStream_tbEUlT_E1_NS1_11comp_targetILNS1_3genE8ELNS1_11target_archE1030ELNS1_3gpuE2ELNS1_3repE0EEENS1_30default_config_static_selectorELNS0_4arch9wavefront6targetE1EEEvSM_.private_seg_size, 0
	.set _ZN7rocprim17ROCPRIM_400000_NS6detail17trampoline_kernelINS0_14default_configENS1_22reduce_config_selectorIlEEZNS1_11reduce_implILb1ES3_PlS7_lN6hipcub16HIPCUB_304000_NS6detail34convert_binary_result_type_wrapperINS9_3SumENS9_22TransformInputIteratorIb7NonZeroIiEPilEElEEEE10hipError_tPvRmT1_T2_T3_mT4_P12ihipStream_tbEUlT_E1_NS1_11comp_targetILNS1_3genE8ELNS1_11target_archE1030ELNS1_3gpuE2ELNS1_3repE0EEENS1_30default_config_static_selectorELNS0_4arch9wavefront6targetE1EEEvSM_.uses_vcc, 0
	.set _ZN7rocprim17ROCPRIM_400000_NS6detail17trampoline_kernelINS0_14default_configENS1_22reduce_config_selectorIlEEZNS1_11reduce_implILb1ES3_PlS7_lN6hipcub16HIPCUB_304000_NS6detail34convert_binary_result_type_wrapperINS9_3SumENS9_22TransformInputIteratorIb7NonZeroIiEPilEElEEEE10hipError_tPvRmT1_T2_T3_mT4_P12ihipStream_tbEUlT_E1_NS1_11comp_targetILNS1_3genE8ELNS1_11target_archE1030ELNS1_3gpuE2ELNS1_3repE0EEENS1_30default_config_static_selectorELNS0_4arch9wavefront6targetE1EEEvSM_.uses_flat_scratch, 0
	.set _ZN7rocprim17ROCPRIM_400000_NS6detail17trampoline_kernelINS0_14default_configENS1_22reduce_config_selectorIlEEZNS1_11reduce_implILb1ES3_PlS7_lN6hipcub16HIPCUB_304000_NS6detail34convert_binary_result_type_wrapperINS9_3SumENS9_22TransformInputIteratorIb7NonZeroIiEPilEElEEEE10hipError_tPvRmT1_T2_T3_mT4_P12ihipStream_tbEUlT_E1_NS1_11comp_targetILNS1_3genE8ELNS1_11target_archE1030ELNS1_3gpuE2ELNS1_3repE0EEENS1_30default_config_static_selectorELNS0_4arch9wavefront6targetE1EEEvSM_.has_dyn_sized_stack, 0
	.set _ZN7rocprim17ROCPRIM_400000_NS6detail17trampoline_kernelINS0_14default_configENS1_22reduce_config_selectorIlEEZNS1_11reduce_implILb1ES3_PlS7_lN6hipcub16HIPCUB_304000_NS6detail34convert_binary_result_type_wrapperINS9_3SumENS9_22TransformInputIteratorIb7NonZeroIiEPilEElEEEE10hipError_tPvRmT1_T2_T3_mT4_P12ihipStream_tbEUlT_E1_NS1_11comp_targetILNS1_3genE8ELNS1_11target_archE1030ELNS1_3gpuE2ELNS1_3repE0EEENS1_30default_config_static_selectorELNS0_4arch9wavefront6targetE1EEEvSM_.has_recursion, 0
	.set _ZN7rocprim17ROCPRIM_400000_NS6detail17trampoline_kernelINS0_14default_configENS1_22reduce_config_selectorIlEEZNS1_11reduce_implILb1ES3_PlS7_lN6hipcub16HIPCUB_304000_NS6detail34convert_binary_result_type_wrapperINS9_3SumENS9_22TransformInputIteratorIb7NonZeroIiEPilEElEEEE10hipError_tPvRmT1_T2_T3_mT4_P12ihipStream_tbEUlT_E1_NS1_11comp_targetILNS1_3genE8ELNS1_11target_archE1030ELNS1_3gpuE2ELNS1_3repE0EEENS1_30default_config_static_selectorELNS0_4arch9wavefront6targetE1EEEvSM_.has_indirect_call, 0
	.section	.AMDGPU.csdata,"",@progbits
; Kernel info:
; codeLenInByte = 0
; TotalNumSgprs: 6
; NumVgprs: 0
; NumAgprs: 0
; TotalNumVgprs: 0
; ScratchSize: 0
; MemoryBound: 0
; FloatMode: 240
; IeeeMode: 1
; LDSByteSize: 0 bytes/workgroup (compile time only)
; SGPRBlocks: 0
; VGPRBlocks: 0
; NumSGPRsForWavesPerEU: 6
; NumVGPRsForWavesPerEU: 1
; AccumOffset: 4
; Occupancy: 8
; WaveLimiterHint : 0
; COMPUTE_PGM_RSRC2:SCRATCH_EN: 0
; COMPUTE_PGM_RSRC2:USER_SGPR: 2
; COMPUTE_PGM_RSRC2:TRAP_HANDLER: 0
; COMPUTE_PGM_RSRC2:TGID_X_EN: 1
; COMPUTE_PGM_RSRC2:TGID_Y_EN: 0
; COMPUTE_PGM_RSRC2:TGID_Z_EN: 0
; COMPUTE_PGM_RSRC2:TIDIG_COMP_CNT: 0
; COMPUTE_PGM_RSRC3_GFX90A:ACCUM_OFFSET: 0
; COMPUTE_PGM_RSRC3_GFX90A:TG_SPLIT: 0
	.section	.text._ZN7rocprim17ROCPRIM_400000_NS6detail17trampoline_kernelINS0_14default_configENS1_22reduce_config_selectorIbEEZNS1_11reduce_implILb1ES3_N6hipcub16HIPCUB_304000_NS22TransformInputIteratorIb7NonZeroIiEPilEEPllNS8_6detail34convert_binary_result_type_wrapperINS8_3SumESD_lEEEE10hipError_tPvRmT1_T2_T3_mT4_P12ihipStream_tbEUlT_E0_NS1_11comp_targetILNS1_3genE0ELNS1_11target_archE4294967295ELNS1_3gpuE0ELNS1_3repE0EEENS1_30default_config_static_selectorELNS0_4arch9wavefront6targetE1EEEvSM_,"axG",@progbits,_ZN7rocprim17ROCPRIM_400000_NS6detail17trampoline_kernelINS0_14default_configENS1_22reduce_config_selectorIbEEZNS1_11reduce_implILb1ES3_N6hipcub16HIPCUB_304000_NS22TransformInputIteratorIb7NonZeroIiEPilEEPllNS8_6detail34convert_binary_result_type_wrapperINS8_3SumESD_lEEEE10hipError_tPvRmT1_T2_T3_mT4_P12ihipStream_tbEUlT_E0_NS1_11comp_targetILNS1_3genE0ELNS1_11target_archE4294967295ELNS1_3gpuE0ELNS1_3repE0EEENS1_30default_config_static_selectorELNS0_4arch9wavefront6targetE1EEEvSM_,comdat
	.protected	_ZN7rocprim17ROCPRIM_400000_NS6detail17trampoline_kernelINS0_14default_configENS1_22reduce_config_selectorIbEEZNS1_11reduce_implILb1ES3_N6hipcub16HIPCUB_304000_NS22TransformInputIteratorIb7NonZeroIiEPilEEPllNS8_6detail34convert_binary_result_type_wrapperINS8_3SumESD_lEEEE10hipError_tPvRmT1_T2_T3_mT4_P12ihipStream_tbEUlT_E0_NS1_11comp_targetILNS1_3genE0ELNS1_11target_archE4294967295ELNS1_3gpuE0ELNS1_3repE0EEENS1_30default_config_static_selectorELNS0_4arch9wavefront6targetE1EEEvSM_ ; -- Begin function _ZN7rocprim17ROCPRIM_400000_NS6detail17trampoline_kernelINS0_14default_configENS1_22reduce_config_selectorIbEEZNS1_11reduce_implILb1ES3_N6hipcub16HIPCUB_304000_NS22TransformInputIteratorIb7NonZeroIiEPilEEPllNS8_6detail34convert_binary_result_type_wrapperINS8_3SumESD_lEEEE10hipError_tPvRmT1_T2_T3_mT4_P12ihipStream_tbEUlT_E0_NS1_11comp_targetILNS1_3genE0ELNS1_11target_archE4294967295ELNS1_3gpuE0ELNS1_3repE0EEENS1_30default_config_static_selectorELNS0_4arch9wavefront6targetE1EEEvSM_
	.globl	_ZN7rocprim17ROCPRIM_400000_NS6detail17trampoline_kernelINS0_14default_configENS1_22reduce_config_selectorIbEEZNS1_11reduce_implILb1ES3_N6hipcub16HIPCUB_304000_NS22TransformInputIteratorIb7NonZeroIiEPilEEPllNS8_6detail34convert_binary_result_type_wrapperINS8_3SumESD_lEEEE10hipError_tPvRmT1_T2_T3_mT4_P12ihipStream_tbEUlT_E0_NS1_11comp_targetILNS1_3genE0ELNS1_11target_archE4294967295ELNS1_3gpuE0ELNS1_3repE0EEENS1_30default_config_static_selectorELNS0_4arch9wavefront6targetE1EEEvSM_
	.p2align	8
	.type	_ZN7rocprim17ROCPRIM_400000_NS6detail17trampoline_kernelINS0_14default_configENS1_22reduce_config_selectorIbEEZNS1_11reduce_implILb1ES3_N6hipcub16HIPCUB_304000_NS22TransformInputIteratorIb7NonZeroIiEPilEEPllNS8_6detail34convert_binary_result_type_wrapperINS8_3SumESD_lEEEE10hipError_tPvRmT1_T2_T3_mT4_P12ihipStream_tbEUlT_E0_NS1_11comp_targetILNS1_3genE0ELNS1_11target_archE4294967295ELNS1_3gpuE0ELNS1_3repE0EEENS1_30default_config_static_selectorELNS0_4arch9wavefront6targetE1EEEvSM_,@function
_ZN7rocprim17ROCPRIM_400000_NS6detail17trampoline_kernelINS0_14default_configENS1_22reduce_config_selectorIbEEZNS1_11reduce_implILb1ES3_N6hipcub16HIPCUB_304000_NS22TransformInputIteratorIb7NonZeroIiEPilEEPllNS8_6detail34convert_binary_result_type_wrapperINS8_3SumESD_lEEEE10hipError_tPvRmT1_T2_T3_mT4_P12ihipStream_tbEUlT_E0_NS1_11comp_targetILNS1_3genE0ELNS1_11target_archE4294967295ELNS1_3gpuE0ELNS1_3repE0EEENS1_30default_config_static_selectorELNS0_4arch9wavefront6targetE1EEEvSM_: ; @_ZN7rocprim17ROCPRIM_400000_NS6detail17trampoline_kernelINS0_14default_configENS1_22reduce_config_selectorIbEEZNS1_11reduce_implILb1ES3_N6hipcub16HIPCUB_304000_NS22TransformInputIteratorIb7NonZeroIiEPilEEPllNS8_6detail34convert_binary_result_type_wrapperINS8_3SumESD_lEEEE10hipError_tPvRmT1_T2_T3_mT4_P12ihipStream_tbEUlT_E0_NS1_11comp_targetILNS1_3genE0ELNS1_11target_archE4294967295ELNS1_3gpuE0ELNS1_3repE0EEENS1_30default_config_static_selectorELNS0_4arch9wavefront6targetE1EEEvSM_
; %bb.0:
	s_load_dwordx8 s[36:43], s[0:1], 0x10
	s_load_dwordx2 s[4:5], s[0:1], 0x0
	s_load_dwordx4 s[44:47], s[0:1], 0x30
	s_mov_b32 s3, 0
	v_lshlrev_b32_e32 v34, 2, v0
	s_waitcnt lgkmcnt(0)
	s_lshl_b64 s[0:1], s[36:37], 2
	s_add_u32 s8, s4, s0
	s_addc_u32 s9, s5, s1
	s_lshl_b32 s0, s2, 12
	s_mov_b32 s1, s3
	s_lshr_b64 s[4:5], s[38:39], 12
	s_lshl_b64 s[6:7], s[0:1], 2
	s_add_u32 s30, s8, s6
	s_addc_u32 s31, s9, s7
	s_cmp_lg_u64 s[4:5], s[2:3]
	v_mbcnt_lo_u32_b32 v1, -1, 0
	s_cbranch_scc0 .LBB167_6
; %bb.1:
	global_load_dword v8, v34, s[30:31] offset:1024
	global_load_dword v10, v34, s[30:31] offset:2048
	global_load_dword v12, v34, s[30:31] offset:3072
	v_mov_b32_e32 v35, 0
	v_lshl_add_u64 v[2:3], s[30:31], 0, v[34:35]
	global_load_dword v14, v34, s[30:31]
	s_movk_i32 s1, 0x3000
	v_add_co_u32_e32 v4, vcc, s1, v2
	s_movk_i32 s1, 0x2000
	s_nop 0
	v_addc_co_u32_e32 v5, vcc, 0, v3, vcc
	global_load_dword v16, v[4:5], off offset:-4096
	global_load_dword v18, v[4:5], off
	global_load_dword v20, v[4:5], off offset:1024
	global_load_dword v26, v[4:5], off offset:2048
	v_add_co_u32_e32 v6, vcc, 0x1000, v2
	v_mov_b32_e32 v31, v35
	s_nop 0
	v_addc_co_u32_e32 v7, vcc, 0, v3, vcc
	global_load_dword v28, v[4:5], off offset:3072
	global_load_dword v36, v[6:7], off
	global_load_dword v38, v[6:7], off offset:1024
	global_load_dword v39, v[6:7], off offset:2048
	;; [unrolled: 1-line block ×3, first 2 shown]
	v_add_co_u32_e32 v2, vcc, s1, v2
	v_mov_b32_e32 v7, s3
	s_nop 0
	v_addc_co_u32_e32 v3, vcc, 0, v3, vcc
	global_load_dword v5, v[2:3], off offset:1024
	global_load_dword v41, v[2:3], off offset:2048
	global_load_dword v42, v[2:3], off offset:3072
	v_mov_b32_e32 v3, s3
	v_mov_b32_e32 v9, s3
	;; [unrolled: 1-line block ×13, first 2 shown]
	v_mov_b32_dpp v33, v35 quad_perm:[1,0,3,2] row_mask:0xf bank_mask:0xf bound_ctrl:1
	v_mov_b32_e32 v32, v35
	v_mbcnt_hi_u32_b32 v4, -1, v1
	s_waitcnt vmcnt(13)
	v_cmp_ne_u32_e32 vcc, 0, v12
	s_nop 1
	v_cndmask_b32_e64 v2, 0, 1, vcc
	v_cmp_ne_u32_e32 vcc, 0, v8
	s_nop 1
	v_cndmask_b32_e64 v6, 0, 1, vcc
	s_waitcnt vmcnt(12)
	v_cmp_ne_u32_e32 vcc, 0, v14
	s_nop 1
	v_cndmask_b32_e64 v8, 0, 1, vcc
	v_cmp_ne_u32_e32 vcc, 0, v10
	s_nop 1
	v_addc_co_u32_e32 v30, vcc, v6, v8, vcc
	s_waitcnt vmcnt(11)
	v_cmp_ne_u32_e32 vcc, 0, v16
	v_lshl_add_u64 v[2:3], v[30:31], 0, v[2:3]
	s_nop 0
	v_cndmask_b32_e64 v14, 0, 1, vcc
	s_waitcnt vmcnt(10)
	v_cmp_ne_u32_e32 vcc, 0, v18
	s_nop 1
	v_cndmask_b32_e64 v22, 0, 1, vcc
	s_waitcnt vmcnt(9)
	v_cmp_ne_u32_e32 vcc, 0, v20
	;; [unrolled: 4-line block ×6, first 2 shown]
	v_lshl_add_u64 v[2:3], v[2:3], 0, v[6:7]
	s_nop 0
	v_cndmask_b32_e64 v8, 0, 1, vcc
	s_waitcnt vmcnt(4)
	v_cmp_ne_u32_e32 vcc, 0, v39
	v_lshl_add_u64 v[2:3], v[2:3], 0, v[8:9]
	v_mov_b32_e32 v8, v35
	v_cndmask_b32_e64 v10, 0, 1, vcc
	s_waitcnt vmcnt(3)
	v_cmp_ne_u32_e32 vcc, 0, v40
	v_lshl_add_u64 v[2:3], v[2:3], 0, v[10:11]
	s_nop 0
	v_cndmask_b32_e64 v12, 0, 1, vcc
	s_waitcnt vmcnt(2)
	v_cmp_ne_u32_e32 vcc, 0, v5
	v_lshl_add_u64 v[2:3], v[2:3], 0, v[12:13]
	v_lshl_add_u64 v[2:3], v[2:3], 0, v[14:15]
	v_cndmask_b32_e64 v16, 0, 1, vcc
	s_waitcnt vmcnt(1)
	v_cmp_ne_u32_e32 vcc, 0, v41
	v_lshl_add_u64 v[2:3], v[2:3], 0, v[16:17]
	v_lshlrev_b32_e32 v5, 2, v4
	v_cndmask_b32_e64 v18, 0, 1, vcc
	s_waitcnt vmcnt(0)
	v_cmp_ne_u32_e32 vcc, 0, v42
	v_lshl_add_u64 v[2:3], v[2:3], 0, v[18:19]
	s_nop 0
	v_cndmask_b32_e64 v20, 0, 1, vcc
	v_lshl_add_u64 v[2:3], v[2:3], 0, v[20:21]
	v_lshl_add_u64 v[2:3], v[2:3], 0, v[22:23]
	;; [unrolled: 1-line block ×5, first 2 shown]
	v_cmp_eq_u32_e32 vcc, 0, v4
	s_nop 0
	v_mov_b32_dpp v36, v2 quad_perm:[1,0,3,2] row_mask:0xf bank_mask:0xf bound_ctrl:1
	v_lshl_add_u64 v[2:3], v[2:3], 0, v[36:37]
	v_lshl_add_u64 v[6:7], v[32:33], 0, v[2:3]
	v_mov_b32_e32 v3, v35
	v_mov_b32_dpp v2, v2 quad_perm:[2,3,0,1] row_mask:0xf bank_mask:0xf bound_ctrl:1
	v_mov_b32_dpp v9, v7 quad_perm:[2,3,0,1] row_mask:0xf bank_mask:0xf bound_ctrl:1
	v_lshl_add_u64 v[2:3], v[6:7], 0, v[2:3]
	v_lshl_add_u64 v[6:7], v[2:3], 0, v[8:9]
	v_mov_b32_e32 v3, v35
	v_mov_b32_dpp v2, v2 row_ror:4 row_mask:0xf bank_mask:0xf bound_ctrl:1
	v_mov_b32_dpp v9, v7 row_ror:4 row_mask:0xf bank_mask:0xf bound_ctrl:1
	v_lshl_add_u64 v[2:3], v[6:7], 0, v[2:3]
	v_lshl_add_u64 v[6:7], v[2:3], 0, v[8:9]
	v_mov_b32_e32 v3, v35
	v_mov_b32_dpp v2, v2 row_ror:8 row_mask:0xf bank_mask:0xf bound_ctrl:1
	v_mov_b32_dpp v9, v7 row_ror:8 row_mask:0xf bank_mask:0xf bound_ctrl:1
	v_lshl_add_u64 v[2:3], v[6:7], 0, v[2:3]
	v_lshl_add_u64 v[6:7], v[2:3], 0, v[8:9]
	v_mov_b32_e32 v3, v35
	v_mov_b32_dpp v2, v2 row_bcast:15 row_mask:0xf bank_mask:0xf bound_ctrl:1
	v_mov_b32_dpp v9, v7 row_bcast:15 row_mask:0xf bank_mask:0xf bound_ctrl:1
	v_lshl_add_u64 v[2:3], v[6:7], 0, v[2:3]
	v_lshl_add_u64 v[6:7], v[2:3], 0, v[8:9]
	v_mov_b32_e32 v3, v35
	v_mov_b32_dpp v2, v2 row_bcast:31 row_mask:0xf bank_mask:0xf bound_ctrl:1
	v_lshl_add_u64 v[2:3], v[6:7], 0, v[2:3]
	v_or_b32_e32 v6, 0xfc, v5
	ds_bpermute_b32 v2, v6, v2
	v_add_u32_dpp v3, v7, v3 row_bcast:31 row_mask:0xf bank_mask:0xf bound_ctrl:1
	ds_bpermute_b32 v3, v6, v3
	s_and_saveexec_b64 s[4:5], vcc
	s_cbranch_execz .LBB167_3
; %bb.2:
	v_lshrrev_b32_e32 v6, 3, v0
	v_and_b32_e32 v6, 24, v6
	s_waitcnt lgkmcnt(0)
	ds_write_b64 v6, v[2:3]
.LBB167_3:
	s_or_b64 exec, exec, s[4:5]
	v_cmp_gt_u32_e32 vcc, 64, v0
	s_waitcnt lgkmcnt(0)
	s_barrier
	s_and_saveexec_b64 s[4:5], vcc
	s_cbranch_execz .LBB167_5
; %bb.4:
	v_and_b32_e32 v6, 3, v4
	v_lshlrev_b32_e32 v2, 3, v6
	ds_read_b64 v[2:3], v2
	v_cmp_ne_u32_e32 vcc, 3, v6
	v_or_b32_e32 v8, 8, v5
	s_nop 0
	v_addc_co_u32_e32 v4, vcc, 0, v4, vcc
	v_lshlrev_b32_e32 v6, 2, v4
	s_waitcnt lgkmcnt(0)
	ds_bpermute_b32 v4, v6, v2
	ds_bpermute_b32 v7, v6, v3
	v_mov_b32_e32 v6, 0
	v_mov_b32_e32 v5, v6
	s_waitcnt lgkmcnt(1)
	v_lshl_add_u64 v[2:3], v[2:3], 0, v[4:5]
	s_waitcnt lgkmcnt(0)
	v_lshl_add_u64 v[4:5], v[6:7], 0, v[2:3]
	ds_bpermute_b32 v2, v8, v2
	ds_bpermute_b32 v7, v8, v5
	v_mov_b32_e32 v3, v6
	s_waitcnt lgkmcnt(1)
	v_lshl_add_u64 v[2:3], v[4:5], 0, v[2:3]
	s_waitcnt lgkmcnt(0)
	v_lshl_add_u64 v[2:3], v[2:3], 0, v[6:7]
.LBB167_5:
	s_or_b64 exec, exec, s[4:5]
	s_branch .LBB167_48
.LBB167_6:
                                        ; implicit-def: $vgpr2_vgpr3
	s_cbranch_execz .LBB167_48
; %bb.7:
	s_sub_i32 s33, s38, s0
	v_mov_b32_e32 v2, 0
	v_cmp_gt_u32_e32 vcc, s33, v0
	v_mov_b32_e32 v3, v2
	v_mov_b32_e32 v4, v2
	v_mov_b32_e32 v5, v2
	v_mov_b32_e32 v6, v2
	v_mov_b32_e32 v7, v2
	v_mov_b32_e32 v8, v2
	v_mov_b32_e32 v9, v2
	v_mov_b32_e32 v10, v2
	v_mov_b32_e32 v11, v2
	v_mov_b32_e32 v12, v2
	v_mov_b32_e32 v13, v2
	v_mov_b32_e32 v14, v2
	v_mov_b32_e32 v15, v2
	v_mov_b32_e32 v16, v2
	v_mov_b32_e32 v17, v2
	v_mov_b32_e32 v18, v2
	v_mov_b32_e32 v19, v2
	v_mov_b32_e32 v20, v2
	v_mov_b32_e32 v21, v2
	v_mov_b32_e32 v22, v2
	v_mov_b32_e32 v23, v2
	v_mov_b32_e32 v24, v2
	v_mov_b32_e32 v25, v2
	v_mov_b32_e32 v26, v2
	v_mov_b32_e32 v27, v2
	v_mov_b32_e32 v28, v2
	v_mov_b32_e32 v29, v2
	v_mov_b32_e32 v30, v2
	v_mov_b32_e32 v31, v2
	v_mov_b32_e32 v32, v2
	v_mov_b32_e32 v33, v2
	s_and_saveexec_b64 s[0:1], vcc
	s_cbranch_execz .LBB167_9
; %bb.8:
	global_load_dword v35, v34, s[30:31]
	v_mov_b32_e32 v3, v2
	v_mov_b32_e32 v4, v2
	;; [unrolled: 1-line block ×31, first 2 shown]
	s_waitcnt vmcnt(0)
	v_cmp_ne_u32_e32 vcc, 0, v35
	s_nop 1
	v_cndmask_b32_e64 v2, 0, 1, vcc
.LBB167_9:
	s_or_b64 exec, exec, s[0:1]
	v_or_b32_e32 v35, 0x100, v0
	v_cmp_gt_u32_e32 vcc, s33, v35
	s_and_saveexec_b64 s[4:5], vcc
	s_cbranch_execz .LBB167_11
; %bb.10:
	global_load_dword v4, v34, s[30:31] offset:1024
	s_mov_b32 s6, 0
	v_mov_b32_e32 v5, s6
	s_waitcnt vmcnt(0)
	v_cmp_ne_u32_e64 s[0:1], 0, v4
	s_nop 1
	v_cndmask_b32_e64 v4, 0, 1, s[0:1]
.LBB167_11:
	s_or_b64 exec, exec, s[4:5]
	v_or_b32_e32 v35, 0x200, v0
	v_cmp_gt_u32_e64 s[0:1], s33, v35
	s_and_saveexec_b64 s[6:7], s[0:1]
	s_cbranch_execz .LBB167_13
; %bb.12:
	global_load_dword v6, v34, s[30:31] offset:2048
	s_mov_b32 s8, 0
	v_mov_b32_e32 v7, s8
	s_waitcnt vmcnt(0)
	v_cmp_ne_u32_e64 s[4:5], 0, v6
	s_nop 1
	v_cndmask_b32_e64 v6, 0, 1, s[4:5]
.LBB167_13:
	s_or_b64 exec, exec, s[6:7]
	v_or_b32_e32 v35, 0x300, v0
	v_cmp_gt_u32_e64 s[4:5], s33, v35
	s_and_saveexec_b64 s[8:9], s[4:5]
	;; [unrolled: 14-line block ×3, first 2 shown]
	s_cbranch_execz .LBB167_17
; %bb.16:
	v_lshlrev_b32_e32 v10, 2, v34
	global_load_dword v10, v10, s[30:31]
	s_mov_b32 s12, 0
	v_mov_b32_e32 v11, s12
	s_waitcnt vmcnt(0)
	v_cmp_ne_u32_e64 s[8:9], 0, v10
	s_nop 1
	v_cndmask_b32_e64 v10, 0, 1, s[8:9]
.LBB167_17:
	s_or_b64 exec, exec, s[10:11]
	v_or_b32_e32 v34, 0x500, v0
	v_cmp_gt_u32_e64 s[8:9], s33, v34
	s_and_saveexec_b64 s[12:13], s[8:9]
	s_cbranch_execz .LBB167_19
; %bb.18:
	v_lshlrev_b32_e32 v12, 2, v34
	global_load_dword v12, v12, s[30:31]
	s_mov_b32 s14, 0
	v_mov_b32_e32 v13, s14
	s_waitcnt vmcnt(0)
	v_cmp_ne_u32_e64 s[10:11], 0, v12
	s_nop 1
	v_cndmask_b32_e64 v12, 0, 1, s[10:11]
.LBB167_19:
	s_or_b64 exec, exec, s[12:13]
	v_or_b32_e32 v34, 0x600, v0
	v_cmp_gt_u32_e64 s[10:11], s33, v34
	s_and_saveexec_b64 s[14:15], s[10:11]
	;; [unrolled: 15-line block ×11, first 2 shown]
	s_cbranch_execz .LBB167_39
; %bb.38:
	v_lshlrev_b32_e32 v32, 2, v34
	global_load_dword v32, v32, s[30:31]
	s_mov_b32 s36, 0
	v_mov_b32_e32 v33, s36
	s_waitcnt vmcnt(0)
	v_cmp_ne_u32_e64 s[30:31], 0, v32
	s_nop 1
	v_cndmask_b32_e64 v32, 0, 1, s[30:31]
.LBB167_39:
	s_or_b64 exec, exec, s[34:35]
	v_cndmask_b32_e32 v5, 0, v5, vcc
	v_cndmask_b32_e32 v4, 0, v4, vcc
	v_lshl_add_u64 v[2:3], v[4:5], 0, v[2:3]
	v_cndmask_b32_e64 v5, 0, v7, s[0:1]
	v_cndmask_b32_e64 v4, 0, v6, s[0:1]
	v_lshl_add_u64 v[2:3], v[2:3], 0, v[4:5]
	v_cndmask_b32_e64 v5, 0, v9, s[4:5]
	v_cndmask_b32_e64 v4, 0, v8, s[4:5]
	;; [unrolled: 3-line block ×13, first 2 shown]
	v_mbcnt_hi_u32_b32 v1, -1, v1
	v_lshl_add_u64 v[2:3], v[2:3], 0, v[4:5]
	v_cndmask_b32_e64 v5, 0, v33, s[28:29]
	v_cndmask_b32_e64 v4, 0, v32, s[28:29]
	v_and_b32_e32 v9, 63, v1
	v_lshl_add_u64 v[2:3], v[2:3], 0, v[4:5]
	s_min_u32 s6, s33, 0x100
	v_and_b32_e32 v4, 0xc0, v0
	v_cmp_ne_u32_e32 vcc, 63, v9
	v_sub_u32_e64 v8, s6, v4 clamp
	v_mov_b32_e32 v6, 0
	v_addc_co_u32_e32 v4, vcc, 0, v1, vcc
	v_lshlrev_b32_e32 v5, 2, v4
	ds_bpermute_b32 v4, v5, v2
	ds_bpermute_b32 v7, v5, v3
	v_add_u32_e32 v10, 1, v9
	v_mov_b32_e32 v5, v6
	v_cmp_lt_u32_e64 s[0:1], v10, v8
	s_waitcnt lgkmcnt(1)
	v_lshl_add_u64 v[4:5], v[2:3], 0, v[4:5]
	v_cmp_gt_u32_e32 vcc, 62, v9
	s_waitcnt lgkmcnt(0)
	v_lshl_add_u64 v[6:7], v[4:5], 0, v[6:7]
	v_cndmask_b32_e64 v12, v2, v4, s[0:1]
	v_cndmask_b32_e64 v4, 0, 2, vcc
	v_cndmask_b32_e64 v5, v3, v7, s[0:1]
	v_add_lshl_u32 v4, v4, v1, 2
	ds_bpermute_b32 v10, v4, v12
	ds_bpermute_b32 v11, v4, v5
	v_cndmask_b32_e64 v4, v2, v6, s[0:1]
	v_add_u32_e32 v13, 2, v9
	v_cmp_lt_u32_e32 vcc, v13, v8
	v_cmp_gt_u32_e64 s[4:5], 60, v9
	s_waitcnt lgkmcnt(0)
	v_lshl_add_u64 v[6:7], v[10:11], 0, v[4:5]
	v_cndmask_b32_e32 v5, v5, v7, vcc
	v_cndmask_b32_e64 v7, 0, 4, s[4:5]
	v_cndmask_b32_e32 v12, v12, v6, vcc
	v_add_lshl_u32 v7, v7, v1, 2
	ds_bpermute_b32 v10, v7, v12
	ds_bpermute_b32 v11, v7, v5
	v_cndmask_b32_e32 v4, v4, v6, vcc
	v_add_u32_e32 v13, 4, v9
	v_cmp_lt_u32_e32 vcc, v13, v8
	v_cmp_gt_u32_e64 s[4:5], 56, v9
	s_waitcnt lgkmcnt(0)
	v_lshl_add_u64 v[6:7], v[10:11], 0, v[4:5]
	v_cndmask_b32_e32 v5, v5, v7, vcc
	v_cndmask_b32_e64 v7, 0, 8, s[4:5]
	v_cndmask_b32_e32 v12, v12, v6, vcc
	v_add_lshl_u32 v7, v7, v1, 2
	ds_bpermute_b32 v10, v7, v12
	ds_bpermute_b32 v11, v7, v5
	v_cndmask_b32_e32 v4, v4, v6, vcc
	;; [unrolled: 12-line block ×3, first 2 shown]
	v_add_u32_e32 v13, 16, v9
	v_cmp_lt_u32_e32 vcc, v13, v8
	s_waitcnt lgkmcnt(0)
	v_lshl_add_u64 v[6:7], v[10:11], 0, v[4:5]
	v_lshlrev_b32_e32 v10, 2, v1
	v_cndmask_b32_e32 v13, v5, v7, vcc
	v_cndmask_b32_e32 v11, v12, v6, vcc
	v_or_b32_e32 v12, 0x80, v10
	ds_bpermute_b32 v11, v12, v11
	ds_bpermute_b32 v12, v12, v13
	s_and_saveexec_b64 s[4:5], s[0:1]
	s_cbranch_execz .LBB167_41
; %bb.40:
	v_add_u32_e32 v9, 32, v9
	v_cndmask_b32_e32 v3, v5, v7, vcc
	v_cndmask_b32_e32 v2, v4, v6, vcc
	v_cmp_lt_u32_e32 vcc, v9, v8
	s_waitcnt lgkmcnt(0)
	s_nop 0
	v_cndmask_b32_e32 v5, 0, v12, vcc
	v_cndmask_b32_e32 v4, 0, v11, vcc
	v_lshl_add_u64 v[2:3], v[2:3], 0, v[4:5]
.LBB167_41:
	s_or_b64 exec, exec, s[4:5]
	v_cmp_eq_u32_e32 vcc, 0, v1
	s_and_saveexec_b64 s[0:1], vcc
; %bb.42:
	v_lshrrev_b32_e32 v4, 3, v0
	v_and_b32_e32 v4, 24, v4
	ds_write_b64 v4, v[2:3] offset:32
; %bb.43:
	s_or_b64 exec, exec, s[0:1]
	v_cmp_gt_u32_e32 vcc, 4, v0
	s_waitcnt lgkmcnt(0)
	s_barrier
	s_and_saveexec_b64 s[0:1], vcc
	s_cbranch_execz .LBB167_47
; %bb.44:
	v_lshlrev_b32_e32 v2, 3, v1
	ds_read_b64 v[2:3], v2 offset:32
	v_and_b32_e32 v6, 3, v1
	v_cmp_ne_u32_e32 vcc, 3, v6
	v_mov_b32_e32 v8, 0
	s_add_i32 s6, s6, 63
	v_addc_co_u32_e32 v1, vcc, 0, v1, vcc
	v_lshlrev_b32_e32 v1, 2, v1
	s_waitcnt lgkmcnt(0)
	ds_bpermute_b32 v4, v1, v2
	ds_bpermute_b32 v9, v1, v3
	v_mov_b32_e32 v5, v8
	s_lshr_b32 s6, s6, 6
	v_add_u32_e32 v1, 1, v6
	s_waitcnt lgkmcnt(1)
	v_lshl_add_u64 v[12:13], v[2:3], 0, v[4:5]
	s_waitcnt lgkmcnt(0)
	v_lshl_add_u64 v[4:5], v[8:9], 0, v[12:13]
	v_cmp_gt_u32_e32 vcc, s6, v1
	v_or_b32_e32 v8, 8, v10
	s_nop 0
	v_cndmask_b32_e32 v7, v3, v5, vcc
	v_cndmask_b32_e32 v1, v2, v12, vcc
	ds_bpermute_b32 v1, v8, v1
	ds_bpermute_b32 v7, v8, v7
	s_and_saveexec_b64 s[4:5], vcc
	s_cbranch_execz .LBB167_46
; %bb.45:
	v_add_u32_e32 v2, 2, v6
	v_cmp_gt_u32_e32 vcc, s6, v2
	s_waitcnt lgkmcnt(0)
	s_nop 0
	v_cndmask_b32_e32 v3, 0, v7, vcc
	v_cndmask_b32_e32 v2, 0, v1, vcc
	v_lshl_add_u64 v[2:3], v[2:3], 0, v[4:5]
.LBB167_46:
	s_or_b64 exec, exec, s[4:5]
.LBB167_47:
	s_or_b64 exec, exec, s[0:1]
.LBB167_48:
	v_cmp_eq_u32_e32 vcc, 0, v0
	s_and_saveexec_b64 s[0:1], vcc
	s_cbranch_execnz .LBB167_50
; %bb.49:
	s_endpgm
.LBB167_50:
	s_mul_i32 s0, s44, s43
	s_mul_hi_u32 s1, s44, s42
	s_add_i32 s0, s1, s0
	s_mul_i32 s1, s45, s42
	s_add_i32 s1, s0, s1
	s_mul_i32 s0, s44, s42
	s_lshl_b64 s[0:1], s[0:1], 3
	s_add_u32 s4, s40, s0
	s_addc_u32 s5, s41, s1
	s_cmp_eq_u64 s[38:39], 0
	v_mov_b32_e32 v0, s47
	s_cselect_b64 vcc, -1, 0
	s_lshl_b64 s[0:1], s[2:3], 3
	s_waitcnt lgkmcnt(1)
	v_cndmask_b32_e32 v1, v3, v0, vcc
	v_mov_b32_e32 v0, s46
	s_add_u32 s0, s4, s0
	v_cndmask_b32_e32 v0, v2, v0, vcc
	s_addc_u32 s1, s5, s1
	v_mov_b32_e32 v2, 0
	global_store_dwordx2 v2, v[0:1], s[0:1]
	s_endpgm
	.section	.rodata,"a",@progbits
	.p2align	6, 0x0
	.amdhsa_kernel _ZN7rocprim17ROCPRIM_400000_NS6detail17trampoline_kernelINS0_14default_configENS1_22reduce_config_selectorIbEEZNS1_11reduce_implILb1ES3_N6hipcub16HIPCUB_304000_NS22TransformInputIteratorIb7NonZeroIiEPilEEPllNS8_6detail34convert_binary_result_type_wrapperINS8_3SumESD_lEEEE10hipError_tPvRmT1_T2_T3_mT4_P12ihipStream_tbEUlT_E0_NS1_11comp_targetILNS1_3genE0ELNS1_11target_archE4294967295ELNS1_3gpuE0ELNS1_3repE0EEENS1_30default_config_static_selectorELNS0_4arch9wavefront6targetE1EEEvSM_
		.amdhsa_group_segment_fixed_size 64
		.amdhsa_private_segment_fixed_size 0
		.amdhsa_kernarg_size 72
		.amdhsa_user_sgpr_count 2
		.amdhsa_user_sgpr_dispatch_ptr 0
		.amdhsa_user_sgpr_queue_ptr 0
		.amdhsa_user_sgpr_kernarg_segment_ptr 1
		.amdhsa_user_sgpr_dispatch_id 0
		.amdhsa_user_sgpr_kernarg_preload_length 0
		.amdhsa_user_sgpr_kernarg_preload_offset 0
		.amdhsa_user_sgpr_private_segment_size 0
		.amdhsa_uses_dynamic_stack 0
		.amdhsa_enable_private_segment 0
		.amdhsa_system_sgpr_workgroup_id_x 1
		.amdhsa_system_sgpr_workgroup_id_y 0
		.amdhsa_system_sgpr_workgroup_id_z 0
		.amdhsa_system_sgpr_workgroup_info 0
		.amdhsa_system_vgpr_workitem_id 0
		.amdhsa_next_free_vgpr 43
		.amdhsa_next_free_sgpr 48
		.amdhsa_accum_offset 44
		.amdhsa_reserve_vcc 1
		.amdhsa_float_round_mode_32 0
		.amdhsa_float_round_mode_16_64 0
		.amdhsa_float_denorm_mode_32 3
		.amdhsa_float_denorm_mode_16_64 3
		.amdhsa_dx10_clamp 1
		.amdhsa_ieee_mode 1
		.amdhsa_fp16_overflow 0
		.amdhsa_tg_split 0
		.amdhsa_exception_fp_ieee_invalid_op 0
		.amdhsa_exception_fp_denorm_src 0
		.amdhsa_exception_fp_ieee_div_zero 0
		.amdhsa_exception_fp_ieee_overflow 0
		.amdhsa_exception_fp_ieee_underflow 0
		.amdhsa_exception_fp_ieee_inexact 0
		.amdhsa_exception_int_div_zero 0
	.end_amdhsa_kernel
	.section	.text._ZN7rocprim17ROCPRIM_400000_NS6detail17trampoline_kernelINS0_14default_configENS1_22reduce_config_selectorIbEEZNS1_11reduce_implILb1ES3_N6hipcub16HIPCUB_304000_NS22TransformInputIteratorIb7NonZeroIiEPilEEPllNS8_6detail34convert_binary_result_type_wrapperINS8_3SumESD_lEEEE10hipError_tPvRmT1_T2_T3_mT4_P12ihipStream_tbEUlT_E0_NS1_11comp_targetILNS1_3genE0ELNS1_11target_archE4294967295ELNS1_3gpuE0ELNS1_3repE0EEENS1_30default_config_static_selectorELNS0_4arch9wavefront6targetE1EEEvSM_,"axG",@progbits,_ZN7rocprim17ROCPRIM_400000_NS6detail17trampoline_kernelINS0_14default_configENS1_22reduce_config_selectorIbEEZNS1_11reduce_implILb1ES3_N6hipcub16HIPCUB_304000_NS22TransformInputIteratorIb7NonZeroIiEPilEEPllNS8_6detail34convert_binary_result_type_wrapperINS8_3SumESD_lEEEE10hipError_tPvRmT1_T2_T3_mT4_P12ihipStream_tbEUlT_E0_NS1_11comp_targetILNS1_3genE0ELNS1_11target_archE4294967295ELNS1_3gpuE0ELNS1_3repE0EEENS1_30default_config_static_selectorELNS0_4arch9wavefront6targetE1EEEvSM_,comdat
.Lfunc_end167:
	.size	_ZN7rocprim17ROCPRIM_400000_NS6detail17trampoline_kernelINS0_14default_configENS1_22reduce_config_selectorIbEEZNS1_11reduce_implILb1ES3_N6hipcub16HIPCUB_304000_NS22TransformInputIteratorIb7NonZeroIiEPilEEPllNS8_6detail34convert_binary_result_type_wrapperINS8_3SumESD_lEEEE10hipError_tPvRmT1_T2_T3_mT4_P12ihipStream_tbEUlT_E0_NS1_11comp_targetILNS1_3genE0ELNS1_11target_archE4294967295ELNS1_3gpuE0ELNS1_3repE0EEENS1_30default_config_static_selectorELNS0_4arch9wavefront6targetE1EEEvSM_, .Lfunc_end167-_ZN7rocprim17ROCPRIM_400000_NS6detail17trampoline_kernelINS0_14default_configENS1_22reduce_config_selectorIbEEZNS1_11reduce_implILb1ES3_N6hipcub16HIPCUB_304000_NS22TransformInputIteratorIb7NonZeroIiEPilEEPllNS8_6detail34convert_binary_result_type_wrapperINS8_3SumESD_lEEEE10hipError_tPvRmT1_T2_T3_mT4_P12ihipStream_tbEUlT_E0_NS1_11comp_targetILNS1_3genE0ELNS1_11target_archE4294967295ELNS1_3gpuE0ELNS1_3repE0EEENS1_30default_config_static_selectorELNS0_4arch9wavefront6targetE1EEEvSM_
                                        ; -- End function
	.set _ZN7rocprim17ROCPRIM_400000_NS6detail17trampoline_kernelINS0_14default_configENS1_22reduce_config_selectorIbEEZNS1_11reduce_implILb1ES3_N6hipcub16HIPCUB_304000_NS22TransformInputIteratorIb7NonZeroIiEPilEEPllNS8_6detail34convert_binary_result_type_wrapperINS8_3SumESD_lEEEE10hipError_tPvRmT1_T2_T3_mT4_P12ihipStream_tbEUlT_E0_NS1_11comp_targetILNS1_3genE0ELNS1_11target_archE4294967295ELNS1_3gpuE0ELNS1_3repE0EEENS1_30default_config_static_selectorELNS0_4arch9wavefront6targetE1EEEvSM_.num_vgpr, 43
	.set _ZN7rocprim17ROCPRIM_400000_NS6detail17trampoline_kernelINS0_14default_configENS1_22reduce_config_selectorIbEEZNS1_11reduce_implILb1ES3_N6hipcub16HIPCUB_304000_NS22TransformInputIteratorIb7NonZeroIiEPilEEPllNS8_6detail34convert_binary_result_type_wrapperINS8_3SumESD_lEEEE10hipError_tPvRmT1_T2_T3_mT4_P12ihipStream_tbEUlT_E0_NS1_11comp_targetILNS1_3genE0ELNS1_11target_archE4294967295ELNS1_3gpuE0ELNS1_3repE0EEENS1_30default_config_static_selectorELNS0_4arch9wavefront6targetE1EEEvSM_.num_agpr, 0
	.set _ZN7rocprim17ROCPRIM_400000_NS6detail17trampoline_kernelINS0_14default_configENS1_22reduce_config_selectorIbEEZNS1_11reduce_implILb1ES3_N6hipcub16HIPCUB_304000_NS22TransformInputIteratorIb7NonZeroIiEPilEEPllNS8_6detail34convert_binary_result_type_wrapperINS8_3SumESD_lEEEE10hipError_tPvRmT1_T2_T3_mT4_P12ihipStream_tbEUlT_E0_NS1_11comp_targetILNS1_3genE0ELNS1_11target_archE4294967295ELNS1_3gpuE0ELNS1_3repE0EEENS1_30default_config_static_selectorELNS0_4arch9wavefront6targetE1EEEvSM_.numbered_sgpr, 48
	.set _ZN7rocprim17ROCPRIM_400000_NS6detail17trampoline_kernelINS0_14default_configENS1_22reduce_config_selectorIbEEZNS1_11reduce_implILb1ES3_N6hipcub16HIPCUB_304000_NS22TransformInputIteratorIb7NonZeroIiEPilEEPllNS8_6detail34convert_binary_result_type_wrapperINS8_3SumESD_lEEEE10hipError_tPvRmT1_T2_T3_mT4_P12ihipStream_tbEUlT_E0_NS1_11comp_targetILNS1_3genE0ELNS1_11target_archE4294967295ELNS1_3gpuE0ELNS1_3repE0EEENS1_30default_config_static_selectorELNS0_4arch9wavefront6targetE1EEEvSM_.num_named_barrier, 0
	.set _ZN7rocprim17ROCPRIM_400000_NS6detail17trampoline_kernelINS0_14default_configENS1_22reduce_config_selectorIbEEZNS1_11reduce_implILb1ES3_N6hipcub16HIPCUB_304000_NS22TransformInputIteratorIb7NonZeroIiEPilEEPllNS8_6detail34convert_binary_result_type_wrapperINS8_3SumESD_lEEEE10hipError_tPvRmT1_T2_T3_mT4_P12ihipStream_tbEUlT_E0_NS1_11comp_targetILNS1_3genE0ELNS1_11target_archE4294967295ELNS1_3gpuE0ELNS1_3repE0EEENS1_30default_config_static_selectorELNS0_4arch9wavefront6targetE1EEEvSM_.private_seg_size, 0
	.set _ZN7rocprim17ROCPRIM_400000_NS6detail17trampoline_kernelINS0_14default_configENS1_22reduce_config_selectorIbEEZNS1_11reduce_implILb1ES3_N6hipcub16HIPCUB_304000_NS22TransformInputIteratorIb7NonZeroIiEPilEEPllNS8_6detail34convert_binary_result_type_wrapperINS8_3SumESD_lEEEE10hipError_tPvRmT1_T2_T3_mT4_P12ihipStream_tbEUlT_E0_NS1_11comp_targetILNS1_3genE0ELNS1_11target_archE4294967295ELNS1_3gpuE0ELNS1_3repE0EEENS1_30default_config_static_selectorELNS0_4arch9wavefront6targetE1EEEvSM_.uses_vcc, 1
	.set _ZN7rocprim17ROCPRIM_400000_NS6detail17trampoline_kernelINS0_14default_configENS1_22reduce_config_selectorIbEEZNS1_11reduce_implILb1ES3_N6hipcub16HIPCUB_304000_NS22TransformInputIteratorIb7NonZeroIiEPilEEPllNS8_6detail34convert_binary_result_type_wrapperINS8_3SumESD_lEEEE10hipError_tPvRmT1_T2_T3_mT4_P12ihipStream_tbEUlT_E0_NS1_11comp_targetILNS1_3genE0ELNS1_11target_archE4294967295ELNS1_3gpuE0ELNS1_3repE0EEENS1_30default_config_static_selectorELNS0_4arch9wavefront6targetE1EEEvSM_.uses_flat_scratch, 0
	.set _ZN7rocprim17ROCPRIM_400000_NS6detail17trampoline_kernelINS0_14default_configENS1_22reduce_config_selectorIbEEZNS1_11reduce_implILb1ES3_N6hipcub16HIPCUB_304000_NS22TransformInputIteratorIb7NonZeroIiEPilEEPllNS8_6detail34convert_binary_result_type_wrapperINS8_3SumESD_lEEEE10hipError_tPvRmT1_T2_T3_mT4_P12ihipStream_tbEUlT_E0_NS1_11comp_targetILNS1_3genE0ELNS1_11target_archE4294967295ELNS1_3gpuE0ELNS1_3repE0EEENS1_30default_config_static_selectorELNS0_4arch9wavefront6targetE1EEEvSM_.has_dyn_sized_stack, 0
	.set _ZN7rocprim17ROCPRIM_400000_NS6detail17trampoline_kernelINS0_14default_configENS1_22reduce_config_selectorIbEEZNS1_11reduce_implILb1ES3_N6hipcub16HIPCUB_304000_NS22TransformInputIteratorIb7NonZeroIiEPilEEPllNS8_6detail34convert_binary_result_type_wrapperINS8_3SumESD_lEEEE10hipError_tPvRmT1_T2_T3_mT4_P12ihipStream_tbEUlT_E0_NS1_11comp_targetILNS1_3genE0ELNS1_11target_archE4294967295ELNS1_3gpuE0ELNS1_3repE0EEENS1_30default_config_static_selectorELNS0_4arch9wavefront6targetE1EEEvSM_.has_recursion, 0
	.set _ZN7rocprim17ROCPRIM_400000_NS6detail17trampoline_kernelINS0_14default_configENS1_22reduce_config_selectorIbEEZNS1_11reduce_implILb1ES3_N6hipcub16HIPCUB_304000_NS22TransformInputIteratorIb7NonZeroIiEPilEEPllNS8_6detail34convert_binary_result_type_wrapperINS8_3SumESD_lEEEE10hipError_tPvRmT1_T2_T3_mT4_P12ihipStream_tbEUlT_E0_NS1_11comp_targetILNS1_3genE0ELNS1_11target_archE4294967295ELNS1_3gpuE0ELNS1_3repE0EEENS1_30default_config_static_selectorELNS0_4arch9wavefront6targetE1EEEvSM_.has_indirect_call, 0
	.section	.AMDGPU.csdata,"",@progbits
; Kernel info:
; codeLenInByte = 3728
; TotalNumSgprs: 54
; NumVgprs: 43
; NumAgprs: 0
; TotalNumVgprs: 43
; ScratchSize: 0
; MemoryBound: 0
; FloatMode: 240
; IeeeMode: 1
; LDSByteSize: 64 bytes/workgroup (compile time only)
; SGPRBlocks: 6
; VGPRBlocks: 5
; NumSGPRsForWavesPerEU: 54
; NumVGPRsForWavesPerEU: 43
; AccumOffset: 44
; Occupancy: 8
; WaveLimiterHint : 1
; COMPUTE_PGM_RSRC2:SCRATCH_EN: 0
; COMPUTE_PGM_RSRC2:USER_SGPR: 2
; COMPUTE_PGM_RSRC2:TRAP_HANDLER: 0
; COMPUTE_PGM_RSRC2:TGID_X_EN: 1
; COMPUTE_PGM_RSRC2:TGID_Y_EN: 0
; COMPUTE_PGM_RSRC2:TGID_Z_EN: 0
; COMPUTE_PGM_RSRC2:TIDIG_COMP_CNT: 0
; COMPUTE_PGM_RSRC3_GFX90A:ACCUM_OFFSET: 10
; COMPUTE_PGM_RSRC3_GFX90A:TG_SPLIT: 0
	.section	.text._ZN7rocprim17ROCPRIM_400000_NS6detail17trampoline_kernelINS0_14default_configENS1_22reduce_config_selectorIbEEZNS1_11reduce_implILb1ES3_N6hipcub16HIPCUB_304000_NS22TransformInputIteratorIb7NonZeroIiEPilEEPllNS8_6detail34convert_binary_result_type_wrapperINS8_3SumESD_lEEEE10hipError_tPvRmT1_T2_T3_mT4_P12ihipStream_tbEUlT_E0_NS1_11comp_targetILNS1_3genE5ELNS1_11target_archE942ELNS1_3gpuE9ELNS1_3repE0EEENS1_30default_config_static_selectorELNS0_4arch9wavefront6targetE1EEEvSM_,"axG",@progbits,_ZN7rocprim17ROCPRIM_400000_NS6detail17trampoline_kernelINS0_14default_configENS1_22reduce_config_selectorIbEEZNS1_11reduce_implILb1ES3_N6hipcub16HIPCUB_304000_NS22TransformInputIteratorIb7NonZeroIiEPilEEPllNS8_6detail34convert_binary_result_type_wrapperINS8_3SumESD_lEEEE10hipError_tPvRmT1_T2_T3_mT4_P12ihipStream_tbEUlT_E0_NS1_11comp_targetILNS1_3genE5ELNS1_11target_archE942ELNS1_3gpuE9ELNS1_3repE0EEENS1_30default_config_static_selectorELNS0_4arch9wavefront6targetE1EEEvSM_,comdat
	.protected	_ZN7rocprim17ROCPRIM_400000_NS6detail17trampoline_kernelINS0_14default_configENS1_22reduce_config_selectorIbEEZNS1_11reduce_implILb1ES3_N6hipcub16HIPCUB_304000_NS22TransformInputIteratorIb7NonZeroIiEPilEEPllNS8_6detail34convert_binary_result_type_wrapperINS8_3SumESD_lEEEE10hipError_tPvRmT1_T2_T3_mT4_P12ihipStream_tbEUlT_E0_NS1_11comp_targetILNS1_3genE5ELNS1_11target_archE942ELNS1_3gpuE9ELNS1_3repE0EEENS1_30default_config_static_selectorELNS0_4arch9wavefront6targetE1EEEvSM_ ; -- Begin function _ZN7rocprim17ROCPRIM_400000_NS6detail17trampoline_kernelINS0_14default_configENS1_22reduce_config_selectorIbEEZNS1_11reduce_implILb1ES3_N6hipcub16HIPCUB_304000_NS22TransformInputIteratorIb7NonZeroIiEPilEEPllNS8_6detail34convert_binary_result_type_wrapperINS8_3SumESD_lEEEE10hipError_tPvRmT1_T2_T3_mT4_P12ihipStream_tbEUlT_E0_NS1_11comp_targetILNS1_3genE5ELNS1_11target_archE942ELNS1_3gpuE9ELNS1_3repE0EEENS1_30default_config_static_selectorELNS0_4arch9wavefront6targetE1EEEvSM_
	.globl	_ZN7rocprim17ROCPRIM_400000_NS6detail17trampoline_kernelINS0_14default_configENS1_22reduce_config_selectorIbEEZNS1_11reduce_implILb1ES3_N6hipcub16HIPCUB_304000_NS22TransformInputIteratorIb7NonZeroIiEPilEEPllNS8_6detail34convert_binary_result_type_wrapperINS8_3SumESD_lEEEE10hipError_tPvRmT1_T2_T3_mT4_P12ihipStream_tbEUlT_E0_NS1_11comp_targetILNS1_3genE5ELNS1_11target_archE942ELNS1_3gpuE9ELNS1_3repE0EEENS1_30default_config_static_selectorELNS0_4arch9wavefront6targetE1EEEvSM_
	.p2align	8
	.type	_ZN7rocprim17ROCPRIM_400000_NS6detail17trampoline_kernelINS0_14default_configENS1_22reduce_config_selectorIbEEZNS1_11reduce_implILb1ES3_N6hipcub16HIPCUB_304000_NS22TransformInputIteratorIb7NonZeroIiEPilEEPllNS8_6detail34convert_binary_result_type_wrapperINS8_3SumESD_lEEEE10hipError_tPvRmT1_T2_T3_mT4_P12ihipStream_tbEUlT_E0_NS1_11comp_targetILNS1_3genE5ELNS1_11target_archE942ELNS1_3gpuE9ELNS1_3repE0EEENS1_30default_config_static_selectorELNS0_4arch9wavefront6targetE1EEEvSM_,@function
_ZN7rocprim17ROCPRIM_400000_NS6detail17trampoline_kernelINS0_14default_configENS1_22reduce_config_selectorIbEEZNS1_11reduce_implILb1ES3_N6hipcub16HIPCUB_304000_NS22TransformInputIteratorIb7NonZeroIiEPilEEPllNS8_6detail34convert_binary_result_type_wrapperINS8_3SumESD_lEEEE10hipError_tPvRmT1_T2_T3_mT4_P12ihipStream_tbEUlT_E0_NS1_11comp_targetILNS1_3genE5ELNS1_11target_archE942ELNS1_3gpuE9ELNS1_3repE0EEENS1_30default_config_static_selectorELNS0_4arch9wavefront6targetE1EEEvSM_: ; @_ZN7rocprim17ROCPRIM_400000_NS6detail17trampoline_kernelINS0_14default_configENS1_22reduce_config_selectorIbEEZNS1_11reduce_implILb1ES3_N6hipcub16HIPCUB_304000_NS22TransformInputIteratorIb7NonZeroIiEPilEEPllNS8_6detail34convert_binary_result_type_wrapperINS8_3SumESD_lEEEE10hipError_tPvRmT1_T2_T3_mT4_P12ihipStream_tbEUlT_E0_NS1_11comp_targetILNS1_3genE5ELNS1_11target_archE942ELNS1_3gpuE9ELNS1_3repE0EEENS1_30default_config_static_selectorELNS0_4arch9wavefront6targetE1EEEvSM_
; %bb.0:
	.section	.rodata,"a",@progbits
	.p2align	6, 0x0
	.amdhsa_kernel _ZN7rocprim17ROCPRIM_400000_NS6detail17trampoline_kernelINS0_14default_configENS1_22reduce_config_selectorIbEEZNS1_11reduce_implILb1ES3_N6hipcub16HIPCUB_304000_NS22TransformInputIteratorIb7NonZeroIiEPilEEPllNS8_6detail34convert_binary_result_type_wrapperINS8_3SumESD_lEEEE10hipError_tPvRmT1_T2_T3_mT4_P12ihipStream_tbEUlT_E0_NS1_11comp_targetILNS1_3genE5ELNS1_11target_archE942ELNS1_3gpuE9ELNS1_3repE0EEENS1_30default_config_static_selectorELNS0_4arch9wavefront6targetE1EEEvSM_
		.amdhsa_group_segment_fixed_size 0
		.amdhsa_private_segment_fixed_size 0
		.amdhsa_kernarg_size 72
		.amdhsa_user_sgpr_count 2
		.amdhsa_user_sgpr_dispatch_ptr 0
		.amdhsa_user_sgpr_queue_ptr 0
		.amdhsa_user_sgpr_kernarg_segment_ptr 1
		.amdhsa_user_sgpr_dispatch_id 0
		.amdhsa_user_sgpr_kernarg_preload_length 0
		.amdhsa_user_sgpr_kernarg_preload_offset 0
		.amdhsa_user_sgpr_private_segment_size 0
		.amdhsa_uses_dynamic_stack 0
		.amdhsa_enable_private_segment 0
		.amdhsa_system_sgpr_workgroup_id_x 1
		.amdhsa_system_sgpr_workgroup_id_y 0
		.amdhsa_system_sgpr_workgroup_id_z 0
		.amdhsa_system_sgpr_workgroup_info 0
		.amdhsa_system_vgpr_workitem_id 0
		.amdhsa_next_free_vgpr 1
		.amdhsa_next_free_sgpr 0
		.amdhsa_accum_offset 4
		.amdhsa_reserve_vcc 0
		.amdhsa_float_round_mode_32 0
		.amdhsa_float_round_mode_16_64 0
		.amdhsa_float_denorm_mode_32 3
		.amdhsa_float_denorm_mode_16_64 3
		.amdhsa_dx10_clamp 1
		.amdhsa_ieee_mode 1
		.amdhsa_fp16_overflow 0
		.amdhsa_tg_split 0
		.amdhsa_exception_fp_ieee_invalid_op 0
		.amdhsa_exception_fp_denorm_src 0
		.amdhsa_exception_fp_ieee_div_zero 0
		.amdhsa_exception_fp_ieee_overflow 0
		.amdhsa_exception_fp_ieee_underflow 0
		.amdhsa_exception_fp_ieee_inexact 0
		.amdhsa_exception_int_div_zero 0
	.end_amdhsa_kernel
	.section	.text._ZN7rocprim17ROCPRIM_400000_NS6detail17trampoline_kernelINS0_14default_configENS1_22reduce_config_selectorIbEEZNS1_11reduce_implILb1ES3_N6hipcub16HIPCUB_304000_NS22TransformInputIteratorIb7NonZeroIiEPilEEPllNS8_6detail34convert_binary_result_type_wrapperINS8_3SumESD_lEEEE10hipError_tPvRmT1_T2_T3_mT4_P12ihipStream_tbEUlT_E0_NS1_11comp_targetILNS1_3genE5ELNS1_11target_archE942ELNS1_3gpuE9ELNS1_3repE0EEENS1_30default_config_static_selectorELNS0_4arch9wavefront6targetE1EEEvSM_,"axG",@progbits,_ZN7rocprim17ROCPRIM_400000_NS6detail17trampoline_kernelINS0_14default_configENS1_22reduce_config_selectorIbEEZNS1_11reduce_implILb1ES3_N6hipcub16HIPCUB_304000_NS22TransformInputIteratorIb7NonZeroIiEPilEEPllNS8_6detail34convert_binary_result_type_wrapperINS8_3SumESD_lEEEE10hipError_tPvRmT1_T2_T3_mT4_P12ihipStream_tbEUlT_E0_NS1_11comp_targetILNS1_3genE5ELNS1_11target_archE942ELNS1_3gpuE9ELNS1_3repE0EEENS1_30default_config_static_selectorELNS0_4arch9wavefront6targetE1EEEvSM_,comdat
.Lfunc_end168:
	.size	_ZN7rocprim17ROCPRIM_400000_NS6detail17trampoline_kernelINS0_14default_configENS1_22reduce_config_selectorIbEEZNS1_11reduce_implILb1ES3_N6hipcub16HIPCUB_304000_NS22TransformInputIteratorIb7NonZeroIiEPilEEPllNS8_6detail34convert_binary_result_type_wrapperINS8_3SumESD_lEEEE10hipError_tPvRmT1_T2_T3_mT4_P12ihipStream_tbEUlT_E0_NS1_11comp_targetILNS1_3genE5ELNS1_11target_archE942ELNS1_3gpuE9ELNS1_3repE0EEENS1_30default_config_static_selectorELNS0_4arch9wavefront6targetE1EEEvSM_, .Lfunc_end168-_ZN7rocprim17ROCPRIM_400000_NS6detail17trampoline_kernelINS0_14default_configENS1_22reduce_config_selectorIbEEZNS1_11reduce_implILb1ES3_N6hipcub16HIPCUB_304000_NS22TransformInputIteratorIb7NonZeroIiEPilEEPllNS8_6detail34convert_binary_result_type_wrapperINS8_3SumESD_lEEEE10hipError_tPvRmT1_T2_T3_mT4_P12ihipStream_tbEUlT_E0_NS1_11comp_targetILNS1_3genE5ELNS1_11target_archE942ELNS1_3gpuE9ELNS1_3repE0EEENS1_30default_config_static_selectorELNS0_4arch9wavefront6targetE1EEEvSM_
                                        ; -- End function
	.set _ZN7rocprim17ROCPRIM_400000_NS6detail17trampoline_kernelINS0_14default_configENS1_22reduce_config_selectorIbEEZNS1_11reduce_implILb1ES3_N6hipcub16HIPCUB_304000_NS22TransformInputIteratorIb7NonZeroIiEPilEEPllNS8_6detail34convert_binary_result_type_wrapperINS8_3SumESD_lEEEE10hipError_tPvRmT1_T2_T3_mT4_P12ihipStream_tbEUlT_E0_NS1_11comp_targetILNS1_3genE5ELNS1_11target_archE942ELNS1_3gpuE9ELNS1_3repE0EEENS1_30default_config_static_selectorELNS0_4arch9wavefront6targetE1EEEvSM_.num_vgpr, 0
	.set _ZN7rocprim17ROCPRIM_400000_NS6detail17trampoline_kernelINS0_14default_configENS1_22reduce_config_selectorIbEEZNS1_11reduce_implILb1ES3_N6hipcub16HIPCUB_304000_NS22TransformInputIteratorIb7NonZeroIiEPilEEPllNS8_6detail34convert_binary_result_type_wrapperINS8_3SumESD_lEEEE10hipError_tPvRmT1_T2_T3_mT4_P12ihipStream_tbEUlT_E0_NS1_11comp_targetILNS1_3genE5ELNS1_11target_archE942ELNS1_3gpuE9ELNS1_3repE0EEENS1_30default_config_static_selectorELNS0_4arch9wavefront6targetE1EEEvSM_.num_agpr, 0
	.set _ZN7rocprim17ROCPRIM_400000_NS6detail17trampoline_kernelINS0_14default_configENS1_22reduce_config_selectorIbEEZNS1_11reduce_implILb1ES3_N6hipcub16HIPCUB_304000_NS22TransformInputIteratorIb7NonZeroIiEPilEEPllNS8_6detail34convert_binary_result_type_wrapperINS8_3SumESD_lEEEE10hipError_tPvRmT1_T2_T3_mT4_P12ihipStream_tbEUlT_E0_NS1_11comp_targetILNS1_3genE5ELNS1_11target_archE942ELNS1_3gpuE9ELNS1_3repE0EEENS1_30default_config_static_selectorELNS0_4arch9wavefront6targetE1EEEvSM_.numbered_sgpr, 0
	.set _ZN7rocprim17ROCPRIM_400000_NS6detail17trampoline_kernelINS0_14default_configENS1_22reduce_config_selectorIbEEZNS1_11reduce_implILb1ES3_N6hipcub16HIPCUB_304000_NS22TransformInputIteratorIb7NonZeroIiEPilEEPllNS8_6detail34convert_binary_result_type_wrapperINS8_3SumESD_lEEEE10hipError_tPvRmT1_T2_T3_mT4_P12ihipStream_tbEUlT_E0_NS1_11comp_targetILNS1_3genE5ELNS1_11target_archE942ELNS1_3gpuE9ELNS1_3repE0EEENS1_30default_config_static_selectorELNS0_4arch9wavefront6targetE1EEEvSM_.num_named_barrier, 0
	.set _ZN7rocprim17ROCPRIM_400000_NS6detail17trampoline_kernelINS0_14default_configENS1_22reduce_config_selectorIbEEZNS1_11reduce_implILb1ES3_N6hipcub16HIPCUB_304000_NS22TransformInputIteratorIb7NonZeroIiEPilEEPllNS8_6detail34convert_binary_result_type_wrapperINS8_3SumESD_lEEEE10hipError_tPvRmT1_T2_T3_mT4_P12ihipStream_tbEUlT_E0_NS1_11comp_targetILNS1_3genE5ELNS1_11target_archE942ELNS1_3gpuE9ELNS1_3repE0EEENS1_30default_config_static_selectorELNS0_4arch9wavefront6targetE1EEEvSM_.private_seg_size, 0
	.set _ZN7rocprim17ROCPRIM_400000_NS6detail17trampoline_kernelINS0_14default_configENS1_22reduce_config_selectorIbEEZNS1_11reduce_implILb1ES3_N6hipcub16HIPCUB_304000_NS22TransformInputIteratorIb7NonZeroIiEPilEEPllNS8_6detail34convert_binary_result_type_wrapperINS8_3SumESD_lEEEE10hipError_tPvRmT1_T2_T3_mT4_P12ihipStream_tbEUlT_E0_NS1_11comp_targetILNS1_3genE5ELNS1_11target_archE942ELNS1_3gpuE9ELNS1_3repE0EEENS1_30default_config_static_selectorELNS0_4arch9wavefront6targetE1EEEvSM_.uses_vcc, 0
	.set _ZN7rocprim17ROCPRIM_400000_NS6detail17trampoline_kernelINS0_14default_configENS1_22reduce_config_selectorIbEEZNS1_11reduce_implILb1ES3_N6hipcub16HIPCUB_304000_NS22TransformInputIteratorIb7NonZeroIiEPilEEPllNS8_6detail34convert_binary_result_type_wrapperINS8_3SumESD_lEEEE10hipError_tPvRmT1_T2_T3_mT4_P12ihipStream_tbEUlT_E0_NS1_11comp_targetILNS1_3genE5ELNS1_11target_archE942ELNS1_3gpuE9ELNS1_3repE0EEENS1_30default_config_static_selectorELNS0_4arch9wavefront6targetE1EEEvSM_.uses_flat_scratch, 0
	.set _ZN7rocprim17ROCPRIM_400000_NS6detail17trampoline_kernelINS0_14default_configENS1_22reduce_config_selectorIbEEZNS1_11reduce_implILb1ES3_N6hipcub16HIPCUB_304000_NS22TransformInputIteratorIb7NonZeroIiEPilEEPllNS8_6detail34convert_binary_result_type_wrapperINS8_3SumESD_lEEEE10hipError_tPvRmT1_T2_T3_mT4_P12ihipStream_tbEUlT_E0_NS1_11comp_targetILNS1_3genE5ELNS1_11target_archE942ELNS1_3gpuE9ELNS1_3repE0EEENS1_30default_config_static_selectorELNS0_4arch9wavefront6targetE1EEEvSM_.has_dyn_sized_stack, 0
	.set _ZN7rocprim17ROCPRIM_400000_NS6detail17trampoline_kernelINS0_14default_configENS1_22reduce_config_selectorIbEEZNS1_11reduce_implILb1ES3_N6hipcub16HIPCUB_304000_NS22TransformInputIteratorIb7NonZeroIiEPilEEPllNS8_6detail34convert_binary_result_type_wrapperINS8_3SumESD_lEEEE10hipError_tPvRmT1_T2_T3_mT4_P12ihipStream_tbEUlT_E0_NS1_11comp_targetILNS1_3genE5ELNS1_11target_archE942ELNS1_3gpuE9ELNS1_3repE0EEENS1_30default_config_static_selectorELNS0_4arch9wavefront6targetE1EEEvSM_.has_recursion, 0
	.set _ZN7rocprim17ROCPRIM_400000_NS6detail17trampoline_kernelINS0_14default_configENS1_22reduce_config_selectorIbEEZNS1_11reduce_implILb1ES3_N6hipcub16HIPCUB_304000_NS22TransformInputIteratorIb7NonZeroIiEPilEEPllNS8_6detail34convert_binary_result_type_wrapperINS8_3SumESD_lEEEE10hipError_tPvRmT1_T2_T3_mT4_P12ihipStream_tbEUlT_E0_NS1_11comp_targetILNS1_3genE5ELNS1_11target_archE942ELNS1_3gpuE9ELNS1_3repE0EEENS1_30default_config_static_selectorELNS0_4arch9wavefront6targetE1EEEvSM_.has_indirect_call, 0
	.section	.AMDGPU.csdata,"",@progbits
; Kernel info:
; codeLenInByte = 0
; TotalNumSgprs: 6
; NumVgprs: 0
; NumAgprs: 0
; TotalNumVgprs: 0
; ScratchSize: 0
; MemoryBound: 0
; FloatMode: 240
; IeeeMode: 1
; LDSByteSize: 0 bytes/workgroup (compile time only)
; SGPRBlocks: 0
; VGPRBlocks: 0
; NumSGPRsForWavesPerEU: 6
; NumVGPRsForWavesPerEU: 1
; AccumOffset: 4
; Occupancy: 8
; WaveLimiterHint : 0
; COMPUTE_PGM_RSRC2:SCRATCH_EN: 0
; COMPUTE_PGM_RSRC2:USER_SGPR: 2
; COMPUTE_PGM_RSRC2:TRAP_HANDLER: 0
; COMPUTE_PGM_RSRC2:TGID_X_EN: 1
; COMPUTE_PGM_RSRC2:TGID_Y_EN: 0
; COMPUTE_PGM_RSRC2:TGID_Z_EN: 0
; COMPUTE_PGM_RSRC2:TIDIG_COMP_CNT: 0
; COMPUTE_PGM_RSRC3_GFX90A:ACCUM_OFFSET: 0
; COMPUTE_PGM_RSRC3_GFX90A:TG_SPLIT: 0
	.section	.text._ZN7rocprim17ROCPRIM_400000_NS6detail17trampoline_kernelINS0_14default_configENS1_22reduce_config_selectorIbEEZNS1_11reduce_implILb1ES3_N6hipcub16HIPCUB_304000_NS22TransformInputIteratorIb7NonZeroIiEPilEEPllNS8_6detail34convert_binary_result_type_wrapperINS8_3SumESD_lEEEE10hipError_tPvRmT1_T2_T3_mT4_P12ihipStream_tbEUlT_E0_NS1_11comp_targetILNS1_3genE4ELNS1_11target_archE910ELNS1_3gpuE8ELNS1_3repE0EEENS1_30default_config_static_selectorELNS0_4arch9wavefront6targetE1EEEvSM_,"axG",@progbits,_ZN7rocprim17ROCPRIM_400000_NS6detail17trampoline_kernelINS0_14default_configENS1_22reduce_config_selectorIbEEZNS1_11reduce_implILb1ES3_N6hipcub16HIPCUB_304000_NS22TransformInputIteratorIb7NonZeroIiEPilEEPllNS8_6detail34convert_binary_result_type_wrapperINS8_3SumESD_lEEEE10hipError_tPvRmT1_T2_T3_mT4_P12ihipStream_tbEUlT_E0_NS1_11comp_targetILNS1_3genE4ELNS1_11target_archE910ELNS1_3gpuE8ELNS1_3repE0EEENS1_30default_config_static_selectorELNS0_4arch9wavefront6targetE1EEEvSM_,comdat
	.protected	_ZN7rocprim17ROCPRIM_400000_NS6detail17trampoline_kernelINS0_14default_configENS1_22reduce_config_selectorIbEEZNS1_11reduce_implILb1ES3_N6hipcub16HIPCUB_304000_NS22TransformInputIteratorIb7NonZeroIiEPilEEPllNS8_6detail34convert_binary_result_type_wrapperINS8_3SumESD_lEEEE10hipError_tPvRmT1_T2_T3_mT4_P12ihipStream_tbEUlT_E0_NS1_11comp_targetILNS1_3genE4ELNS1_11target_archE910ELNS1_3gpuE8ELNS1_3repE0EEENS1_30default_config_static_selectorELNS0_4arch9wavefront6targetE1EEEvSM_ ; -- Begin function _ZN7rocprim17ROCPRIM_400000_NS6detail17trampoline_kernelINS0_14default_configENS1_22reduce_config_selectorIbEEZNS1_11reduce_implILb1ES3_N6hipcub16HIPCUB_304000_NS22TransformInputIteratorIb7NonZeroIiEPilEEPllNS8_6detail34convert_binary_result_type_wrapperINS8_3SumESD_lEEEE10hipError_tPvRmT1_T2_T3_mT4_P12ihipStream_tbEUlT_E0_NS1_11comp_targetILNS1_3genE4ELNS1_11target_archE910ELNS1_3gpuE8ELNS1_3repE0EEENS1_30default_config_static_selectorELNS0_4arch9wavefront6targetE1EEEvSM_
	.globl	_ZN7rocprim17ROCPRIM_400000_NS6detail17trampoline_kernelINS0_14default_configENS1_22reduce_config_selectorIbEEZNS1_11reduce_implILb1ES3_N6hipcub16HIPCUB_304000_NS22TransformInputIteratorIb7NonZeroIiEPilEEPllNS8_6detail34convert_binary_result_type_wrapperINS8_3SumESD_lEEEE10hipError_tPvRmT1_T2_T3_mT4_P12ihipStream_tbEUlT_E0_NS1_11comp_targetILNS1_3genE4ELNS1_11target_archE910ELNS1_3gpuE8ELNS1_3repE0EEENS1_30default_config_static_selectorELNS0_4arch9wavefront6targetE1EEEvSM_
	.p2align	8
	.type	_ZN7rocprim17ROCPRIM_400000_NS6detail17trampoline_kernelINS0_14default_configENS1_22reduce_config_selectorIbEEZNS1_11reduce_implILb1ES3_N6hipcub16HIPCUB_304000_NS22TransformInputIteratorIb7NonZeroIiEPilEEPllNS8_6detail34convert_binary_result_type_wrapperINS8_3SumESD_lEEEE10hipError_tPvRmT1_T2_T3_mT4_P12ihipStream_tbEUlT_E0_NS1_11comp_targetILNS1_3genE4ELNS1_11target_archE910ELNS1_3gpuE8ELNS1_3repE0EEENS1_30default_config_static_selectorELNS0_4arch9wavefront6targetE1EEEvSM_,@function
_ZN7rocprim17ROCPRIM_400000_NS6detail17trampoline_kernelINS0_14default_configENS1_22reduce_config_selectorIbEEZNS1_11reduce_implILb1ES3_N6hipcub16HIPCUB_304000_NS22TransformInputIteratorIb7NonZeroIiEPilEEPllNS8_6detail34convert_binary_result_type_wrapperINS8_3SumESD_lEEEE10hipError_tPvRmT1_T2_T3_mT4_P12ihipStream_tbEUlT_E0_NS1_11comp_targetILNS1_3genE4ELNS1_11target_archE910ELNS1_3gpuE8ELNS1_3repE0EEENS1_30default_config_static_selectorELNS0_4arch9wavefront6targetE1EEEvSM_: ; @_ZN7rocprim17ROCPRIM_400000_NS6detail17trampoline_kernelINS0_14default_configENS1_22reduce_config_selectorIbEEZNS1_11reduce_implILb1ES3_N6hipcub16HIPCUB_304000_NS22TransformInputIteratorIb7NonZeroIiEPilEEPllNS8_6detail34convert_binary_result_type_wrapperINS8_3SumESD_lEEEE10hipError_tPvRmT1_T2_T3_mT4_P12ihipStream_tbEUlT_E0_NS1_11comp_targetILNS1_3genE4ELNS1_11target_archE910ELNS1_3gpuE8ELNS1_3repE0EEENS1_30default_config_static_selectorELNS0_4arch9wavefront6targetE1EEEvSM_
; %bb.0:
	.section	.rodata,"a",@progbits
	.p2align	6, 0x0
	.amdhsa_kernel _ZN7rocprim17ROCPRIM_400000_NS6detail17trampoline_kernelINS0_14default_configENS1_22reduce_config_selectorIbEEZNS1_11reduce_implILb1ES3_N6hipcub16HIPCUB_304000_NS22TransformInputIteratorIb7NonZeroIiEPilEEPllNS8_6detail34convert_binary_result_type_wrapperINS8_3SumESD_lEEEE10hipError_tPvRmT1_T2_T3_mT4_P12ihipStream_tbEUlT_E0_NS1_11comp_targetILNS1_3genE4ELNS1_11target_archE910ELNS1_3gpuE8ELNS1_3repE0EEENS1_30default_config_static_selectorELNS0_4arch9wavefront6targetE1EEEvSM_
		.amdhsa_group_segment_fixed_size 0
		.amdhsa_private_segment_fixed_size 0
		.amdhsa_kernarg_size 72
		.amdhsa_user_sgpr_count 2
		.amdhsa_user_sgpr_dispatch_ptr 0
		.amdhsa_user_sgpr_queue_ptr 0
		.amdhsa_user_sgpr_kernarg_segment_ptr 1
		.amdhsa_user_sgpr_dispatch_id 0
		.amdhsa_user_sgpr_kernarg_preload_length 0
		.amdhsa_user_sgpr_kernarg_preload_offset 0
		.amdhsa_user_sgpr_private_segment_size 0
		.amdhsa_uses_dynamic_stack 0
		.amdhsa_enable_private_segment 0
		.amdhsa_system_sgpr_workgroup_id_x 1
		.amdhsa_system_sgpr_workgroup_id_y 0
		.amdhsa_system_sgpr_workgroup_id_z 0
		.amdhsa_system_sgpr_workgroup_info 0
		.amdhsa_system_vgpr_workitem_id 0
		.amdhsa_next_free_vgpr 1
		.amdhsa_next_free_sgpr 0
		.amdhsa_accum_offset 4
		.amdhsa_reserve_vcc 0
		.amdhsa_float_round_mode_32 0
		.amdhsa_float_round_mode_16_64 0
		.amdhsa_float_denorm_mode_32 3
		.amdhsa_float_denorm_mode_16_64 3
		.amdhsa_dx10_clamp 1
		.amdhsa_ieee_mode 1
		.amdhsa_fp16_overflow 0
		.amdhsa_tg_split 0
		.amdhsa_exception_fp_ieee_invalid_op 0
		.amdhsa_exception_fp_denorm_src 0
		.amdhsa_exception_fp_ieee_div_zero 0
		.amdhsa_exception_fp_ieee_overflow 0
		.amdhsa_exception_fp_ieee_underflow 0
		.amdhsa_exception_fp_ieee_inexact 0
		.amdhsa_exception_int_div_zero 0
	.end_amdhsa_kernel
	.section	.text._ZN7rocprim17ROCPRIM_400000_NS6detail17trampoline_kernelINS0_14default_configENS1_22reduce_config_selectorIbEEZNS1_11reduce_implILb1ES3_N6hipcub16HIPCUB_304000_NS22TransformInputIteratorIb7NonZeroIiEPilEEPllNS8_6detail34convert_binary_result_type_wrapperINS8_3SumESD_lEEEE10hipError_tPvRmT1_T2_T3_mT4_P12ihipStream_tbEUlT_E0_NS1_11comp_targetILNS1_3genE4ELNS1_11target_archE910ELNS1_3gpuE8ELNS1_3repE0EEENS1_30default_config_static_selectorELNS0_4arch9wavefront6targetE1EEEvSM_,"axG",@progbits,_ZN7rocprim17ROCPRIM_400000_NS6detail17trampoline_kernelINS0_14default_configENS1_22reduce_config_selectorIbEEZNS1_11reduce_implILb1ES3_N6hipcub16HIPCUB_304000_NS22TransformInputIteratorIb7NonZeroIiEPilEEPllNS8_6detail34convert_binary_result_type_wrapperINS8_3SumESD_lEEEE10hipError_tPvRmT1_T2_T3_mT4_P12ihipStream_tbEUlT_E0_NS1_11comp_targetILNS1_3genE4ELNS1_11target_archE910ELNS1_3gpuE8ELNS1_3repE0EEENS1_30default_config_static_selectorELNS0_4arch9wavefront6targetE1EEEvSM_,comdat
.Lfunc_end169:
	.size	_ZN7rocprim17ROCPRIM_400000_NS6detail17trampoline_kernelINS0_14default_configENS1_22reduce_config_selectorIbEEZNS1_11reduce_implILb1ES3_N6hipcub16HIPCUB_304000_NS22TransformInputIteratorIb7NonZeroIiEPilEEPllNS8_6detail34convert_binary_result_type_wrapperINS8_3SumESD_lEEEE10hipError_tPvRmT1_T2_T3_mT4_P12ihipStream_tbEUlT_E0_NS1_11comp_targetILNS1_3genE4ELNS1_11target_archE910ELNS1_3gpuE8ELNS1_3repE0EEENS1_30default_config_static_selectorELNS0_4arch9wavefront6targetE1EEEvSM_, .Lfunc_end169-_ZN7rocprim17ROCPRIM_400000_NS6detail17trampoline_kernelINS0_14default_configENS1_22reduce_config_selectorIbEEZNS1_11reduce_implILb1ES3_N6hipcub16HIPCUB_304000_NS22TransformInputIteratorIb7NonZeroIiEPilEEPllNS8_6detail34convert_binary_result_type_wrapperINS8_3SumESD_lEEEE10hipError_tPvRmT1_T2_T3_mT4_P12ihipStream_tbEUlT_E0_NS1_11comp_targetILNS1_3genE4ELNS1_11target_archE910ELNS1_3gpuE8ELNS1_3repE0EEENS1_30default_config_static_selectorELNS0_4arch9wavefront6targetE1EEEvSM_
                                        ; -- End function
	.set _ZN7rocprim17ROCPRIM_400000_NS6detail17trampoline_kernelINS0_14default_configENS1_22reduce_config_selectorIbEEZNS1_11reduce_implILb1ES3_N6hipcub16HIPCUB_304000_NS22TransformInputIteratorIb7NonZeroIiEPilEEPllNS8_6detail34convert_binary_result_type_wrapperINS8_3SumESD_lEEEE10hipError_tPvRmT1_T2_T3_mT4_P12ihipStream_tbEUlT_E0_NS1_11comp_targetILNS1_3genE4ELNS1_11target_archE910ELNS1_3gpuE8ELNS1_3repE0EEENS1_30default_config_static_selectorELNS0_4arch9wavefront6targetE1EEEvSM_.num_vgpr, 0
	.set _ZN7rocprim17ROCPRIM_400000_NS6detail17trampoline_kernelINS0_14default_configENS1_22reduce_config_selectorIbEEZNS1_11reduce_implILb1ES3_N6hipcub16HIPCUB_304000_NS22TransformInputIteratorIb7NonZeroIiEPilEEPllNS8_6detail34convert_binary_result_type_wrapperINS8_3SumESD_lEEEE10hipError_tPvRmT1_T2_T3_mT4_P12ihipStream_tbEUlT_E0_NS1_11comp_targetILNS1_3genE4ELNS1_11target_archE910ELNS1_3gpuE8ELNS1_3repE0EEENS1_30default_config_static_selectorELNS0_4arch9wavefront6targetE1EEEvSM_.num_agpr, 0
	.set _ZN7rocprim17ROCPRIM_400000_NS6detail17trampoline_kernelINS0_14default_configENS1_22reduce_config_selectorIbEEZNS1_11reduce_implILb1ES3_N6hipcub16HIPCUB_304000_NS22TransformInputIteratorIb7NonZeroIiEPilEEPllNS8_6detail34convert_binary_result_type_wrapperINS8_3SumESD_lEEEE10hipError_tPvRmT1_T2_T3_mT4_P12ihipStream_tbEUlT_E0_NS1_11comp_targetILNS1_3genE4ELNS1_11target_archE910ELNS1_3gpuE8ELNS1_3repE0EEENS1_30default_config_static_selectorELNS0_4arch9wavefront6targetE1EEEvSM_.numbered_sgpr, 0
	.set _ZN7rocprim17ROCPRIM_400000_NS6detail17trampoline_kernelINS0_14default_configENS1_22reduce_config_selectorIbEEZNS1_11reduce_implILb1ES3_N6hipcub16HIPCUB_304000_NS22TransformInputIteratorIb7NonZeroIiEPilEEPllNS8_6detail34convert_binary_result_type_wrapperINS8_3SumESD_lEEEE10hipError_tPvRmT1_T2_T3_mT4_P12ihipStream_tbEUlT_E0_NS1_11comp_targetILNS1_3genE4ELNS1_11target_archE910ELNS1_3gpuE8ELNS1_3repE0EEENS1_30default_config_static_selectorELNS0_4arch9wavefront6targetE1EEEvSM_.num_named_barrier, 0
	.set _ZN7rocprim17ROCPRIM_400000_NS6detail17trampoline_kernelINS0_14default_configENS1_22reduce_config_selectorIbEEZNS1_11reduce_implILb1ES3_N6hipcub16HIPCUB_304000_NS22TransformInputIteratorIb7NonZeroIiEPilEEPllNS8_6detail34convert_binary_result_type_wrapperINS8_3SumESD_lEEEE10hipError_tPvRmT1_T2_T3_mT4_P12ihipStream_tbEUlT_E0_NS1_11comp_targetILNS1_3genE4ELNS1_11target_archE910ELNS1_3gpuE8ELNS1_3repE0EEENS1_30default_config_static_selectorELNS0_4arch9wavefront6targetE1EEEvSM_.private_seg_size, 0
	.set _ZN7rocprim17ROCPRIM_400000_NS6detail17trampoline_kernelINS0_14default_configENS1_22reduce_config_selectorIbEEZNS1_11reduce_implILb1ES3_N6hipcub16HIPCUB_304000_NS22TransformInputIteratorIb7NonZeroIiEPilEEPllNS8_6detail34convert_binary_result_type_wrapperINS8_3SumESD_lEEEE10hipError_tPvRmT1_T2_T3_mT4_P12ihipStream_tbEUlT_E0_NS1_11comp_targetILNS1_3genE4ELNS1_11target_archE910ELNS1_3gpuE8ELNS1_3repE0EEENS1_30default_config_static_selectorELNS0_4arch9wavefront6targetE1EEEvSM_.uses_vcc, 0
	.set _ZN7rocprim17ROCPRIM_400000_NS6detail17trampoline_kernelINS0_14default_configENS1_22reduce_config_selectorIbEEZNS1_11reduce_implILb1ES3_N6hipcub16HIPCUB_304000_NS22TransformInputIteratorIb7NonZeroIiEPilEEPllNS8_6detail34convert_binary_result_type_wrapperINS8_3SumESD_lEEEE10hipError_tPvRmT1_T2_T3_mT4_P12ihipStream_tbEUlT_E0_NS1_11comp_targetILNS1_3genE4ELNS1_11target_archE910ELNS1_3gpuE8ELNS1_3repE0EEENS1_30default_config_static_selectorELNS0_4arch9wavefront6targetE1EEEvSM_.uses_flat_scratch, 0
	.set _ZN7rocprim17ROCPRIM_400000_NS6detail17trampoline_kernelINS0_14default_configENS1_22reduce_config_selectorIbEEZNS1_11reduce_implILb1ES3_N6hipcub16HIPCUB_304000_NS22TransformInputIteratorIb7NonZeroIiEPilEEPllNS8_6detail34convert_binary_result_type_wrapperINS8_3SumESD_lEEEE10hipError_tPvRmT1_T2_T3_mT4_P12ihipStream_tbEUlT_E0_NS1_11comp_targetILNS1_3genE4ELNS1_11target_archE910ELNS1_3gpuE8ELNS1_3repE0EEENS1_30default_config_static_selectorELNS0_4arch9wavefront6targetE1EEEvSM_.has_dyn_sized_stack, 0
	.set _ZN7rocprim17ROCPRIM_400000_NS6detail17trampoline_kernelINS0_14default_configENS1_22reduce_config_selectorIbEEZNS1_11reduce_implILb1ES3_N6hipcub16HIPCUB_304000_NS22TransformInputIteratorIb7NonZeroIiEPilEEPllNS8_6detail34convert_binary_result_type_wrapperINS8_3SumESD_lEEEE10hipError_tPvRmT1_T2_T3_mT4_P12ihipStream_tbEUlT_E0_NS1_11comp_targetILNS1_3genE4ELNS1_11target_archE910ELNS1_3gpuE8ELNS1_3repE0EEENS1_30default_config_static_selectorELNS0_4arch9wavefront6targetE1EEEvSM_.has_recursion, 0
	.set _ZN7rocprim17ROCPRIM_400000_NS6detail17trampoline_kernelINS0_14default_configENS1_22reduce_config_selectorIbEEZNS1_11reduce_implILb1ES3_N6hipcub16HIPCUB_304000_NS22TransformInputIteratorIb7NonZeroIiEPilEEPllNS8_6detail34convert_binary_result_type_wrapperINS8_3SumESD_lEEEE10hipError_tPvRmT1_T2_T3_mT4_P12ihipStream_tbEUlT_E0_NS1_11comp_targetILNS1_3genE4ELNS1_11target_archE910ELNS1_3gpuE8ELNS1_3repE0EEENS1_30default_config_static_selectorELNS0_4arch9wavefront6targetE1EEEvSM_.has_indirect_call, 0
	.section	.AMDGPU.csdata,"",@progbits
; Kernel info:
; codeLenInByte = 0
; TotalNumSgprs: 6
; NumVgprs: 0
; NumAgprs: 0
; TotalNumVgprs: 0
; ScratchSize: 0
; MemoryBound: 0
; FloatMode: 240
; IeeeMode: 1
; LDSByteSize: 0 bytes/workgroup (compile time only)
; SGPRBlocks: 0
; VGPRBlocks: 0
; NumSGPRsForWavesPerEU: 6
; NumVGPRsForWavesPerEU: 1
; AccumOffset: 4
; Occupancy: 8
; WaveLimiterHint : 0
; COMPUTE_PGM_RSRC2:SCRATCH_EN: 0
; COMPUTE_PGM_RSRC2:USER_SGPR: 2
; COMPUTE_PGM_RSRC2:TRAP_HANDLER: 0
; COMPUTE_PGM_RSRC2:TGID_X_EN: 1
; COMPUTE_PGM_RSRC2:TGID_Y_EN: 0
; COMPUTE_PGM_RSRC2:TGID_Z_EN: 0
; COMPUTE_PGM_RSRC2:TIDIG_COMP_CNT: 0
; COMPUTE_PGM_RSRC3_GFX90A:ACCUM_OFFSET: 0
; COMPUTE_PGM_RSRC3_GFX90A:TG_SPLIT: 0
	.section	.text._ZN7rocprim17ROCPRIM_400000_NS6detail17trampoline_kernelINS0_14default_configENS1_22reduce_config_selectorIbEEZNS1_11reduce_implILb1ES3_N6hipcub16HIPCUB_304000_NS22TransformInputIteratorIb7NonZeroIiEPilEEPllNS8_6detail34convert_binary_result_type_wrapperINS8_3SumESD_lEEEE10hipError_tPvRmT1_T2_T3_mT4_P12ihipStream_tbEUlT_E0_NS1_11comp_targetILNS1_3genE3ELNS1_11target_archE908ELNS1_3gpuE7ELNS1_3repE0EEENS1_30default_config_static_selectorELNS0_4arch9wavefront6targetE1EEEvSM_,"axG",@progbits,_ZN7rocprim17ROCPRIM_400000_NS6detail17trampoline_kernelINS0_14default_configENS1_22reduce_config_selectorIbEEZNS1_11reduce_implILb1ES3_N6hipcub16HIPCUB_304000_NS22TransformInputIteratorIb7NonZeroIiEPilEEPllNS8_6detail34convert_binary_result_type_wrapperINS8_3SumESD_lEEEE10hipError_tPvRmT1_T2_T3_mT4_P12ihipStream_tbEUlT_E0_NS1_11comp_targetILNS1_3genE3ELNS1_11target_archE908ELNS1_3gpuE7ELNS1_3repE0EEENS1_30default_config_static_selectorELNS0_4arch9wavefront6targetE1EEEvSM_,comdat
	.protected	_ZN7rocprim17ROCPRIM_400000_NS6detail17trampoline_kernelINS0_14default_configENS1_22reduce_config_selectorIbEEZNS1_11reduce_implILb1ES3_N6hipcub16HIPCUB_304000_NS22TransformInputIteratorIb7NonZeroIiEPilEEPllNS8_6detail34convert_binary_result_type_wrapperINS8_3SumESD_lEEEE10hipError_tPvRmT1_T2_T3_mT4_P12ihipStream_tbEUlT_E0_NS1_11comp_targetILNS1_3genE3ELNS1_11target_archE908ELNS1_3gpuE7ELNS1_3repE0EEENS1_30default_config_static_selectorELNS0_4arch9wavefront6targetE1EEEvSM_ ; -- Begin function _ZN7rocprim17ROCPRIM_400000_NS6detail17trampoline_kernelINS0_14default_configENS1_22reduce_config_selectorIbEEZNS1_11reduce_implILb1ES3_N6hipcub16HIPCUB_304000_NS22TransformInputIteratorIb7NonZeroIiEPilEEPllNS8_6detail34convert_binary_result_type_wrapperINS8_3SumESD_lEEEE10hipError_tPvRmT1_T2_T3_mT4_P12ihipStream_tbEUlT_E0_NS1_11comp_targetILNS1_3genE3ELNS1_11target_archE908ELNS1_3gpuE7ELNS1_3repE0EEENS1_30default_config_static_selectorELNS0_4arch9wavefront6targetE1EEEvSM_
	.globl	_ZN7rocprim17ROCPRIM_400000_NS6detail17trampoline_kernelINS0_14default_configENS1_22reduce_config_selectorIbEEZNS1_11reduce_implILb1ES3_N6hipcub16HIPCUB_304000_NS22TransformInputIteratorIb7NonZeroIiEPilEEPllNS8_6detail34convert_binary_result_type_wrapperINS8_3SumESD_lEEEE10hipError_tPvRmT1_T2_T3_mT4_P12ihipStream_tbEUlT_E0_NS1_11comp_targetILNS1_3genE3ELNS1_11target_archE908ELNS1_3gpuE7ELNS1_3repE0EEENS1_30default_config_static_selectorELNS0_4arch9wavefront6targetE1EEEvSM_
	.p2align	8
	.type	_ZN7rocprim17ROCPRIM_400000_NS6detail17trampoline_kernelINS0_14default_configENS1_22reduce_config_selectorIbEEZNS1_11reduce_implILb1ES3_N6hipcub16HIPCUB_304000_NS22TransformInputIteratorIb7NonZeroIiEPilEEPllNS8_6detail34convert_binary_result_type_wrapperINS8_3SumESD_lEEEE10hipError_tPvRmT1_T2_T3_mT4_P12ihipStream_tbEUlT_E0_NS1_11comp_targetILNS1_3genE3ELNS1_11target_archE908ELNS1_3gpuE7ELNS1_3repE0EEENS1_30default_config_static_selectorELNS0_4arch9wavefront6targetE1EEEvSM_,@function
_ZN7rocprim17ROCPRIM_400000_NS6detail17trampoline_kernelINS0_14default_configENS1_22reduce_config_selectorIbEEZNS1_11reduce_implILb1ES3_N6hipcub16HIPCUB_304000_NS22TransformInputIteratorIb7NonZeroIiEPilEEPllNS8_6detail34convert_binary_result_type_wrapperINS8_3SumESD_lEEEE10hipError_tPvRmT1_T2_T3_mT4_P12ihipStream_tbEUlT_E0_NS1_11comp_targetILNS1_3genE3ELNS1_11target_archE908ELNS1_3gpuE7ELNS1_3repE0EEENS1_30default_config_static_selectorELNS0_4arch9wavefront6targetE1EEEvSM_: ; @_ZN7rocprim17ROCPRIM_400000_NS6detail17trampoline_kernelINS0_14default_configENS1_22reduce_config_selectorIbEEZNS1_11reduce_implILb1ES3_N6hipcub16HIPCUB_304000_NS22TransformInputIteratorIb7NonZeroIiEPilEEPllNS8_6detail34convert_binary_result_type_wrapperINS8_3SumESD_lEEEE10hipError_tPvRmT1_T2_T3_mT4_P12ihipStream_tbEUlT_E0_NS1_11comp_targetILNS1_3genE3ELNS1_11target_archE908ELNS1_3gpuE7ELNS1_3repE0EEENS1_30default_config_static_selectorELNS0_4arch9wavefront6targetE1EEEvSM_
; %bb.0:
	.section	.rodata,"a",@progbits
	.p2align	6, 0x0
	.amdhsa_kernel _ZN7rocprim17ROCPRIM_400000_NS6detail17trampoline_kernelINS0_14default_configENS1_22reduce_config_selectorIbEEZNS1_11reduce_implILb1ES3_N6hipcub16HIPCUB_304000_NS22TransformInputIteratorIb7NonZeroIiEPilEEPllNS8_6detail34convert_binary_result_type_wrapperINS8_3SumESD_lEEEE10hipError_tPvRmT1_T2_T3_mT4_P12ihipStream_tbEUlT_E0_NS1_11comp_targetILNS1_3genE3ELNS1_11target_archE908ELNS1_3gpuE7ELNS1_3repE0EEENS1_30default_config_static_selectorELNS0_4arch9wavefront6targetE1EEEvSM_
		.amdhsa_group_segment_fixed_size 0
		.amdhsa_private_segment_fixed_size 0
		.amdhsa_kernarg_size 72
		.amdhsa_user_sgpr_count 2
		.amdhsa_user_sgpr_dispatch_ptr 0
		.amdhsa_user_sgpr_queue_ptr 0
		.amdhsa_user_sgpr_kernarg_segment_ptr 1
		.amdhsa_user_sgpr_dispatch_id 0
		.amdhsa_user_sgpr_kernarg_preload_length 0
		.amdhsa_user_sgpr_kernarg_preload_offset 0
		.amdhsa_user_sgpr_private_segment_size 0
		.amdhsa_uses_dynamic_stack 0
		.amdhsa_enable_private_segment 0
		.amdhsa_system_sgpr_workgroup_id_x 1
		.amdhsa_system_sgpr_workgroup_id_y 0
		.amdhsa_system_sgpr_workgroup_id_z 0
		.amdhsa_system_sgpr_workgroup_info 0
		.amdhsa_system_vgpr_workitem_id 0
		.amdhsa_next_free_vgpr 1
		.amdhsa_next_free_sgpr 0
		.amdhsa_accum_offset 4
		.amdhsa_reserve_vcc 0
		.amdhsa_float_round_mode_32 0
		.amdhsa_float_round_mode_16_64 0
		.amdhsa_float_denorm_mode_32 3
		.amdhsa_float_denorm_mode_16_64 3
		.amdhsa_dx10_clamp 1
		.amdhsa_ieee_mode 1
		.amdhsa_fp16_overflow 0
		.amdhsa_tg_split 0
		.amdhsa_exception_fp_ieee_invalid_op 0
		.amdhsa_exception_fp_denorm_src 0
		.amdhsa_exception_fp_ieee_div_zero 0
		.amdhsa_exception_fp_ieee_overflow 0
		.amdhsa_exception_fp_ieee_underflow 0
		.amdhsa_exception_fp_ieee_inexact 0
		.amdhsa_exception_int_div_zero 0
	.end_amdhsa_kernel
	.section	.text._ZN7rocprim17ROCPRIM_400000_NS6detail17trampoline_kernelINS0_14default_configENS1_22reduce_config_selectorIbEEZNS1_11reduce_implILb1ES3_N6hipcub16HIPCUB_304000_NS22TransformInputIteratorIb7NonZeroIiEPilEEPllNS8_6detail34convert_binary_result_type_wrapperINS8_3SumESD_lEEEE10hipError_tPvRmT1_T2_T3_mT4_P12ihipStream_tbEUlT_E0_NS1_11comp_targetILNS1_3genE3ELNS1_11target_archE908ELNS1_3gpuE7ELNS1_3repE0EEENS1_30default_config_static_selectorELNS0_4arch9wavefront6targetE1EEEvSM_,"axG",@progbits,_ZN7rocprim17ROCPRIM_400000_NS6detail17trampoline_kernelINS0_14default_configENS1_22reduce_config_selectorIbEEZNS1_11reduce_implILb1ES3_N6hipcub16HIPCUB_304000_NS22TransformInputIteratorIb7NonZeroIiEPilEEPllNS8_6detail34convert_binary_result_type_wrapperINS8_3SumESD_lEEEE10hipError_tPvRmT1_T2_T3_mT4_P12ihipStream_tbEUlT_E0_NS1_11comp_targetILNS1_3genE3ELNS1_11target_archE908ELNS1_3gpuE7ELNS1_3repE0EEENS1_30default_config_static_selectorELNS0_4arch9wavefront6targetE1EEEvSM_,comdat
.Lfunc_end170:
	.size	_ZN7rocprim17ROCPRIM_400000_NS6detail17trampoline_kernelINS0_14default_configENS1_22reduce_config_selectorIbEEZNS1_11reduce_implILb1ES3_N6hipcub16HIPCUB_304000_NS22TransformInputIteratorIb7NonZeroIiEPilEEPllNS8_6detail34convert_binary_result_type_wrapperINS8_3SumESD_lEEEE10hipError_tPvRmT1_T2_T3_mT4_P12ihipStream_tbEUlT_E0_NS1_11comp_targetILNS1_3genE3ELNS1_11target_archE908ELNS1_3gpuE7ELNS1_3repE0EEENS1_30default_config_static_selectorELNS0_4arch9wavefront6targetE1EEEvSM_, .Lfunc_end170-_ZN7rocprim17ROCPRIM_400000_NS6detail17trampoline_kernelINS0_14default_configENS1_22reduce_config_selectorIbEEZNS1_11reduce_implILb1ES3_N6hipcub16HIPCUB_304000_NS22TransformInputIteratorIb7NonZeroIiEPilEEPllNS8_6detail34convert_binary_result_type_wrapperINS8_3SumESD_lEEEE10hipError_tPvRmT1_T2_T3_mT4_P12ihipStream_tbEUlT_E0_NS1_11comp_targetILNS1_3genE3ELNS1_11target_archE908ELNS1_3gpuE7ELNS1_3repE0EEENS1_30default_config_static_selectorELNS0_4arch9wavefront6targetE1EEEvSM_
                                        ; -- End function
	.set _ZN7rocprim17ROCPRIM_400000_NS6detail17trampoline_kernelINS0_14default_configENS1_22reduce_config_selectorIbEEZNS1_11reduce_implILb1ES3_N6hipcub16HIPCUB_304000_NS22TransformInputIteratorIb7NonZeroIiEPilEEPllNS8_6detail34convert_binary_result_type_wrapperINS8_3SumESD_lEEEE10hipError_tPvRmT1_T2_T3_mT4_P12ihipStream_tbEUlT_E0_NS1_11comp_targetILNS1_3genE3ELNS1_11target_archE908ELNS1_3gpuE7ELNS1_3repE0EEENS1_30default_config_static_selectorELNS0_4arch9wavefront6targetE1EEEvSM_.num_vgpr, 0
	.set _ZN7rocprim17ROCPRIM_400000_NS6detail17trampoline_kernelINS0_14default_configENS1_22reduce_config_selectorIbEEZNS1_11reduce_implILb1ES3_N6hipcub16HIPCUB_304000_NS22TransformInputIteratorIb7NonZeroIiEPilEEPllNS8_6detail34convert_binary_result_type_wrapperINS8_3SumESD_lEEEE10hipError_tPvRmT1_T2_T3_mT4_P12ihipStream_tbEUlT_E0_NS1_11comp_targetILNS1_3genE3ELNS1_11target_archE908ELNS1_3gpuE7ELNS1_3repE0EEENS1_30default_config_static_selectorELNS0_4arch9wavefront6targetE1EEEvSM_.num_agpr, 0
	.set _ZN7rocprim17ROCPRIM_400000_NS6detail17trampoline_kernelINS0_14default_configENS1_22reduce_config_selectorIbEEZNS1_11reduce_implILb1ES3_N6hipcub16HIPCUB_304000_NS22TransformInputIteratorIb7NonZeroIiEPilEEPllNS8_6detail34convert_binary_result_type_wrapperINS8_3SumESD_lEEEE10hipError_tPvRmT1_T2_T3_mT4_P12ihipStream_tbEUlT_E0_NS1_11comp_targetILNS1_3genE3ELNS1_11target_archE908ELNS1_3gpuE7ELNS1_3repE0EEENS1_30default_config_static_selectorELNS0_4arch9wavefront6targetE1EEEvSM_.numbered_sgpr, 0
	.set _ZN7rocprim17ROCPRIM_400000_NS6detail17trampoline_kernelINS0_14default_configENS1_22reduce_config_selectorIbEEZNS1_11reduce_implILb1ES3_N6hipcub16HIPCUB_304000_NS22TransformInputIteratorIb7NonZeroIiEPilEEPllNS8_6detail34convert_binary_result_type_wrapperINS8_3SumESD_lEEEE10hipError_tPvRmT1_T2_T3_mT4_P12ihipStream_tbEUlT_E0_NS1_11comp_targetILNS1_3genE3ELNS1_11target_archE908ELNS1_3gpuE7ELNS1_3repE0EEENS1_30default_config_static_selectorELNS0_4arch9wavefront6targetE1EEEvSM_.num_named_barrier, 0
	.set _ZN7rocprim17ROCPRIM_400000_NS6detail17trampoline_kernelINS0_14default_configENS1_22reduce_config_selectorIbEEZNS1_11reduce_implILb1ES3_N6hipcub16HIPCUB_304000_NS22TransformInputIteratorIb7NonZeroIiEPilEEPllNS8_6detail34convert_binary_result_type_wrapperINS8_3SumESD_lEEEE10hipError_tPvRmT1_T2_T3_mT4_P12ihipStream_tbEUlT_E0_NS1_11comp_targetILNS1_3genE3ELNS1_11target_archE908ELNS1_3gpuE7ELNS1_3repE0EEENS1_30default_config_static_selectorELNS0_4arch9wavefront6targetE1EEEvSM_.private_seg_size, 0
	.set _ZN7rocprim17ROCPRIM_400000_NS6detail17trampoline_kernelINS0_14default_configENS1_22reduce_config_selectorIbEEZNS1_11reduce_implILb1ES3_N6hipcub16HIPCUB_304000_NS22TransformInputIteratorIb7NonZeroIiEPilEEPllNS8_6detail34convert_binary_result_type_wrapperINS8_3SumESD_lEEEE10hipError_tPvRmT1_T2_T3_mT4_P12ihipStream_tbEUlT_E0_NS1_11comp_targetILNS1_3genE3ELNS1_11target_archE908ELNS1_3gpuE7ELNS1_3repE0EEENS1_30default_config_static_selectorELNS0_4arch9wavefront6targetE1EEEvSM_.uses_vcc, 0
	.set _ZN7rocprim17ROCPRIM_400000_NS6detail17trampoline_kernelINS0_14default_configENS1_22reduce_config_selectorIbEEZNS1_11reduce_implILb1ES3_N6hipcub16HIPCUB_304000_NS22TransformInputIteratorIb7NonZeroIiEPilEEPllNS8_6detail34convert_binary_result_type_wrapperINS8_3SumESD_lEEEE10hipError_tPvRmT1_T2_T3_mT4_P12ihipStream_tbEUlT_E0_NS1_11comp_targetILNS1_3genE3ELNS1_11target_archE908ELNS1_3gpuE7ELNS1_3repE0EEENS1_30default_config_static_selectorELNS0_4arch9wavefront6targetE1EEEvSM_.uses_flat_scratch, 0
	.set _ZN7rocprim17ROCPRIM_400000_NS6detail17trampoline_kernelINS0_14default_configENS1_22reduce_config_selectorIbEEZNS1_11reduce_implILb1ES3_N6hipcub16HIPCUB_304000_NS22TransformInputIteratorIb7NonZeroIiEPilEEPllNS8_6detail34convert_binary_result_type_wrapperINS8_3SumESD_lEEEE10hipError_tPvRmT1_T2_T3_mT4_P12ihipStream_tbEUlT_E0_NS1_11comp_targetILNS1_3genE3ELNS1_11target_archE908ELNS1_3gpuE7ELNS1_3repE0EEENS1_30default_config_static_selectorELNS0_4arch9wavefront6targetE1EEEvSM_.has_dyn_sized_stack, 0
	.set _ZN7rocprim17ROCPRIM_400000_NS6detail17trampoline_kernelINS0_14default_configENS1_22reduce_config_selectorIbEEZNS1_11reduce_implILb1ES3_N6hipcub16HIPCUB_304000_NS22TransformInputIteratorIb7NonZeroIiEPilEEPllNS8_6detail34convert_binary_result_type_wrapperINS8_3SumESD_lEEEE10hipError_tPvRmT1_T2_T3_mT4_P12ihipStream_tbEUlT_E0_NS1_11comp_targetILNS1_3genE3ELNS1_11target_archE908ELNS1_3gpuE7ELNS1_3repE0EEENS1_30default_config_static_selectorELNS0_4arch9wavefront6targetE1EEEvSM_.has_recursion, 0
	.set _ZN7rocprim17ROCPRIM_400000_NS6detail17trampoline_kernelINS0_14default_configENS1_22reduce_config_selectorIbEEZNS1_11reduce_implILb1ES3_N6hipcub16HIPCUB_304000_NS22TransformInputIteratorIb7NonZeroIiEPilEEPllNS8_6detail34convert_binary_result_type_wrapperINS8_3SumESD_lEEEE10hipError_tPvRmT1_T2_T3_mT4_P12ihipStream_tbEUlT_E0_NS1_11comp_targetILNS1_3genE3ELNS1_11target_archE908ELNS1_3gpuE7ELNS1_3repE0EEENS1_30default_config_static_selectorELNS0_4arch9wavefront6targetE1EEEvSM_.has_indirect_call, 0
	.section	.AMDGPU.csdata,"",@progbits
; Kernel info:
; codeLenInByte = 0
; TotalNumSgprs: 6
; NumVgprs: 0
; NumAgprs: 0
; TotalNumVgprs: 0
; ScratchSize: 0
; MemoryBound: 0
; FloatMode: 240
; IeeeMode: 1
; LDSByteSize: 0 bytes/workgroup (compile time only)
; SGPRBlocks: 0
; VGPRBlocks: 0
; NumSGPRsForWavesPerEU: 6
; NumVGPRsForWavesPerEU: 1
; AccumOffset: 4
; Occupancy: 8
; WaveLimiterHint : 0
; COMPUTE_PGM_RSRC2:SCRATCH_EN: 0
; COMPUTE_PGM_RSRC2:USER_SGPR: 2
; COMPUTE_PGM_RSRC2:TRAP_HANDLER: 0
; COMPUTE_PGM_RSRC2:TGID_X_EN: 1
; COMPUTE_PGM_RSRC2:TGID_Y_EN: 0
; COMPUTE_PGM_RSRC2:TGID_Z_EN: 0
; COMPUTE_PGM_RSRC2:TIDIG_COMP_CNT: 0
; COMPUTE_PGM_RSRC3_GFX90A:ACCUM_OFFSET: 0
; COMPUTE_PGM_RSRC3_GFX90A:TG_SPLIT: 0
	.section	.text._ZN7rocprim17ROCPRIM_400000_NS6detail17trampoline_kernelINS0_14default_configENS1_22reduce_config_selectorIbEEZNS1_11reduce_implILb1ES3_N6hipcub16HIPCUB_304000_NS22TransformInputIteratorIb7NonZeroIiEPilEEPllNS8_6detail34convert_binary_result_type_wrapperINS8_3SumESD_lEEEE10hipError_tPvRmT1_T2_T3_mT4_P12ihipStream_tbEUlT_E0_NS1_11comp_targetILNS1_3genE2ELNS1_11target_archE906ELNS1_3gpuE6ELNS1_3repE0EEENS1_30default_config_static_selectorELNS0_4arch9wavefront6targetE1EEEvSM_,"axG",@progbits,_ZN7rocprim17ROCPRIM_400000_NS6detail17trampoline_kernelINS0_14default_configENS1_22reduce_config_selectorIbEEZNS1_11reduce_implILb1ES3_N6hipcub16HIPCUB_304000_NS22TransformInputIteratorIb7NonZeroIiEPilEEPllNS8_6detail34convert_binary_result_type_wrapperINS8_3SumESD_lEEEE10hipError_tPvRmT1_T2_T3_mT4_P12ihipStream_tbEUlT_E0_NS1_11comp_targetILNS1_3genE2ELNS1_11target_archE906ELNS1_3gpuE6ELNS1_3repE0EEENS1_30default_config_static_selectorELNS0_4arch9wavefront6targetE1EEEvSM_,comdat
	.protected	_ZN7rocprim17ROCPRIM_400000_NS6detail17trampoline_kernelINS0_14default_configENS1_22reduce_config_selectorIbEEZNS1_11reduce_implILb1ES3_N6hipcub16HIPCUB_304000_NS22TransformInputIteratorIb7NonZeroIiEPilEEPllNS8_6detail34convert_binary_result_type_wrapperINS8_3SumESD_lEEEE10hipError_tPvRmT1_T2_T3_mT4_P12ihipStream_tbEUlT_E0_NS1_11comp_targetILNS1_3genE2ELNS1_11target_archE906ELNS1_3gpuE6ELNS1_3repE0EEENS1_30default_config_static_selectorELNS0_4arch9wavefront6targetE1EEEvSM_ ; -- Begin function _ZN7rocprim17ROCPRIM_400000_NS6detail17trampoline_kernelINS0_14default_configENS1_22reduce_config_selectorIbEEZNS1_11reduce_implILb1ES3_N6hipcub16HIPCUB_304000_NS22TransformInputIteratorIb7NonZeroIiEPilEEPllNS8_6detail34convert_binary_result_type_wrapperINS8_3SumESD_lEEEE10hipError_tPvRmT1_T2_T3_mT4_P12ihipStream_tbEUlT_E0_NS1_11comp_targetILNS1_3genE2ELNS1_11target_archE906ELNS1_3gpuE6ELNS1_3repE0EEENS1_30default_config_static_selectorELNS0_4arch9wavefront6targetE1EEEvSM_
	.globl	_ZN7rocprim17ROCPRIM_400000_NS6detail17trampoline_kernelINS0_14default_configENS1_22reduce_config_selectorIbEEZNS1_11reduce_implILb1ES3_N6hipcub16HIPCUB_304000_NS22TransformInputIteratorIb7NonZeroIiEPilEEPllNS8_6detail34convert_binary_result_type_wrapperINS8_3SumESD_lEEEE10hipError_tPvRmT1_T2_T3_mT4_P12ihipStream_tbEUlT_E0_NS1_11comp_targetILNS1_3genE2ELNS1_11target_archE906ELNS1_3gpuE6ELNS1_3repE0EEENS1_30default_config_static_selectorELNS0_4arch9wavefront6targetE1EEEvSM_
	.p2align	8
	.type	_ZN7rocprim17ROCPRIM_400000_NS6detail17trampoline_kernelINS0_14default_configENS1_22reduce_config_selectorIbEEZNS1_11reduce_implILb1ES3_N6hipcub16HIPCUB_304000_NS22TransformInputIteratorIb7NonZeroIiEPilEEPllNS8_6detail34convert_binary_result_type_wrapperINS8_3SumESD_lEEEE10hipError_tPvRmT1_T2_T3_mT4_P12ihipStream_tbEUlT_E0_NS1_11comp_targetILNS1_3genE2ELNS1_11target_archE906ELNS1_3gpuE6ELNS1_3repE0EEENS1_30default_config_static_selectorELNS0_4arch9wavefront6targetE1EEEvSM_,@function
_ZN7rocprim17ROCPRIM_400000_NS6detail17trampoline_kernelINS0_14default_configENS1_22reduce_config_selectorIbEEZNS1_11reduce_implILb1ES3_N6hipcub16HIPCUB_304000_NS22TransformInputIteratorIb7NonZeroIiEPilEEPllNS8_6detail34convert_binary_result_type_wrapperINS8_3SumESD_lEEEE10hipError_tPvRmT1_T2_T3_mT4_P12ihipStream_tbEUlT_E0_NS1_11comp_targetILNS1_3genE2ELNS1_11target_archE906ELNS1_3gpuE6ELNS1_3repE0EEENS1_30default_config_static_selectorELNS0_4arch9wavefront6targetE1EEEvSM_: ; @_ZN7rocprim17ROCPRIM_400000_NS6detail17trampoline_kernelINS0_14default_configENS1_22reduce_config_selectorIbEEZNS1_11reduce_implILb1ES3_N6hipcub16HIPCUB_304000_NS22TransformInputIteratorIb7NonZeroIiEPilEEPllNS8_6detail34convert_binary_result_type_wrapperINS8_3SumESD_lEEEE10hipError_tPvRmT1_T2_T3_mT4_P12ihipStream_tbEUlT_E0_NS1_11comp_targetILNS1_3genE2ELNS1_11target_archE906ELNS1_3gpuE6ELNS1_3repE0EEENS1_30default_config_static_selectorELNS0_4arch9wavefront6targetE1EEEvSM_
; %bb.0:
	.section	.rodata,"a",@progbits
	.p2align	6, 0x0
	.amdhsa_kernel _ZN7rocprim17ROCPRIM_400000_NS6detail17trampoline_kernelINS0_14default_configENS1_22reduce_config_selectorIbEEZNS1_11reduce_implILb1ES3_N6hipcub16HIPCUB_304000_NS22TransformInputIteratorIb7NonZeroIiEPilEEPllNS8_6detail34convert_binary_result_type_wrapperINS8_3SumESD_lEEEE10hipError_tPvRmT1_T2_T3_mT4_P12ihipStream_tbEUlT_E0_NS1_11comp_targetILNS1_3genE2ELNS1_11target_archE906ELNS1_3gpuE6ELNS1_3repE0EEENS1_30default_config_static_selectorELNS0_4arch9wavefront6targetE1EEEvSM_
		.amdhsa_group_segment_fixed_size 0
		.amdhsa_private_segment_fixed_size 0
		.amdhsa_kernarg_size 72
		.amdhsa_user_sgpr_count 2
		.amdhsa_user_sgpr_dispatch_ptr 0
		.amdhsa_user_sgpr_queue_ptr 0
		.amdhsa_user_sgpr_kernarg_segment_ptr 1
		.amdhsa_user_sgpr_dispatch_id 0
		.amdhsa_user_sgpr_kernarg_preload_length 0
		.amdhsa_user_sgpr_kernarg_preload_offset 0
		.amdhsa_user_sgpr_private_segment_size 0
		.amdhsa_uses_dynamic_stack 0
		.amdhsa_enable_private_segment 0
		.amdhsa_system_sgpr_workgroup_id_x 1
		.amdhsa_system_sgpr_workgroup_id_y 0
		.amdhsa_system_sgpr_workgroup_id_z 0
		.amdhsa_system_sgpr_workgroup_info 0
		.amdhsa_system_vgpr_workitem_id 0
		.amdhsa_next_free_vgpr 1
		.amdhsa_next_free_sgpr 0
		.amdhsa_accum_offset 4
		.amdhsa_reserve_vcc 0
		.amdhsa_float_round_mode_32 0
		.amdhsa_float_round_mode_16_64 0
		.amdhsa_float_denorm_mode_32 3
		.amdhsa_float_denorm_mode_16_64 3
		.amdhsa_dx10_clamp 1
		.amdhsa_ieee_mode 1
		.amdhsa_fp16_overflow 0
		.amdhsa_tg_split 0
		.amdhsa_exception_fp_ieee_invalid_op 0
		.amdhsa_exception_fp_denorm_src 0
		.amdhsa_exception_fp_ieee_div_zero 0
		.amdhsa_exception_fp_ieee_overflow 0
		.amdhsa_exception_fp_ieee_underflow 0
		.amdhsa_exception_fp_ieee_inexact 0
		.amdhsa_exception_int_div_zero 0
	.end_amdhsa_kernel
	.section	.text._ZN7rocprim17ROCPRIM_400000_NS6detail17trampoline_kernelINS0_14default_configENS1_22reduce_config_selectorIbEEZNS1_11reduce_implILb1ES3_N6hipcub16HIPCUB_304000_NS22TransformInputIteratorIb7NonZeroIiEPilEEPllNS8_6detail34convert_binary_result_type_wrapperINS8_3SumESD_lEEEE10hipError_tPvRmT1_T2_T3_mT4_P12ihipStream_tbEUlT_E0_NS1_11comp_targetILNS1_3genE2ELNS1_11target_archE906ELNS1_3gpuE6ELNS1_3repE0EEENS1_30default_config_static_selectorELNS0_4arch9wavefront6targetE1EEEvSM_,"axG",@progbits,_ZN7rocprim17ROCPRIM_400000_NS6detail17trampoline_kernelINS0_14default_configENS1_22reduce_config_selectorIbEEZNS1_11reduce_implILb1ES3_N6hipcub16HIPCUB_304000_NS22TransformInputIteratorIb7NonZeroIiEPilEEPllNS8_6detail34convert_binary_result_type_wrapperINS8_3SumESD_lEEEE10hipError_tPvRmT1_T2_T3_mT4_P12ihipStream_tbEUlT_E0_NS1_11comp_targetILNS1_3genE2ELNS1_11target_archE906ELNS1_3gpuE6ELNS1_3repE0EEENS1_30default_config_static_selectorELNS0_4arch9wavefront6targetE1EEEvSM_,comdat
.Lfunc_end171:
	.size	_ZN7rocprim17ROCPRIM_400000_NS6detail17trampoline_kernelINS0_14default_configENS1_22reduce_config_selectorIbEEZNS1_11reduce_implILb1ES3_N6hipcub16HIPCUB_304000_NS22TransformInputIteratorIb7NonZeroIiEPilEEPllNS8_6detail34convert_binary_result_type_wrapperINS8_3SumESD_lEEEE10hipError_tPvRmT1_T2_T3_mT4_P12ihipStream_tbEUlT_E0_NS1_11comp_targetILNS1_3genE2ELNS1_11target_archE906ELNS1_3gpuE6ELNS1_3repE0EEENS1_30default_config_static_selectorELNS0_4arch9wavefront6targetE1EEEvSM_, .Lfunc_end171-_ZN7rocprim17ROCPRIM_400000_NS6detail17trampoline_kernelINS0_14default_configENS1_22reduce_config_selectorIbEEZNS1_11reduce_implILb1ES3_N6hipcub16HIPCUB_304000_NS22TransformInputIteratorIb7NonZeroIiEPilEEPllNS8_6detail34convert_binary_result_type_wrapperINS8_3SumESD_lEEEE10hipError_tPvRmT1_T2_T3_mT4_P12ihipStream_tbEUlT_E0_NS1_11comp_targetILNS1_3genE2ELNS1_11target_archE906ELNS1_3gpuE6ELNS1_3repE0EEENS1_30default_config_static_selectorELNS0_4arch9wavefront6targetE1EEEvSM_
                                        ; -- End function
	.set _ZN7rocprim17ROCPRIM_400000_NS6detail17trampoline_kernelINS0_14default_configENS1_22reduce_config_selectorIbEEZNS1_11reduce_implILb1ES3_N6hipcub16HIPCUB_304000_NS22TransformInputIteratorIb7NonZeroIiEPilEEPllNS8_6detail34convert_binary_result_type_wrapperINS8_3SumESD_lEEEE10hipError_tPvRmT1_T2_T3_mT4_P12ihipStream_tbEUlT_E0_NS1_11comp_targetILNS1_3genE2ELNS1_11target_archE906ELNS1_3gpuE6ELNS1_3repE0EEENS1_30default_config_static_selectorELNS0_4arch9wavefront6targetE1EEEvSM_.num_vgpr, 0
	.set _ZN7rocprim17ROCPRIM_400000_NS6detail17trampoline_kernelINS0_14default_configENS1_22reduce_config_selectorIbEEZNS1_11reduce_implILb1ES3_N6hipcub16HIPCUB_304000_NS22TransformInputIteratorIb7NonZeroIiEPilEEPllNS8_6detail34convert_binary_result_type_wrapperINS8_3SumESD_lEEEE10hipError_tPvRmT1_T2_T3_mT4_P12ihipStream_tbEUlT_E0_NS1_11comp_targetILNS1_3genE2ELNS1_11target_archE906ELNS1_3gpuE6ELNS1_3repE0EEENS1_30default_config_static_selectorELNS0_4arch9wavefront6targetE1EEEvSM_.num_agpr, 0
	.set _ZN7rocprim17ROCPRIM_400000_NS6detail17trampoline_kernelINS0_14default_configENS1_22reduce_config_selectorIbEEZNS1_11reduce_implILb1ES3_N6hipcub16HIPCUB_304000_NS22TransformInputIteratorIb7NonZeroIiEPilEEPllNS8_6detail34convert_binary_result_type_wrapperINS8_3SumESD_lEEEE10hipError_tPvRmT1_T2_T3_mT4_P12ihipStream_tbEUlT_E0_NS1_11comp_targetILNS1_3genE2ELNS1_11target_archE906ELNS1_3gpuE6ELNS1_3repE0EEENS1_30default_config_static_selectorELNS0_4arch9wavefront6targetE1EEEvSM_.numbered_sgpr, 0
	.set _ZN7rocprim17ROCPRIM_400000_NS6detail17trampoline_kernelINS0_14default_configENS1_22reduce_config_selectorIbEEZNS1_11reduce_implILb1ES3_N6hipcub16HIPCUB_304000_NS22TransformInputIteratorIb7NonZeroIiEPilEEPllNS8_6detail34convert_binary_result_type_wrapperINS8_3SumESD_lEEEE10hipError_tPvRmT1_T2_T3_mT4_P12ihipStream_tbEUlT_E0_NS1_11comp_targetILNS1_3genE2ELNS1_11target_archE906ELNS1_3gpuE6ELNS1_3repE0EEENS1_30default_config_static_selectorELNS0_4arch9wavefront6targetE1EEEvSM_.num_named_barrier, 0
	.set _ZN7rocprim17ROCPRIM_400000_NS6detail17trampoline_kernelINS0_14default_configENS1_22reduce_config_selectorIbEEZNS1_11reduce_implILb1ES3_N6hipcub16HIPCUB_304000_NS22TransformInputIteratorIb7NonZeroIiEPilEEPllNS8_6detail34convert_binary_result_type_wrapperINS8_3SumESD_lEEEE10hipError_tPvRmT1_T2_T3_mT4_P12ihipStream_tbEUlT_E0_NS1_11comp_targetILNS1_3genE2ELNS1_11target_archE906ELNS1_3gpuE6ELNS1_3repE0EEENS1_30default_config_static_selectorELNS0_4arch9wavefront6targetE1EEEvSM_.private_seg_size, 0
	.set _ZN7rocprim17ROCPRIM_400000_NS6detail17trampoline_kernelINS0_14default_configENS1_22reduce_config_selectorIbEEZNS1_11reduce_implILb1ES3_N6hipcub16HIPCUB_304000_NS22TransformInputIteratorIb7NonZeroIiEPilEEPllNS8_6detail34convert_binary_result_type_wrapperINS8_3SumESD_lEEEE10hipError_tPvRmT1_T2_T3_mT4_P12ihipStream_tbEUlT_E0_NS1_11comp_targetILNS1_3genE2ELNS1_11target_archE906ELNS1_3gpuE6ELNS1_3repE0EEENS1_30default_config_static_selectorELNS0_4arch9wavefront6targetE1EEEvSM_.uses_vcc, 0
	.set _ZN7rocprim17ROCPRIM_400000_NS6detail17trampoline_kernelINS0_14default_configENS1_22reduce_config_selectorIbEEZNS1_11reduce_implILb1ES3_N6hipcub16HIPCUB_304000_NS22TransformInputIteratorIb7NonZeroIiEPilEEPllNS8_6detail34convert_binary_result_type_wrapperINS8_3SumESD_lEEEE10hipError_tPvRmT1_T2_T3_mT4_P12ihipStream_tbEUlT_E0_NS1_11comp_targetILNS1_3genE2ELNS1_11target_archE906ELNS1_3gpuE6ELNS1_3repE0EEENS1_30default_config_static_selectorELNS0_4arch9wavefront6targetE1EEEvSM_.uses_flat_scratch, 0
	.set _ZN7rocprim17ROCPRIM_400000_NS6detail17trampoline_kernelINS0_14default_configENS1_22reduce_config_selectorIbEEZNS1_11reduce_implILb1ES3_N6hipcub16HIPCUB_304000_NS22TransformInputIteratorIb7NonZeroIiEPilEEPllNS8_6detail34convert_binary_result_type_wrapperINS8_3SumESD_lEEEE10hipError_tPvRmT1_T2_T3_mT4_P12ihipStream_tbEUlT_E0_NS1_11comp_targetILNS1_3genE2ELNS1_11target_archE906ELNS1_3gpuE6ELNS1_3repE0EEENS1_30default_config_static_selectorELNS0_4arch9wavefront6targetE1EEEvSM_.has_dyn_sized_stack, 0
	.set _ZN7rocprim17ROCPRIM_400000_NS6detail17trampoline_kernelINS0_14default_configENS1_22reduce_config_selectorIbEEZNS1_11reduce_implILb1ES3_N6hipcub16HIPCUB_304000_NS22TransformInputIteratorIb7NonZeroIiEPilEEPllNS8_6detail34convert_binary_result_type_wrapperINS8_3SumESD_lEEEE10hipError_tPvRmT1_T2_T3_mT4_P12ihipStream_tbEUlT_E0_NS1_11comp_targetILNS1_3genE2ELNS1_11target_archE906ELNS1_3gpuE6ELNS1_3repE0EEENS1_30default_config_static_selectorELNS0_4arch9wavefront6targetE1EEEvSM_.has_recursion, 0
	.set _ZN7rocprim17ROCPRIM_400000_NS6detail17trampoline_kernelINS0_14default_configENS1_22reduce_config_selectorIbEEZNS1_11reduce_implILb1ES3_N6hipcub16HIPCUB_304000_NS22TransformInputIteratorIb7NonZeroIiEPilEEPllNS8_6detail34convert_binary_result_type_wrapperINS8_3SumESD_lEEEE10hipError_tPvRmT1_T2_T3_mT4_P12ihipStream_tbEUlT_E0_NS1_11comp_targetILNS1_3genE2ELNS1_11target_archE906ELNS1_3gpuE6ELNS1_3repE0EEENS1_30default_config_static_selectorELNS0_4arch9wavefront6targetE1EEEvSM_.has_indirect_call, 0
	.section	.AMDGPU.csdata,"",@progbits
; Kernel info:
; codeLenInByte = 0
; TotalNumSgprs: 6
; NumVgprs: 0
; NumAgprs: 0
; TotalNumVgprs: 0
; ScratchSize: 0
; MemoryBound: 0
; FloatMode: 240
; IeeeMode: 1
; LDSByteSize: 0 bytes/workgroup (compile time only)
; SGPRBlocks: 0
; VGPRBlocks: 0
; NumSGPRsForWavesPerEU: 6
; NumVGPRsForWavesPerEU: 1
; AccumOffset: 4
; Occupancy: 8
; WaveLimiterHint : 0
; COMPUTE_PGM_RSRC2:SCRATCH_EN: 0
; COMPUTE_PGM_RSRC2:USER_SGPR: 2
; COMPUTE_PGM_RSRC2:TRAP_HANDLER: 0
; COMPUTE_PGM_RSRC2:TGID_X_EN: 1
; COMPUTE_PGM_RSRC2:TGID_Y_EN: 0
; COMPUTE_PGM_RSRC2:TGID_Z_EN: 0
; COMPUTE_PGM_RSRC2:TIDIG_COMP_CNT: 0
; COMPUTE_PGM_RSRC3_GFX90A:ACCUM_OFFSET: 0
; COMPUTE_PGM_RSRC3_GFX90A:TG_SPLIT: 0
	.section	.text._ZN7rocprim17ROCPRIM_400000_NS6detail17trampoline_kernelINS0_14default_configENS1_22reduce_config_selectorIbEEZNS1_11reduce_implILb1ES3_N6hipcub16HIPCUB_304000_NS22TransformInputIteratorIb7NonZeroIiEPilEEPllNS8_6detail34convert_binary_result_type_wrapperINS8_3SumESD_lEEEE10hipError_tPvRmT1_T2_T3_mT4_P12ihipStream_tbEUlT_E0_NS1_11comp_targetILNS1_3genE10ELNS1_11target_archE1201ELNS1_3gpuE5ELNS1_3repE0EEENS1_30default_config_static_selectorELNS0_4arch9wavefront6targetE1EEEvSM_,"axG",@progbits,_ZN7rocprim17ROCPRIM_400000_NS6detail17trampoline_kernelINS0_14default_configENS1_22reduce_config_selectorIbEEZNS1_11reduce_implILb1ES3_N6hipcub16HIPCUB_304000_NS22TransformInputIteratorIb7NonZeroIiEPilEEPllNS8_6detail34convert_binary_result_type_wrapperINS8_3SumESD_lEEEE10hipError_tPvRmT1_T2_T3_mT4_P12ihipStream_tbEUlT_E0_NS1_11comp_targetILNS1_3genE10ELNS1_11target_archE1201ELNS1_3gpuE5ELNS1_3repE0EEENS1_30default_config_static_selectorELNS0_4arch9wavefront6targetE1EEEvSM_,comdat
	.protected	_ZN7rocprim17ROCPRIM_400000_NS6detail17trampoline_kernelINS0_14default_configENS1_22reduce_config_selectorIbEEZNS1_11reduce_implILb1ES3_N6hipcub16HIPCUB_304000_NS22TransformInputIteratorIb7NonZeroIiEPilEEPllNS8_6detail34convert_binary_result_type_wrapperINS8_3SumESD_lEEEE10hipError_tPvRmT1_T2_T3_mT4_P12ihipStream_tbEUlT_E0_NS1_11comp_targetILNS1_3genE10ELNS1_11target_archE1201ELNS1_3gpuE5ELNS1_3repE0EEENS1_30default_config_static_selectorELNS0_4arch9wavefront6targetE1EEEvSM_ ; -- Begin function _ZN7rocprim17ROCPRIM_400000_NS6detail17trampoline_kernelINS0_14default_configENS1_22reduce_config_selectorIbEEZNS1_11reduce_implILb1ES3_N6hipcub16HIPCUB_304000_NS22TransformInputIteratorIb7NonZeroIiEPilEEPllNS8_6detail34convert_binary_result_type_wrapperINS8_3SumESD_lEEEE10hipError_tPvRmT1_T2_T3_mT4_P12ihipStream_tbEUlT_E0_NS1_11comp_targetILNS1_3genE10ELNS1_11target_archE1201ELNS1_3gpuE5ELNS1_3repE0EEENS1_30default_config_static_selectorELNS0_4arch9wavefront6targetE1EEEvSM_
	.globl	_ZN7rocprim17ROCPRIM_400000_NS6detail17trampoline_kernelINS0_14default_configENS1_22reduce_config_selectorIbEEZNS1_11reduce_implILb1ES3_N6hipcub16HIPCUB_304000_NS22TransformInputIteratorIb7NonZeroIiEPilEEPllNS8_6detail34convert_binary_result_type_wrapperINS8_3SumESD_lEEEE10hipError_tPvRmT1_T2_T3_mT4_P12ihipStream_tbEUlT_E0_NS1_11comp_targetILNS1_3genE10ELNS1_11target_archE1201ELNS1_3gpuE5ELNS1_3repE0EEENS1_30default_config_static_selectorELNS0_4arch9wavefront6targetE1EEEvSM_
	.p2align	8
	.type	_ZN7rocprim17ROCPRIM_400000_NS6detail17trampoline_kernelINS0_14default_configENS1_22reduce_config_selectorIbEEZNS1_11reduce_implILb1ES3_N6hipcub16HIPCUB_304000_NS22TransformInputIteratorIb7NonZeroIiEPilEEPllNS8_6detail34convert_binary_result_type_wrapperINS8_3SumESD_lEEEE10hipError_tPvRmT1_T2_T3_mT4_P12ihipStream_tbEUlT_E0_NS1_11comp_targetILNS1_3genE10ELNS1_11target_archE1201ELNS1_3gpuE5ELNS1_3repE0EEENS1_30default_config_static_selectorELNS0_4arch9wavefront6targetE1EEEvSM_,@function
_ZN7rocprim17ROCPRIM_400000_NS6detail17trampoline_kernelINS0_14default_configENS1_22reduce_config_selectorIbEEZNS1_11reduce_implILb1ES3_N6hipcub16HIPCUB_304000_NS22TransformInputIteratorIb7NonZeroIiEPilEEPllNS8_6detail34convert_binary_result_type_wrapperINS8_3SumESD_lEEEE10hipError_tPvRmT1_T2_T3_mT4_P12ihipStream_tbEUlT_E0_NS1_11comp_targetILNS1_3genE10ELNS1_11target_archE1201ELNS1_3gpuE5ELNS1_3repE0EEENS1_30default_config_static_selectorELNS0_4arch9wavefront6targetE1EEEvSM_: ; @_ZN7rocprim17ROCPRIM_400000_NS6detail17trampoline_kernelINS0_14default_configENS1_22reduce_config_selectorIbEEZNS1_11reduce_implILb1ES3_N6hipcub16HIPCUB_304000_NS22TransformInputIteratorIb7NonZeroIiEPilEEPllNS8_6detail34convert_binary_result_type_wrapperINS8_3SumESD_lEEEE10hipError_tPvRmT1_T2_T3_mT4_P12ihipStream_tbEUlT_E0_NS1_11comp_targetILNS1_3genE10ELNS1_11target_archE1201ELNS1_3gpuE5ELNS1_3repE0EEENS1_30default_config_static_selectorELNS0_4arch9wavefront6targetE1EEEvSM_
; %bb.0:
	.section	.rodata,"a",@progbits
	.p2align	6, 0x0
	.amdhsa_kernel _ZN7rocprim17ROCPRIM_400000_NS6detail17trampoline_kernelINS0_14default_configENS1_22reduce_config_selectorIbEEZNS1_11reduce_implILb1ES3_N6hipcub16HIPCUB_304000_NS22TransformInputIteratorIb7NonZeroIiEPilEEPllNS8_6detail34convert_binary_result_type_wrapperINS8_3SumESD_lEEEE10hipError_tPvRmT1_T2_T3_mT4_P12ihipStream_tbEUlT_E0_NS1_11comp_targetILNS1_3genE10ELNS1_11target_archE1201ELNS1_3gpuE5ELNS1_3repE0EEENS1_30default_config_static_selectorELNS0_4arch9wavefront6targetE1EEEvSM_
		.amdhsa_group_segment_fixed_size 0
		.amdhsa_private_segment_fixed_size 0
		.amdhsa_kernarg_size 72
		.amdhsa_user_sgpr_count 2
		.amdhsa_user_sgpr_dispatch_ptr 0
		.amdhsa_user_sgpr_queue_ptr 0
		.amdhsa_user_sgpr_kernarg_segment_ptr 1
		.amdhsa_user_sgpr_dispatch_id 0
		.amdhsa_user_sgpr_kernarg_preload_length 0
		.amdhsa_user_sgpr_kernarg_preload_offset 0
		.amdhsa_user_sgpr_private_segment_size 0
		.amdhsa_uses_dynamic_stack 0
		.amdhsa_enable_private_segment 0
		.amdhsa_system_sgpr_workgroup_id_x 1
		.amdhsa_system_sgpr_workgroup_id_y 0
		.amdhsa_system_sgpr_workgroup_id_z 0
		.amdhsa_system_sgpr_workgroup_info 0
		.amdhsa_system_vgpr_workitem_id 0
		.amdhsa_next_free_vgpr 1
		.amdhsa_next_free_sgpr 0
		.amdhsa_accum_offset 4
		.amdhsa_reserve_vcc 0
		.amdhsa_float_round_mode_32 0
		.amdhsa_float_round_mode_16_64 0
		.amdhsa_float_denorm_mode_32 3
		.amdhsa_float_denorm_mode_16_64 3
		.amdhsa_dx10_clamp 1
		.amdhsa_ieee_mode 1
		.amdhsa_fp16_overflow 0
		.amdhsa_tg_split 0
		.amdhsa_exception_fp_ieee_invalid_op 0
		.amdhsa_exception_fp_denorm_src 0
		.amdhsa_exception_fp_ieee_div_zero 0
		.amdhsa_exception_fp_ieee_overflow 0
		.amdhsa_exception_fp_ieee_underflow 0
		.amdhsa_exception_fp_ieee_inexact 0
		.amdhsa_exception_int_div_zero 0
	.end_amdhsa_kernel
	.section	.text._ZN7rocprim17ROCPRIM_400000_NS6detail17trampoline_kernelINS0_14default_configENS1_22reduce_config_selectorIbEEZNS1_11reduce_implILb1ES3_N6hipcub16HIPCUB_304000_NS22TransformInputIteratorIb7NonZeroIiEPilEEPllNS8_6detail34convert_binary_result_type_wrapperINS8_3SumESD_lEEEE10hipError_tPvRmT1_T2_T3_mT4_P12ihipStream_tbEUlT_E0_NS1_11comp_targetILNS1_3genE10ELNS1_11target_archE1201ELNS1_3gpuE5ELNS1_3repE0EEENS1_30default_config_static_selectorELNS0_4arch9wavefront6targetE1EEEvSM_,"axG",@progbits,_ZN7rocprim17ROCPRIM_400000_NS6detail17trampoline_kernelINS0_14default_configENS1_22reduce_config_selectorIbEEZNS1_11reduce_implILb1ES3_N6hipcub16HIPCUB_304000_NS22TransformInputIteratorIb7NonZeroIiEPilEEPllNS8_6detail34convert_binary_result_type_wrapperINS8_3SumESD_lEEEE10hipError_tPvRmT1_T2_T3_mT4_P12ihipStream_tbEUlT_E0_NS1_11comp_targetILNS1_3genE10ELNS1_11target_archE1201ELNS1_3gpuE5ELNS1_3repE0EEENS1_30default_config_static_selectorELNS0_4arch9wavefront6targetE1EEEvSM_,comdat
.Lfunc_end172:
	.size	_ZN7rocprim17ROCPRIM_400000_NS6detail17trampoline_kernelINS0_14default_configENS1_22reduce_config_selectorIbEEZNS1_11reduce_implILb1ES3_N6hipcub16HIPCUB_304000_NS22TransformInputIteratorIb7NonZeroIiEPilEEPllNS8_6detail34convert_binary_result_type_wrapperINS8_3SumESD_lEEEE10hipError_tPvRmT1_T2_T3_mT4_P12ihipStream_tbEUlT_E0_NS1_11comp_targetILNS1_3genE10ELNS1_11target_archE1201ELNS1_3gpuE5ELNS1_3repE0EEENS1_30default_config_static_selectorELNS0_4arch9wavefront6targetE1EEEvSM_, .Lfunc_end172-_ZN7rocprim17ROCPRIM_400000_NS6detail17trampoline_kernelINS0_14default_configENS1_22reduce_config_selectorIbEEZNS1_11reduce_implILb1ES3_N6hipcub16HIPCUB_304000_NS22TransformInputIteratorIb7NonZeroIiEPilEEPllNS8_6detail34convert_binary_result_type_wrapperINS8_3SumESD_lEEEE10hipError_tPvRmT1_T2_T3_mT4_P12ihipStream_tbEUlT_E0_NS1_11comp_targetILNS1_3genE10ELNS1_11target_archE1201ELNS1_3gpuE5ELNS1_3repE0EEENS1_30default_config_static_selectorELNS0_4arch9wavefront6targetE1EEEvSM_
                                        ; -- End function
	.set _ZN7rocprim17ROCPRIM_400000_NS6detail17trampoline_kernelINS0_14default_configENS1_22reduce_config_selectorIbEEZNS1_11reduce_implILb1ES3_N6hipcub16HIPCUB_304000_NS22TransformInputIteratorIb7NonZeroIiEPilEEPllNS8_6detail34convert_binary_result_type_wrapperINS8_3SumESD_lEEEE10hipError_tPvRmT1_T2_T3_mT4_P12ihipStream_tbEUlT_E0_NS1_11comp_targetILNS1_3genE10ELNS1_11target_archE1201ELNS1_3gpuE5ELNS1_3repE0EEENS1_30default_config_static_selectorELNS0_4arch9wavefront6targetE1EEEvSM_.num_vgpr, 0
	.set _ZN7rocprim17ROCPRIM_400000_NS6detail17trampoline_kernelINS0_14default_configENS1_22reduce_config_selectorIbEEZNS1_11reduce_implILb1ES3_N6hipcub16HIPCUB_304000_NS22TransformInputIteratorIb7NonZeroIiEPilEEPllNS8_6detail34convert_binary_result_type_wrapperINS8_3SumESD_lEEEE10hipError_tPvRmT1_T2_T3_mT4_P12ihipStream_tbEUlT_E0_NS1_11comp_targetILNS1_3genE10ELNS1_11target_archE1201ELNS1_3gpuE5ELNS1_3repE0EEENS1_30default_config_static_selectorELNS0_4arch9wavefront6targetE1EEEvSM_.num_agpr, 0
	.set _ZN7rocprim17ROCPRIM_400000_NS6detail17trampoline_kernelINS0_14default_configENS1_22reduce_config_selectorIbEEZNS1_11reduce_implILb1ES3_N6hipcub16HIPCUB_304000_NS22TransformInputIteratorIb7NonZeroIiEPilEEPllNS8_6detail34convert_binary_result_type_wrapperINS8_3SumESD_lEEEE10hipError_tPvRmT1_T2_T3_mT4_P12ihipStream_tbEUlT_E0_NS1_11comp_targetILNS1_3genE10ELNS1_11target_archE1201ELNS1_3gpuE5ELNS1_3repE0EEENS1_30default_config_static_selectorELNS0_4arch9wavefront6targetE1EEEvSM_.numbered_sgpr, 0
	.set _ZN7rocprim17ROCPRIM_400000_NS6detail17trampoline_kernelINS0_14default_configENS1_22reduce_config_selectorIbEEZNS1_11reduce_implILb1ES3_N6hipcub16HIPCUB_304000_NS22TransformInputIteratorIb7NonZeroIiEPilEEPllNS8_6detail34convert_binary_result_type_wrapperINS8_3SumESD_lEEEE10hipError_tPvRmT1_T2_T3_mT4_P12ihipStream_tbEUlT_E0_NS1_11comp_targetILNS1_3genE10ELNS1_11target_archE1201ELNS1_3gpuE5ELNS1_3repE0EEENS1_30default_config_static_selectorELNS0_4arch9wavefront6targetE1EEEvSM_.num_named_barrier, 0
	.set _ZN7rocprim17ROCPRIM_400000_NS6detail17trampoline_kernelINS0_14default_configENS1_22reduce_config_selectorIbEEZNS1_11reduce_implILb1ES3_N6hipcub16HIPCUB_304000_NS22TransformInputIteratorIb7NonZeroIiEPilEEPllNS8_6detail34convert_binary_result_type_wrapperINS8_3SumESD_lEEEE10hipError_tPvRmT1_T2_T3_mT4_P12ihipStream_tbEUlT_E0_NS1_11comp_targetILNS1_3genE10ELNS1_11target_archE1201ELNS1_3gpuE5ELNS1_3repE0EEENS1_30default_config_static_selectorELNS0_4arch9wavefront6targetE1EEEvSM_.private_seg_size, 0
	.set _ZN7rocprim17ROCPRIM_400000_NS6detail17trampoline_kernelINS0_14default_configENS1_22reduce_config_selectorIbEEZNS1_11reduce_implILb1ES3_N6hipcub16HIPCUB_304000_NS22TransformInputIteratorIb7NonZeroIiEPilEEPllNS8_6detail34convert_binary_result_type_wrapperINS8_3SumESD_lEEEE10hipError_tPvRmT1_T2_T3_mT4_P12ihipStream_tbEUlT_E0_NS1_11comp_targetILNS1_3genE10ELNS1_11target_archE1201ELNS1_3gpuE5ELNS1_3repE0EEENS1_30default_config_static_selectorELNS0_4arch9wavefront6targetE1EEEvSM_.uses_vcc, 0
	.set _ZN7rocprim17ROCPRIM_400000_NS6detail17trampoline_kernelINS0_14default_configENS1_22reduce_config_selectorIbEEZNS1_11reduce_implILb1ES3_N6hipcub16HIPCUB_304000_NS22TransformInputIteratorIb7NonZeroIiEPilEEPllNS8_6detail34convert_binary_result_type_wrapperINS8_3SumESD_lEEEE10hipError_tPvRmT1_T2_T3_mT4_P12ihipStream_tbEUlT_E0_NS1_11comp_targetILNS1_3genE10ELNS1_11target_archE1201ELNS1_3gpuE5ELNS1_3repE0EEENS1_30default_config_static_selectorELNS0_4arch9wavefront6targetE1EEEvSM_.uses_flat_scratch, 0
	.set _ZN7rocprim17ROCPRIM_400000_NS6detail17trampoline_kernelINS0_14default_configENS1_22reduce_config_selectorIbEEZNS1_11reduce_implILb1ES3_N6hipcub16HIPCUB_304000_NS22TransformInputIteratorIb7NonZeroIiEPilEEPllNS8_6detail34convert_binary_result_type_wrapperINS8_3SumESD_lEEEE10hipError_tPvRmT1_T2_T3_mT4_P12ihipStream_tbEUlT_E0_NS1_11comp_targetILNS1_3genE10ELNS1_11target_archE1201ELNS1_3gpuE5ELNS1_3repE0EEENS1_30default_config_static_selectorELNS0_4arch9wavefront6targetE1EEEvSM_.has_dyn_sized_stack, 0
	.set _ZN7rocprim17ROCPRIM_400000_NS6detail17trampoline_kernelINS0_14default_configENS1_22reduce_config_selectorIbEEZNS1_11reduce_implILb1ES3_N6hipcub16HIPCUB_304000_NS22TransformInputIteratorIb7NonZeroIiEPilEEPllNS8_6detail34convert_binary_result_type_wrapperINS8_3SumESD_lEEEE10hipError_tPvRmT1_T2_T3_mT4_P12ihipStream_tbEUlT_E0_NS1_11comp_targetILNS1_3genE10ELNS1_11target_archE1201ELNS1_3gpuE5ELNS1_3repE0EEENS1_30default_config_static_selectorELNS0_4arch9wavefront6targetE1EEEvSM_.has_recursion, 0
	.set _ZN7rocprim17ROCPRIM_400000_NS6detail17trampoline_kernelINS0_14default_configENS1_22reduce_config_selectorIbEEZNS1_11reduce_implILb1ES3_N6hipcub16HIPCUB_304000_NS22TransformInputIteratorIb7NonZeroIiEPilEEPllNS8_6detail34convert_binary_result_type_wrapperINS8_3SumESD_lEEEE10hipError_tPvRmT1_T2_T3_mT4_P12ihipStream_tbEUlT_E0_NS1_11comp_targetILNS1_3genE10ELNS1_11target_archE1201ELNS1_3gpuE5ELNS1_3repE0EEENS1_30default_config_static_selectorELNS0_4arch9wavefront6targetE1EEEvSM_.has_indirect_call, 0
	.section	.AMDGPU.csdata,"",@progbits
; Kernel info:
; codeLenInByte = 0
; TotalNumSgprs: 6
; NumVgprs: 0
; NumAgprs: 0
; TotalNumVgprs: 0
; ScratchSize: 0
; MemoryBound: 0
; FloatMode: 240
; IeeeMode: 1
; LDSByteSize: 0 bytes/workgroup (compile time only)
; SGPRBlocks: 0
; VGPRBlocks: 0
; NumSGPRsForWavesPerEU: 6
; NumVGPRsForWavesPerEU: 1
; AccumOffset: 4
; Occupancy: 8
; WaveLimiterHint : 0
; COMPUTE_PGM_RSRC2:SCRATCH_EN: 0
; COMPUTE_PGM_RSRC2:USER_SGPR: 2
; COMPUTE_PGM_RSRC2:TRAP_HANDLER: 0
; COMPUTE_PGM_RSRC2:TGID_X_EN: 1
; COMPUTE_PGM_RSRC2:TGID_Y_EN: 0
; COMPUTE_PGM_RSRC2:TGID_Z_EN: 0
; COMPUTE_PGM_RSRC2:TIDIG_COMP_CNT: 0
; COMPUTE_PGM_RSRC3_GFX90A:ACCUM_OFFSET: 0
; COMPUTE_PGM_RSRC3_GFX90A:TG_SPLIT: 0
	.section	.text._ZN7rocprim17ROCPRIM_400000_NS6detail17trampoline_kernelINS0_14default_configENS1_22reduce_config_selectorIbEEZNS1_11reduce_implILb1ES3_N6hipcub16HIPCUB_304000_NS22TransformInputIteratorIb7NonZeroIiEPilEEPllNS8_6detail34convert_binary_result_type_wrapperINS8_3SumESD_lEEEE10hipError_tPvRmT1_T2_T3_mT4_P12ihipStream_tbEUlT_E0_NS1_11comp_targetILNS1_3genE10ELNS1_11target_archE1200ELNS1_3gpuE4ELNS1_3repE0EEENS1_30default_config_static_selectorELNS0_4arch9wavefront6targetE1EEEvSM_,"axG",@progbits,_ZN7rocprim17ROCPRIM_400000_NS6detail17trampoline_kernelINS0_14default_configENS1_22reduce_config_selectorIbEEZNS1_11reduce_implILb1ES3_N6hipcub16HIPCUB_304000_NS22TransformInputIteratorIb7NonZeroIiEPilEEPllNS8_6detail34convert_binary_result_type_wrapperINS8_3SumESD_lEEEE10hipError_tPvRmT1_T2_T3_mT4_P12ihipStream_tbEUlT_E0_NS1_11comp_targetILNS1_3genE10ELNS1_11target_archE1200ELNS1_3gpuE4ELNS1_3repE0EEENS1_30default_config_static_selectorELNS0_4arch9wavefront6targetE1EEEvSM_,comdat
	.protected	_ZN7rocprim17ROCPRIM_400000_NS6detail17trampoline_kernelINS0_14default_configENS1_22reduce_config_selectorIbEEZNS1_11reduce_implILb1ES3_N6hipcub16HIPCUB_304000_NS22TransformInputIteratorIb7NonZeroIiEPilEEPllNS8_6detail34convert_binary_result_type_wrapperINS8_3SumESD_lEEEE10hipError_tPvRmT1_T2_T3_mT4_P12ihipStream_tbEUlT_E0_NS1_11comp_targetILNS1_3genE10ELNS1_11target_archE1200ELNS1_3gpuE4ELNS1_3repE0EEENS1_30default_config_static_selectorELNS0_4arch9wavefront6targetE1EEEvSM_ ; -- Begin function _ZN7rocprim17ROCPRIM_400000_NS6detail17trampoline_kernelINS0_14default_configENS1_22reduce_config_selectorIbEEZNS1_11reduce_implILb1ES3_N6hipcub16HIPCUB_304000_NS22TransformInputIteratorIb7NonZeroIiEPilEEPllNS8_6detail34convert_binary_result_type_wrapperINS8_3SumESD_lEEEE10hipError_tPvRmT1_T2_T3_mT4_P12ihipStream_tbEUlT_E0_NS1_11comp_targetILNS1_3genE10ELNS1_11target_archE1200ELNS1_3gpuE4ELNS1_3repE0EEENS1_30default_config_static_selectorELNS0_4arch9wavefront6targetE1EEEvSM_
	.globl	_ZN7rocprim17ROCPRIM_400000_NS6detail17trampoline_kernelINS0_14default_configENS1_22reduce_config_selectorIbEEZNS1_11reduce_implILb1ES3_N6hipcub16HIPCUB_304000_NS22TransformInputIteratorIb7NonZeroIiEPilEEPllNS8_6detail34convert_binary_result_type_wrapperINS8_3SumESD_lEEEE10hipError_tPvRmT1_T2_T3_mT4_P12ihipStream_tbEUlT_E0_NS1_11comp_targetILNS1_3genE10ELNS1_11target_archE1200ELNS1_3gpuE4ELNS1_3repE0EEENS1_30default_config_static_selectorELNS0_4arch9wavefront6targetE1EEEvSM_
	.p2align	8
	.type	_ZN7rocprim17ROCPRIM_400000_NS6detail17trampoline_kernelINS0_14default_configENS1_22reduce_config_selectorIbEEZNS1_11reduce_implILb1ES3_N6hipcub16HIPCUB_304000_NS22TransformInputIteratorIb7NonZeroIiEPilEEPllNS8_6detail34convert_binary_result_type_wrapperINS8_3SumESD_lEEEE10hipError_tPvRmT1_T2_T3_mT4_P12ihipStream_tbEUlT_E0_NS1_11comp_targetILNS1_3genE10ELNS1_11target_archE1200ELNS1_3gpuE4ELNS1_3repE0EEENS1_30default_config_static_selectorELNS0_4arch9wavefront6targetE1EEEvSM_,@function
_ZN7rocprim17ROCPRIM_400000_NS6detail17trampoline_kernelINS0_14default_configENS1_22reduce_config_selectorIbEEZNS1_11reduce_implILb1ES3_N6hipcub16HIPCUB_304000_NS22TransformInputIteratorIb7NonZeroIiEPilEEPllNS8_6detail34convert_binary_result_type_wrapperINS8_3SumESD_lEEEE10hipError_tPvRmT1_T2_T3_mT4_P12ihipStream_tbEUlT_E0_NS1_11comp_targetILNS1_3genE10ELNS1_11target_archE1200ELNS1_3gpuE4ELNS1_3repE0EEENS1_30default_config_static_selectorELNS0_4arch9wavefront6targetE1EEEvSM_: ; @_ZN7rocprim17ROCPRIM_400000_NS6detail17trampoline_kernelINS0_14default_configENS1_22reduce_config_selectorIbEEZNS1_11reduce_implILb1ES3_N6hipcub16HIPCUB_304000_NS22TransformInputIteratorIb7NonZeroIiEPilEEPllNS8_6detail34convert_binary_result_type_wrapperINS8_3SumESD_lEEEE10hipError_tPvRmT1_T2_T3_mT4_P12ihipStream_tbEUlT_E0_NS1_11comp_targetILNS1_3genE10ELNS1_11target_archE1200ELNS1_3gpuE4ELNS1_3repE0EEENS1_30default_config_static_selectorELNS0_4arch9wavefront6targetE1EEEvSM_
; %bb.0:
	.section	.rodata,"a",@progbits
	.p2align	6, 0x0
	.amdhsa_kernel _ZN7rocprim17ROCPRIM_400000_NS6detail17trampoline_kernelINS0_14default_configENS1_22reduce_config_selectorIbEEZNS1_11reduce_implILb1ES3_N6hipcub16HIPCUB_304000_NS22TransformInputIteratorIb7NonZeroIiEPilEEPllNS8_6detail34convert_binary_result_type_wrapperINS8_3SumESD_lEEEE10hipError_tPvRmT1_T2_T3_mT4_P12ihipStream_tbEUlT_E0_NS1_11comp_targetILNS1_3genE10ELNS1_11target_archE1200ELNS1_3gpuE4ELNS1_3repE0EEENS1_30default_config_static_selectorELNS0_4arch9wavefront6targetE1EEEvSM_
		.amdhsa_group_segment_fixed_size 0
		.amdhsa_private_segment_fixed_size 0
		.amdhsa_kernarg_size 72
		.amdhsa_user_sgpr_count 2
		.amdhsa_user_sgpr_dispatch_ptr 0
		.amdhsa_user_sgpr_queue_ptr 0
		.amdhsa_user_sgpr_kernarg_segment_ptr 1
		.amdhsa_user_sgpr_dispatch_id 0
		.amdhsa_user_sgpr_kernarg_preload_length 0
		.amdhsa_user_sgpr_kernarg_preload_offset 0
		.amdhsa_user_sgpr_private_segment_size 0
		.amdhsa_uses_dynamic_stack 0
		.amdhsa_enable_private_segment 0
		.amdhsa_system_sgpr_workgroup_id_x 1
		.amdhsa_system_sgpr_workgroup_id_y 0
		.amdhsa_system_sgpr_workgroup_id_z 0
		.amdhsa_system_sgpr_workgroup_info 0
		.amdhsa_system_vgpr_workitem_id 0
		.amdhsa_next_free_vgpr 1
		.amdhsa_next_free_sgpr 0
		.amdhsa_accum_offset 4
		.amdhsa_reserve_vcc 0
		.amdhsa_float_round_mode_32 0
		.amdhsa_float_round_mode_16_64 0
		.amdhsa_float_denorm_mode_32 3
		.amdhsa_float_denorm_mode_16_64 3
		.amdhsa_dx10_clamp 1
		.amdhsa_ieee_mode 1
		.amdhsa_fp16_overflow 0
		.amdhsa_tg_split 0
		.amdhsa_exception_fp_ieee_invalid_op 0
		.amdhsa_exception_fp_denorm_src 0
		.amdhsa_exception_fp_ieee_div_zero 0
		.amdhsa_exception_fp_ieee_overflow 0
		.amdhsa_exception_fp_ieee_underflow 0
		.amdhsa_exception_fp_ieee_inexact 0
		.amdhsa_exception_int_div_zero 0
	.end_amdhsa_kernel
	.section	.text._ZN7rocprim17ROCPRIM_400000_NS6detail17trampoline_kernelINS0_14default_configENS1_22reduce_config_selectorIbEEZNS1_11reduce_implILb1ES3_N6hipcub16HIPCUB_304000_NS22TransformInputIteratorIb7NonZeroIiEPilEEPllNS8_6detail34convert_binary_result_type_wrapperINS8_3SumESD_lEEEE10hipError_tPvRmT1_T2_T3_mT4_P12ihipStream_tbEUlT_E0_NS1_11comp_targetILNS1_3genE10ELNS1_11target_archE1200ELNS1_3gpuE4ELNS1_3repE0EEENS1_30default_config_static_selectorELNS0_4arch9wavefront6targetE1EEEvSM_,"axG",@progbits,_ZN7rocprim17ROCPRIM_400000_NS6detail17trampoline_kernelINS0_14default_configENS1_22reduce_config_selectorIbEEZNS1_11reduce_implILb1ES3_N6hipcub16HIPCUB_304000_NS22TransformInputIteratorIb7NonZeroIiEPilEEPllNS8_6detail34convert_binary_result_type_wrapperINS8_3SumESD_lEEEE10hipError_tPvRmT1_T2_T3_mT4_P12ihipStream_tbEUlT_E0_NS1_11comp_targetILNS1_3genE10ELNS1_11target_archE1200ELNS1_3gpuE4ELNS1_3repE0EEENS1_30default_config_static_selectorELNS0_4arch9wavefront6targetE1EEEvSM_,comdat
.Lfunc_end173:
	.size	_ZN7rocprim17ROCPRIM_400000_NS6detail17trampoline_kernelINS0_14default_configENS1_22reduce_config_selectorIbEEZNS1_11reduce_implILb1ES3_N6hipcub16HIPCUB_304000_NS22TransformInputIteratorIb7NonZeroIiEPilEEPllNS8_6detail34convert_binary_result_type_wrapperINS8_3SumESD_lEEEE10hipError_tPvRmT1_T2_T3_mT4_P12ihipStream_tbEUlT_E0_NS1_11comp_targetILNS1_3genE10ELNS1_11target_archE1200ELNS1_3gpuE4ELNS1_3repE0EEENS1_30default_config_static_selectorELNS0_4arch9wavefront6targetE1EEEvSM_, .Lfunc_end173-_ZN7rocprim17ROCPRIM_400000_NS6detail17trampoline_kernelINS0_14default_configENS1_22reduce_config_selectorIbEEZNS1_11reduce_implILb1ES3_N6hipcub16HIPCUB_304000_NS22TransformInputIteratorIb7NonZeroIiEPilEEPllNS8_6detail34convert_binary_result_type_wrapperINS8_3SumESD_lEEEE10hipError_tPvRmT1_T2_T3_mT4_P12ihipStream_tbEUlT_E0_NS1_11comp_targetILNS1_3genE10ELNS1_11target_archE1200ELNS1_3gpuE4ELNS1_3repE0EEENS1_30default_config_static_selectorELNS0_4arch9wavefront6targetE1EEEvSM_
                                        ; -- End function
	.set _ZN7rocprim17ROCPRIM_400000_NS6detail17trampoline_kernelINS0_14default_configENS1_22reduce_config_selectorIbEEZNS1_11reduce_implILb1ES3_N6hipcub16HIPCUB_304000_NS22TransformInputIteratorIb7NonZeroIiEPilEEPllNS8_6detail34convert_binary_result_type_wrapperINS8_3SumESD_lEEEE10hipError_tPvRmT1_T2_T3_mT4_P12ihipStream_tbEUlT_E0_NS1_11comp_targetILNS1_3genE10ELNS1_11target_archE1200ELNS1_3gpuE4ELNS1_3repE0EEENS1_30default_config_static_selectorELNS0_4arch9wavefront6targetE1EEEvSM_.num_vgpr, 0
	.set _ZN7rocprim17ROCPRIM_400000_NS6detail17trampoline_kernelINS0_14default_configENS1_22reduce_config_selectorIbEEZNS1_11reduce_implILb1ES3_N6hipcub16HIPCUB_304000_NS22TransformInputIteratorIb7NonZeroIiEPilEEPllNS8_6detail34convert_binary_result_type_wrapperINS8_3SumESD_lEEEE10hipError_tPvRmT1_T2_T3_mT4_P12ihipStream_tbEUlT_E0_NS1_11comp_targetILNS1_3genE10ELNS1_11target_archE1200ELNS1_3gpuE4ELNS1_3repE0EEENS1_30default_config_static_selectorELNS0_4arch9wavefront6targetE1EEEvSM_.num_agpr, 0
	.set _ZN7rocprim17ROCPRIM_400000_NS6detail17trampoline_kernelINS0_14default_configENS1_22reduce_config_selectorIbEEZNS1_11reduce_implILb1ES3_N6hipcub16HIPCUB_304000_NS22TransformInputIteratorIb7NonZeroIiEPilEEPllNS8_6detail34convert_binary_result_type_wrapperINS8_3SumESD_lEEEE10hipError_tPvRmT1_T2_T3_mT4_P12ihipStream_tbEUlT_E0_NS1_11comp_targetILNS1_3genE10ELNS1_11target_archE1200ELNS1_3gpuE4ELNS1_3repE0EEENS1_30default_config_static_selectorELNS0_4arch9wavefront6targetE1EEEvSM_.numbered_sgpr, 0
	.set _ZN7rocprim17ROCPRIM_400000_NS6detail17trampoline_kernelINS0_14default_configENS1_22reduce_config_selectorIbEEZNS1_11reduce_implILb1ES3_N6hipcub16HIPCUB_304000_NS22TransformInputIteratorIb7NonZeroIiEPilEEPllNS8_6detail34convert_binary_result_type_wrapperINS8_3SumESD_lEEEE10hipError_tPvRmT1_T2_T3_mT4_P12ihipStream_tbEUlT_E0_NS1_11comp_targetILNS1_3genE10ELNS1_11target_archE1200ELNS1_3gpuE4ELNS1_3repE0EEENS1_30default_config_static_selectorELNS0_4arch9wavefront6targetE1EEEvSM_.num_named_barrier, 0
	.set _ZN7rocprim17ROCPRIM_400000_NS6detail17trampoline_kernelINS0_14default_configENS1_22reduce_config_selectorIbEEZNS1_11reduce_implILb1ES3_N6hipcub16HIPCUB_304000_NS22TransformInputIteratorIb7NonZeroIiEPilEEPllNS8_6detail34convert_binary_result_type_wrapperINS8_3SumESD_lEEEE10hipError_tPvRmT1_T2_T3_mT4_P12ihipStream_tbEUlT_E0_NS1_11comp_targetILNS1_3genE10ELNS1_11target_archE1200ELNS1_3gpuE4ELNS1_3repE0EEENS1_30default_config_static_selectorELNS0_4arch9wavefront6targetE1EEEvSM_.private_seg_size, 0
	.set _ZN7rocprim17ROCPRIM_400000_NS6detail17trampoline_kernelINS0_14default_configENS1_22reduce_config_selectorIbEEZNS1_11reduce_implILb1ES3_N6hipcub16HIPCUB_304000_NS22TransformInputIteratorIb7NonZeroIiEPilEEPllNS8_6detail34convert_binary_result_type_wrapperINS8_3SumESD_lEEEE10hipError_tPvRmT1_T2_T3_mT4_P12ihipStream_tbEUlT_E0_NS1_11comp_targetILNS1_3genE10ELNS1_11target_archE1200ELNS1_3gpuE4ELNS1_3repE0EEENS1_30default_config_static_selectorELNS0_4arch9wavefront6targetE1EEEvSM_.uses_vcc, 0
	.set _ZN7rocprim17ROCPRIM_400000_NS6detail17trampoline_kernelINS0_14default_configENS1_22reduce_config_selectorIbEEZNS1_11reduce_implILb1ES3_N6hipcub16HIPCUB_304000_NS22TransformInputIteratorIb7NonZeroIiEPilEEPllNS8_6detail34convert_binary_result_type_wrapperINS8_3SumESD_lEEEE10hipError_tPvRmT1_T2_T3_mT4_P12ihipStream_tbEUlT_E0_NS1_11comp_targetILNS1_3genE10ELNS1_11target_archE1200ELNS1_3gpuE4ELNS1_3repE0EEENS1_30default_config_static_selectorELNS0_4arch9wavefront6targetE1EEEvSM_.uses_flat_scratch, 0
	.set _ZN7rocprim17ROCPRIM_400000_NS6detail17trampoline_kernelINS0_14default_configENS1_22reduce_config_selectorIbEEZNS1_11reduce_implILb1ES3_N6hipcub16HIPCUB_304000_NS22TransformInputIteratorIb7NonZeroIiEPilEEPllNS8_6detail34convert_binary_result_type_wrapperINS8_3SumESD_lEEEE10hipError_tPvRmT1_T2_T3_mT4_P12ihipStream_tbEUlT_E0_NS1_11comp_targetILNS1_3genE10ELNS1_11target_archE1200ELNS1_3gpuE4ELNS1_3repE0EEENS1_30default_config_static_selectorELNS0_4arch9wavefront6targetE1EEEvSM_.has_dyn_sized_stack, 0
	.set _ZN7rocprim17ROCPRIM_400000_NS6detail17trampoline_kernelINS0_14default_configENS1_22reduce_config_selectorIbEEZNS1_11reduce_implILb1ES3_N6hipcub16HIPCUB_304000_NS22TransformInputIteratorIb7NonZeroIiEPilEEPllNS8_6detail34convert_binary_result_type_wrapperINS8_3SumESD_lEEEE10hipError_tPvRmT1_T2_T3_mT4_P12ihipStream_tbEUlT_E0_NS1_11comp_targetILNS1_3genE10ELNS1_11target_archE1200ELNS1_3gpuE4ELNS1_3repE0EEENS1_30default_config_static_selectorELNS0_4arch9wavefront6targetE1EEEvSM_.has_recursion, 0
	.set _ZN7rocprim17ROCPRIM_400000_NS6detail17trampoline_kernelINS0_14default_configENS1_22reduce_config_selectorIbEEZNS1_11reduce_implILb1ES3_N6hipcub16HIPCUB_304000_NS22TransformInputIteratorIb7NonZeroIiEPilEEPllNS8_6detail34convert_binary_result_type_wrapperINS8_3SumESD_lEEEE10hipError_tPvRmT1_T2_T3_mT4_P12ihipStream_tbEUlT_E0_NS1_11comp_targetILNS1_3genE10ELNS1_11target_archE1200ELNS1_3gpuE4ELNS1_3repE0EEENS1_30default_config_static_selectorELNS0_4arch9wavefront6targetE1EEEvSM_.has_indirect_call, 0
	.section	.AMDGPU.csdata,"",@progbits
; Kernel info:
; codeLenInByte = 0
; TotalNumSgprs: 6
; NumVgprs: 0
; NumAgprs: 0
; TotalNumVgprs: 0
; ScratchSize: 0
; MemoryBound: 0
; FloatMode: 240
; IeeeMode: 1
; LDSByteSize: 0 bytes/workgroup (compile time only)
; SGPRBlocks: 0
; VGPRBlocks: 0
; NumSGPRsForWavesPerEU: 6
; NumVGPRsForWavesPerEU: 1
; AccumOffset: 4
; Occupancy: 8
; WaveLimiterHint : 0
; COMPUTE_PGM_RSRC2:SCRATCH_EN: 0
; COMPUTE_PGM_RSRC2:USER_SGPR: 2
; COMPUTE_PGM_RSRC2:TRAP_HANDLER: 0
; COMPUTE_PGM_RSRC2:TGID_X_EN: 1
; COMPUTE_PGM_RSRC2:TGID_Y_EN: 0
; COMPUTE_PGM_RSRC2:TGID_Z_EN: 0
; COMPUTE_PGM_RSRC2:TIDIG_COMP_CNT: 0
; COMPUTE_PGM_RSRC3_GFX90A:ACCUM_OFFSET: 0
; COMPUTE_PGM_RSRC3_GFX90A:TG_SPLIT: 0
	.section	.text._ZN7rocprim17ROCPRIM_400000_NS6detail17trampoline_kernelINS0_14default_configENS1_22reduce_config_selectorIbEEZNS1_11reduce_implILb1ES3_N6hipcub16HIPCUB_304000_NS22TransformInputIteratorIb7NonZeroIiEPilEEPllNS8_6detail34convert_binary_result_type_wrapperINS8_3SumESD_lEEEE10hipError_tPvRmT1_T2_T3_mT4_P12ihipStream_tbEUlT_E0_NS1_11comp_targetILNS1_3genE9ELNS1_11target_archE1100ELNS1_3gpuE3ELNS1_3repE0EEENS1_30default_config_static_selectorELNS0_4arch9wavefront6targetE1EEEvSM_,"axG",@progbits,_ZN7rocprim17ROCPRIM_400000_NS6detail17trampoline_kernelINS0_14default_configENS1_22reduce_config_selectorIbEEZNS1_11reduce_implILb1ES3_N6hipcub16HIPCUB_304000_NS22TransformInputIteratorIb7NonZeroIiEPilEEPllNS8_6detail34convert_binary_result_type_wrapperINS8_3SumESD_lEEEE10hipError_tPvRmT1_T2_T3_mT4_P12ihipStream_tbEUlT_E0_NS1_11comp_targetILNS1_3genE9ELNS1_11target_archE1100ELNS1_3gpuE3ELNS1_3repE0EEENS1_30default_config_static_selectorELNS0_4arch9wavefront6targetE1EEEvSM_,comdat
	.protected	_ZN7rocprim17ROCPRIM_400000_NS6detail17trampoline_kernelINS0_14default_configENS1_22reduce_config_selectorIbEEZNS1_11reduce_implILb1ES3_N6hipcub16HIPCUB_304000_NS22TransformInputIteratorIb7NonZeroIiEPilEEPllNS8_6detail34convert_binary_result_type_wrapperINS8_3SumESD_lEEEE10hipError_tPvRmT1_T2_T3_mT4_P12ihipStream_tbEUlT_E0_NS1_11comp_targetILNS1_3genE9ELNS1_11target_archE1100ELNS1_3gpuE3ELNS1_3repE0EEENS1_30default_config_static_selectorELNS0_4arch9wavefront6targetE1EEEvSM_ ; -- Begin function _ZN7rocprim17ROCPRIM_400000_NS6detail17trampoline_kernelINS0_14default_configENS1_22reduce_config_selectorIbEEZNS1_11reduce_implILb1ES3_N6hipcub16HIPCUB_304000_NS22TransformInputIteratorIb7NonZeroIiEPilEEPllNS8_6detail34convert_binary_result_type_wrapperINS8_3SumESD_lEEEE10hipError_tPvRmT1_T2_T3_mT4_P12ihipStream_tbEUlT_E0_NS1_11comp_targetILNS1_3genE9ELNS1_11target_archE1100ELNS1_3gpuE3ELNS1_3repE0EEENS1_30default_config_static_selectorELNS0_4arch9wavefront6targetE1EEEvSM_
	.globl	_ZN7rocprim17ROCPRIM_400000_NS6detail17trampoline_kernelINS0_14default_configENS1_22reduce_config_selectorIbEEZNS1_11reduce_implILb1ES3_N6hipcub16HIPCUB_304000_NS22TransformInputIteratorIb7NonZeroIiEPilEEPllNS8_6detail34convert_binary_result_type_wrapperINS8_3SumESD_lEEEE10hipError_tPvRmT1_T2_T3_mT4_P12ihipStream_tbEUlT_E0_NS1_11comp_targetILNS1_3genE9ELNS1_11target_archE1100ELNS1_3gpuE3ELNS1_3repE0EEENS1_30default_config_static_selectorELNS0_4arch9wavefront6targetE1EEEvSM_
	.p2align	8
	.type	_ZN7rocprim17ROCPRIM_400000_NS6detail17trampoline_kernelINS0_14default_configENS1_22reduce_config_selectorIbEEZNS1_11reduce_implILb1ES3_N6hipcub16HIPCUB_304000_NS22TransformInputIteratorIb7NonZeroIiEPilEEPllNS8_6detail34convert_binary_result_type_wrapperINS8_3SumESD_lEEEE10hipError_tPvRmT1_T2_T3_mT4_P12ihipStream_tbEUlT_E0_NS1_11comp_targetILNS1_3genE9ELNS1_11target_archE1100ELNS1_3gpuE3ELNS1_3repE0EEENS1_30default_config_static_selectorELNS0_4arch9wavefront6targetE1EEEvSM_,@function
_ZN7rocprim17ROCPRIM_400000_NS6detail17trampoline_kernelINS0_14default_configENS1_22reduce_config_selectorIbEEZNS1_11reduce_implILb1ES3_N6hipcub16HIPCUB_304000_NS22TransformInputIteratorIb7NonZeroIiEPilEEPllNS8_6detail34convert_binary_result_type_wrapperINS8_3SumESD_lEEEE10hipError_tPvRmT1_T2_T3_mT4_P12ihipStream_tbEUlT_E0_NS1_11comp_targetILNS1_3genE9ELNS1_11target_archE1100ELNS1_3gpuE3ELNS1_3repE0EEENS1_30default_config_static_selectorELNS0_4arch9wavefront6targetE1EEEvSM_: ; @_ZN7rocprim17ROCPRIM_400000_NS6detail17trampoline_kernelINS0_14default_configENS1_22reduce_config_selectorIbEEZNS1_11reduce_implILb1ES3_N6hipcub16HIPCUB_304000_NS22TransformInputIteratorIb7NonZeroIiEPilEEPllNS8_6detail34convert_binary_result_type_wrapperINS8_3SumESD_lEEEE10hipError_tPvRmT1_T2_T3_mT4_P12ihipStream_tbEUlT_E0_NS1_11comp_targetILNS1_3genE9ELNS1_11target_archE1100ELNS1_3gpuE3ELNS1_3repE0EEENS1_30default_config_static_selectorELNS0_4arch9wavefront6targetE1EEEvSM_
; %bb.0:
	.section	.rodata,"a",@progbits
	.p2align	6, 0x0
	.amdhsa_kernel _ZN7rocprim17ROCPRIM_400000_NS6detail17trampoline_kernelINS0_14default_configENS1_22reduce_config_selectorIbEEZNS1_11reduce_implILb1ES3_N6hipcub16HIPCUB_304000_NS22TransformInputIteratorIb7NonZeroIiEPilEEPllNS8_6detail34convert_binary_result_type_wrapperINS8_3SumESD_lEEEE10hipError_tPvRmT1_T2_T3_mT4_P12ihipStream_tbEUlT_E0_NS1_11comp_targetILNS1_3genE9ELNS1_11target_archE1100ELNS1_3gpuE3ELNS1_3repE0EEENS1_30default_config_static_selectorELNS0_4arch9wavefront6targetE1EEEvSM_
		.amdhsa_group_segment_fixed_size 0
		.amdhsa_private_segment_fixed_size 0
		.amdhsa_kernarg_size 72
		.amdhsa_user_sgpr_count 2
		.amdhsa_user_sgpr_dispatch_ptr 0
		.amdhsa_user_sgpr_queue_ptr 0
		.amdhsa_user_sgpr_kernarg_segment_ptr 1
		.amdhsa_user_sgpr_dispatch_id 0
		.amdhsa_user_sgpr_kernarg_preload_length 0
		.amdhsa_user_sgpr_kernarg_preload_offset 0
		.amdhsa_user_sgpr_private_segment_size 0
		.amdhsa_uses_dynamic_stack 0
		.amdhsa_enable_private_segment 0
		.amdhsa_system_sgpr_workgroup_id_x 1
		.amdhsa_system_sgpr_workgroup_id_y 0
		.amdhsa_system_sgpr_workgroup_id_z 0
		.amdhsa_system_sgpr_workgroup_info 0
		.amdhsa_system_vgpr_workitem_id 0
		.amdhsa_next_free_vgpr 1
		.amdhsa_next_free_sgpr 0
		.amdhsa_accum_offset 4
		.amdhsa_reserve_vcc 0
		.amdhsa_float_round_mode_32 0
		.amdhsa_float_round_mode_16_64 0
		.amdhsa_float_denorm_mode_32 3
		.amdhsa_float_denorm_mode_16_64 3
		.amdhsa_dx10_clamp 1
		.amdhsa_ieee_mode 1
		.amdhsa_fp16_overflow 0
		.amdhsa_tg_split 0
		.amdhsa_exception_fp_ieee_invalid_op 0
		.amdhsa_exception_fp_denorm_src 0
		.amdhsa_exception_fp_ieee_div_zero 0
		.amdhsa_exception_fp_ieee_overflow 0
		.amdhsa_exception_fp_ieee_underflow 0
		.amdhsa_exception_fp_ieee_inexact 0
		.amdhsa_exception_int_div_zero 0
	.end_amdhsa_kernel
	.section	.text._ZN7rocprim17ROCPRIM_400000_NS6detail17trampoline_kernelINS0_14default_configENS1_22reduce_config_selectorIbEEZNS1_11reduce_implILb1ES3_N6hipcub16HIPCUB_304000_NS22TransformInputIteratorIb7NonZeroIiEPilEEPllNS8_6detail34convert_binary_result_type_wrapperINS8_3SumESD_lEEEE10hipError_tPvRmT1_T2_T3_mT4_P12ihipStream_tbEUlT_E0_NS1_11comp_targetILNS1_3genE9ELNS1_11target_archE1100ELNS1_3gpuE3ELNS1_3repE0EEENS1_30default_config_static_selectorELNS0_4arch9wavefront6targetE1EEEvSM_,"axG",@progbits,_ZN7rocprim17ROCPRIM_400000_NS6detail17trampoline_kernelINS0_14default_configENS1_22reduce_config_selectorIbEEZNS1_11reduce_implILb1ES3_N6hipcub16HIPCUB_304000_NS22TransformInputIteratorIb7NonZeroIiEPilEEPllNS8_6detail34convert_binary_result_type_wrapperINS8_3SumESD_lEEEE10hipError_tPvRmT1_T2_T3_mT4_P12ihipStream_tbEUlT_E0_NS1_11comp_targetILNS1_3genE9ELNS1_11target_archE1100ELNS1_3gpuE3ELNS1_3repE0EEENS1_30default_config_static_selectorELNS0_4arch9wavefront6targetE1EEEvSM_,comdat
.Lfunc_end174:
	.size	_ZN7rocprim17ROCPRIM_400000_NS6detail17trampoline_kernelINS0_14default_configENS1_22reduce_config_selectorIbEEZNS1_11reduce_implILb1ES3_N6hipcub16HIPCUB_304000_NS22TransformInputIteratorIb7NonZeroIiEPilEEPllNS8_6detail34convert_binary_result_type_wrapperINS8_3SumESD_lEEEE10hipError_tPvRmT1_T2_T3_mT4_P12ihipStream_tbEUlT_E0_NS1_11comp_targetILNS1_3genE9ELNS1_11target_archE1100ELNS1_3gpuE3ELNS1_3repE0EEENS1_30default_config_static_selectorELNS0_4arch9wavefront6targetE1EEEvSM_, .Lfunc_end174-_ZN7rocprim17ROCPRIM_400000_NS6detail17trampoline_kernelINS0_14default_configENS1_22reduce_config_selectorIbEEZNS1_11reduce_implILb1ES3_N6hipcub16HIPCUB_304000_NS22TransformInputIteratorIb7NonZeroIiEPilEEPllNS8_6detail34convert_binary_result_type_wrapperINS8_3SumESD_lEEEE10hipError_tPvRmT1_T2_T3_mT4_P12ihipStream_tbEUlT_E0_NS1_11comp_targetILNS1_3genE9ELNS1_11target_archE1100ELNS1_3gpuE3ELNS1_3repE0EEENS1_30default_config_static_selectorELNS0_4arch9wavefront6targetE1EEEvSM_
                                        ; -- End function
	.set _ZN7rocprim17ROCPRIM_400000_NS6detail17trampoline_kernelINS0_14default_configENS1_22reduce_config_selectorIbEEZNS1_11reduce_implILb1ES3_N6hipcub16HIPCUB_304000_NS22TransformInputIteratorIb7NonZeroIiEPilEEPllNS8_6detail34convert_binary_result_type_wrapperINS8_3SumESD_lEEEE10hipError_tPvRmT1_T2_T3_mT4_P12ihipStream_tbEUlT_E0_NS1_11comp_targetILNS1_3genE9ELNS1_11target_archE1100ELNS1_3gpuE3ELNS1_3repE0EEENS1_30default_config_static_selectorELNS0_4arch9wavefront6targetE1EEEvSM_.num_vgpr, 0
	.set _ZN7rocprim17ROCPRIM_400000_NS6detail17trampoline_kernelINS0_14default_configENS1_22reduce_config_selectorIbEEZNS1_11reduce_implILb1ES3_N6hipcub16HIPCUB_304000_NS22TransformInputIteratorIb7NonZeroIiEPilEEPllNS8_6detail34convert_binary_result_type_wrapperINS8_3SumESD_lEEEE10hipError_tPvRmT1_T2_T3_mT4_P12ihipStream_tbEUlT_E0_NS1_11comp_targetILNS1_3genE9ELNS1_11target_archE1100ELNS1_3gpuE3ELNS1_3repE0EEENS1_30default_config_static_selectorELNS0_4arch9wavefront6targetE1EEEvSM_.num_agpr, 0
	.set _ZN7rocprim17ROCPRIM_400000_NS6detail17trampoline_kernelINS0_14default_configENS1_22reduce_config_selectorIbEEZNS1_11reduce_implILb1ES3_N6hipcub16HIPCUB_304000_NS22TransformInputIteratorIb7NonZeroIiEPilEEPllNS8_6detail34convert_binary_result_type_wrapperINS8_3SumESD_lEEEE10hipError_tPvRmT1_T2_T3_mT4_P12ihipStream_tbEUlT_E0_NS1_11comp_targetILNS1_3genE9ELNS1_11target_archE1100ELNS1_3gpuE3ELNS1_3repE0EEENS1_30default_config_static_selectorELNS0_4arch9wavefront6targetE1EEEvSM_.numbered_sgpr, 0
	.set _ZN7rocprim17ROCPRIM_400000_NS6detail17trampoline_kernelINS0_14default_configENS1_22reduce_config_selectorIbEEZNS1_11reduce_implILb1ES3_N6hipcub16HIPCUB_304000_NS22TransformInputIteratorIb7NonZeroIiEPilEEPllNS8_6detail34convert_binary_result_type_wrapperINS8_3SumESD_lEEEE10hipError_tPvRmT1_T2_T3_mT4_P12ihipStream_tbEUlT_E0_NS1_11comp_targetILNS1_3genE9ELNS1_11target_archE1100ELNS1_3gpuE3ELNS1_3repE0EEENS1_30default_config_static_selectorELNS0_4arch9wavefront6targetE1EEEvSM_.num_named_barrier, 0
	.set _ZN7rocprim17ROCPRIM_400000_NS6detail17trampoline_kernelINS0_14default_configENS1_22reduce_config_selectorIbEEZNS1_11reduce_implILb1ES3_N6hipcub16HIPCUB_304000_NS22TransformInputIteratorIb7NonZeroIiEPilEEPllNS8_6detail34convert_binary_result_type_wrapperINS8_3SumESD_lEEEE10hipError_tPvRmT1_T2_T3_mT4_P12ihipStream_tbEUlT_E0_NS1_11comp_targetILNS1_3genE9ELNS1_11target_archE1100ELNS1_3gpuE3ELNS1_3repE0EEENS1_30default_config_static_selectorELNS0_4arch9wavefront6targetE1EEEvSM_.private_seg_size, 0
	.set _ZN7rocprim17ROCPRIM_400000_NS6detail17trampoline_kernelINS0_14default_configENS1_22reduce_config_selectorIbEEZNS1_11reduce_implILb1ES3_N6hipcub16HIPCUB_304000_NS22TransformInputIteratorIb7NonZeroIiEPilEEPllNS8_6detail34convert_binary_result_type_wrapperINS8_3SumESD_lEEEE10hipError_tPvRmT1_T2_T3_mT4_P12ihipStream_tbEUlT_E0_NS1_11comp_targetILNS1_3genE9ELNS1_11target_archE1100ELNS1_3gpuE3ELNS1_3repE0EEENS1_30default_config_static_selectorELNS0_4arch9wavefront6targetE1EEEvSM_.uses_vcc, 0
	.set _ZN7rocprim17ROCPRIM_400000_NS6detail17trampoline_kernelINS0_14default_configENS1_22reduce_config_selectorIbEEZNS1_11reduce_implILb1ES3_N6hipcub16HIPCUB_304000_NS22TransformInputIteratorIb7NonZeroIiEPilEEPllNS8_6detail34convert_binary_result_type_wrapperINS8_3SumESD_lEEEE10hipError_tPvRmT1_T2_T3_mT4_P12ihipStream_tbEUlT_E0_NS1_11comp_targetILNS1_3genE9ELNS1_11target_archE1100ELNS1_3gpuE3ELNS1_3repE0EEENS1_30default_config_static_selectorELNS0_4arch9wavefront6targetE1EEEvSM_.uses_flat_scratch, 0
	.set _ZN7rocprim17ROCPRIM_400000_NS6detail17trampoline_kernelINS0_14default_configENS1_22reduce_config_selectorIbEEZNS1_11reduce_implILb1ES3_N6hipcub16HIPCUB_304000_NS22TransformInputIteratorIb7NonZeroIiEPilEEPllNS8_6detail34convert_binary_result_type_wrapperINS8_3SumESD_lEEEE10hipError_tPvRmT1_T2_T3_mT4_P12ihipStream_tbEUlT_E0_NS1_11comp_targetILNS1_3genE9ELNS1_11target_archE1100ELNS1_3gpuE3ELNS1_3repE0EEENS1_30default_config_static_selectorELNS0_4arch9wavefront6targetE1EEEvSM_.has_dyn_sized_stack, 0
	.set _ZN7rocprim17ROCPRIM_400000_NS6detail17trampoline_kernelINS0_14default_configENS1_22reduce_config_selectorIbEEZNS1_11reduce_implILb1ES3_N6hipcub16HIPCUB_304000_NS22TransformInputIteratorIb7NonZeroIiEPilEEPllNS8_6detail34convert_binary_result_type_wrapperINS8_3SumESD_lEEEE10hipError_tPvRmT1_T2_T3_mT4_P12ihipStream_tbEUlT_E0_NS1_11comp_targetILNS1_3genE9ELNS1_11target_archE1100ELNS1_3gpuE3ELNS1_3repE0EEENS1_30default_config_static_selectorELNS0_4arch9wavefront6targetE1EEEvSM_.has_recursion, 0
	.set _ZN7rocprim17ROCPRIM_400000_NS6detail17trampoline_kernelINS0_14default_configENS1_22reduce_config_selectorIbEEZNS1_11reduce_implILb1ES3_N6hipcub16HIPCUB_304000_NS22TransformInputIteratorIb7NonZeroIiEPilEEPllNS8_6detail34convert_binary_result_type_wrapperINS8_3SumESD_lEEEE10hipError_tPvRmT1_T2_T3_mT4_P12ihipStream_tbEUlT_E0_NS1_11comp_targetILNS1_3genE9ELNS1_11target_archE1100ELNS1_3gpuE3ELNS1_3repE0EEENS1_30default_config_static_selectorELNS0_4arch9wavefront6targetE1EEEvSM_.has_indirect_call, 0
	.section	.AMDGPU.csdata,"",@progbits
; Kernel info:
; codeLenInByte = 0
; TotalNumSgprs: 6
; NumVgprs: 0
; NumAgprs: 0
; TotalNumVgprs: 0
; ScratchSize: 0
; MemoryBound: 0
; FloatMode: 240
; IeeeMode: 1
; LDSByteSize: 0 bytes/workgroup (compile time only)
; SGPRBlocks: 0
; VGPRBlocks: 0
; NumSGPRsForWavesPerEU: 6
; NumVGPRsForWavesPerEU: 1
; AccumOffset: 4
; Occupancy: 8
; WaveLimiterHint : 0
; COMPUTE_PGM_RSRC2:SCRATCH_EN: 0
; COMPUTE_PGM_RSRC2:USER_SGPR: 2
; COMPUTE_PGM_RSRC2:TRAP_HANDLER: 0
; COMPUTE_PGM_RSRC2:TGID_X_EN: 1
; COMPUTE_PGM_RSRC2:TGID_Y_EN: 0
; COMPUTE_PGM_RSRC2:TGID_Z_EN: 0
; COMPUTE_PGM_RSRC2:TIDIG_COMP_CNT: 0
; COMPUTE_PGM_RSRC3_GFX90A:ACCUM_OFFSET: 0
; COMPUTE_PGM_RSRC3_GFX90A:TG_SPLIT: 0
	.section	.text._ZN7rocprim17ROCPRIM_400000_NS6detail17trampoline_kernelINS0_14default_configENS1_22reduce_config_selectorIbEEZNS1_11reduce_implILb1ES3_N6hipcub16HIPCUB_304000_NS22TransformInputIteratorIb7NonZeroIiEPilEEPllNS8_6detail34convert_binary_result_type_wrapperINS8_3SumESD_lEEEE10hipError_tPvRmT1_T2_T3_mT4_P12ihipStream_tbEUlT_E0_NS1_11comp_targetILNS1_3genE8ELNS1_11target_archE1030ELNS1_3gpuE2ELNS1_3repE0EEENS1_30default_config_static_selectorELNS0_4arch9wavefront6targetE1EEEvSM_,"axG",@progbits,_ZN7rocprim17ROCPRIM_400000_NS6detail17trampoline_kernelINS0_14default_configENS1_22reduce_config_selectorIbEEZNS1_11reduce_implILb1ES3_N6hipcub16HIPCUB_304000_NS22TransformInputIteratorIb7NonZeroIiEPilEEPllNS8_6detail34convert_binary_result_type_wrapperINS8_3SumESD_lEEEE10hipError_tPvRmT1_T2_T3_mT4_P12ihipStream_tbEUlT_E0_NS1_11comp_targetILNS1_3genE8ELNS1_11target_archE1030ELNS1_3gpuE2ELNS1_3repE0EEENS1_30default_config_static_selectorELNS0_4arch9wavefront6targetE1EEEvSM_,comdat
	.protected	_ZN7rocprim17ROCPRIM_400000_NS6detail17trampoline_kernelINS0_14default_configENS1_22reduce_config_selectorIbEEZNS1_11reduce_implILb1ES3_N6hipcub16HIPCUB_304000_NS22TransformInputIteratorIb7NonZeroIiEPilEEPllNS8_6detail34convert_binary_result_type_wrapperINS8_3SumESD_lEEEE10hipError_tPvRmT1_T2_T3_mT4_P12ihipStream_tbEUlT_E0_NS1_11comp_targetILNS1_3genE8ELNS1_11target_archE1030ELNS1_3gpuE2ELNS1_3repE0EEENS1_30default_config_static_selectorELNS0_4arch9wavefront6targetE1EEEvSM_ ; -- Begin function _ZN7rocprim17ROCPRIM_400000_NS6detail17trampoline_kernelINS0_14default_configENS1_22reduce_config_selectorIbEEZNS1_11reduce_implILb1ES3_N6hipcub16HIPCUB_304000_NS22TransformInputIteratorIb7NonZeroIiEPilEEPllNS8_6detail34convert_binary_result_type_wrapperINS8_3SumESD_lEEEE10hipError_tPvRmT1_T2_T3_mT4_P12ihipStream_tbEUlT_E0_NS1_11comp_targetILNS1_3genE8ELNS1_11target_archE1030ELNS1_3gpuE2ELNS1_3repE0EEENS1_30default_config_static_selectorELNS0_4arch9wavefront6targetE1EEEvSM_
	.globl	_ZN7rocprim17ROCPRIM_400000_NS6detail17trampoline_kernelINS0_14default_configENS1_22reduce_config_selectorIbEEZNS1_11reduce_implILb1ES3_N6hipcub16HIPCUB_304000_NS22TransformInputIteratorIb7NonZeroIiEPilEEPllNS8_6detail34convert_binary_result_type_wrapperINS8_3SumESD_lEEEE10hipError_tPvRmT1_T2_T3_mT4_P12ihipStream_tbEUlT_E0_NS1_11comp_targetILNS1_3genE8ELNS1_11target_archE1030ELNS1_3gpuE2ELNS1_3repE0EEENS1_30default_config_static_selectorELNS0_4arch9wavefront6targetE1EEEvSM_
	.p2align	8
	.type	_ZN7rocprim17ROCPRIM_400000_NS6detail17trampoline_kernelINS0_14default_configENS1_22reduce_config_selectorIbEEZNS1_11reduce_implILb1ES3_N6hipcub16HIPCUB_304000_NS22TransformInputIteratorIb7NonZeroIiEPilEEPllNS8_6detail34convert_binary_result_type_wrapperINS8_3SumESD_lEEEE10hipError_tPvRmT1_T2_T3_mT4_P12ihipStream_tbEUlT_E0_NS1_11comp_targetILNS1_3genE8ELNS1_11target_archE1030ELNS1_3gpuE2ELNS1_3repE0EEENS1_30default_config_static_selectorELNS0_4arch9wavefront6targetE1EEEvSM_,@function
_ZN7rocprim17ROCPRIM_400000_NS6detail17trampoline_kernelINS0_14default_configENS1_22reduce_config_selectorIbEEZNS1_11reduce_implILb1ES3_N6hipcub16HIPCUB_304000_NS22TransformInputIteratorIb7NonZeroIiEPilEEPllNS8_6detail34convert_binary_result_type_wrapperINS8_3SumESD_lEEEE10hipError_tPvRmT1_T2_T3_mT4_P12ihipStream_tbEUlT_E0_NS1_11comp_targetILNS1_3genE8ELNS1_11target_archE1030ELNS1_3gpuE2ELNS1_3repE0EEENS1_30default_config_static_selectorELNS0_4arch9wavefront6targetE1EEEvSM_: ; @_ZN7rocprim17ROCPRIM_400000_NS6detail17trampoline_kernelINS0_14default_configENS1_22reduce_config_selectorIbEEZNS1_11reduce_implILb1ES3_N6hipcub16HIPCUB_304000_NS22TransformInputIteratorIb7NonZeroIiEPilEEPllNS8_6detail34convert_binary_result_type_wrapperINS8_3SumESD_lEEEE10hipError_tPvRmT1_T2_T3_mT4_P12ihipStream_tbEUlT_E0_NS1_11comp_targetILNS1_3genE8ELNS1_11target_archE1030ELNS1_3gpuE2ELNS1_3repE0EEENS1_30default_config_static_selectorELNS0_4arch9wavefront6targetE1EEEvSM_
; %bb.0:
	.section	.rodata,"a",@progbits
	.p2align	6, 0x0
	.amdhsa_kernel _ZN7rocprim17ROCPRIM_400000_NS6detail17trampoline_kernelINS0_14default_configENS1_22reduce_config_selectorIbEEZNS1_11reduce_implILb1ES3_N6hipcub16HIPCUB_304000_NS22TransformInputIteratorIb7NonZeroIiEPilEEPllNS8_6detail34convert_binary_result_type_wrapperINS8_3SumESD_lEEEE10hipError_tPvRmT1_T2_T3_mT4_P12ihipStream_tbEUlT_E0_NS1_11comp_targetILNS1_3genE8ELNS1_11target_archE1030ELNS1_3gpuE2ELNS1_3repE0EEENS1_30default_config_static_selectorELNS0_4arch9wavefront6targetE1EEEvSM_
		.amdhsa_group_segment_fixed_size 0
		.amdhsa_private_segment_fixed_size 0
		.amdhsa_kernarg_size 72
		.amdhsa_user_sgpr_count 2
		.amdhsa_user_sgpr_dispatch_ptr 0
		.amdhsa_user_sgpr_queue_ptr 0
		.amdhsa_user_sgpr_kernarg_segment_ptr 1
		.amdhsa_user_sgpr_dispatch_id 0
		.amdhsa_user_sgpr_kernarg_preload_length 0
		.amdhsa_user_sgpr_kernarg_preload_offset 0
		.amdhsa_user_sgpr_private_segment_size 0
		.amdhsa_uses_dynamic_stack 0
		.amdhsa_enable_private_segment 0
		.amdhsa_system_sgpr_workgroup_id_x 1
		.amdhsa_system_sgpr_workgroup_id_y 0
		.amdhsa_system_sgpr_workgroup_id_z 0
		.amdhsa_system_sgpr_workgroup_info 0
		.amdhsa_system_vgpr_workitem_id 0
		.amdhsa_next_free_vgpr 1
		.amdhsa_next_free_sgpr 0
		.amdhsa_accum_offset 4
		.amdhsa_reserve_vcc 0
		.amdhsa_float_round_mode_32 0
		.amdhsa_float_round_mode_16_64 0
		.amdhsa_float_denorm_mode_32 3
		.amdhsa_float_denorm_mode_16_64 3
		.amdhsa_dx10_clamp 1
		.amdhsa_ieee_mode 1
		.amdhsa_fp16_overflow 0
		.amdhsa_tg_split 0
		.amdhsa_exception_fp_ieee_invalid_op 0
		.amdhsa_exception_fp_denorm_src 0
		.amdhsa_exception_fp_ieee_div_zero 0
		.amdhsa_exception_fp_ieee_overflow 0
		.amdhsa_exception_fp_ieee_underflow 0
		.amdhsa_exception_fp_ieee_inexact 0
		.amdhsa_exception_int_div_zero 0
	.end_amdhsa_kernel
	.section	.text._ZN7rocprim17ROCPRIM_400000_NS6detail17trampoline_kernelINS0_14default_configENS1_22reduce_config_selectorIbEEZNS1_11reduce_implILb1ES3_N6hipcub16HIPCUB_304000_NS22TransformInputIteratorIb7NonZeroIiEPilEEPllNS8_6detail34convert_binary_result_type_wrapperINS8_3SumESD_lEEEE10hipError_tPvRmT1_T2_T3_mT4_P12ihipStream_tbEUlT_E0_NS1_11comp_targetILNS1_3genE8ELNS1_11target_archE1030ELNS1_3gpuE2ELNS1_3repE0EEENS1_30default_config_static_selectorELNS0_4arch9wavefront6targetE1EEEvSM_,"axG",@progbits,_ZN7rocprim17ROCPRIM_400000_NS6detail17trampoline_kernelINS0_14default_configENS1_22reduce_config_selectorIbEEZNS1_11reduce_implILb1ES3_N6hipcub16HIPCUB_304000_NS22TransformInputIteratorIb7NonZeroIiEPilEEPllNS8_6detail34convert_binary_result_type_wrapperINS8_3SumESD_lEEEE10hipError_tPvRmT1_T2_T3_mT4_P12ihipStream_tbEUlT_E0_NS1_11comp_targetILNS1_3genE8ELNS1_11target_archE1030ELNS1_3gpuE2ELNS1_3repE0EEENS1_30default_config_static_selectorELNS0_4arch9wavefront6targetE1EEEvSM_,comdat
.Lfunc_end175:
	.size	_ZN7rocprim17ROCPRIM_400000_NS6detail17trampoline_kernelINS0_14default_configENS1_22reduce_config_selectorIbEEZNS1_11reduce_implILb1ES3_N6hipcub16HIPCUB_304000_NS22TransformInputIteratorIb7NonZeroIiEPilEEPllNS8_6detail34convert_binary_result_type_wrapperINS8_3SumESD_lEEEE10hipError_tPvRmT1_T2_T3_mT4_P12ihipStream_tbEUlT_E0_NS1_11comp_targetILNS1_3genE8ELNS1_11target_archE1030ELNS1_3gpuE2ELNS1_3repE0EEENS1_30default_config_static_selectorELNS0_4arch9wavefront6targetE1EEEvSM_, .Lfunc_end175-_ZN7rocprim17ROCPRIM_400000_NS6detail17trampoline_kernelINS0_14default_configENS1_22reduce_config_selectorIbEEZNS1_11reduce_implILb1ES3_N6hipcub16HIPCUB_304000_NS22TransformInputIteratorIb7NonZeroIiEPilEEPllNS8_6detail34convert_binary_result_type_wrapperINS8_3SumESD_lEEEE10hipError_tPvRmT1_T2_T3_mT4_P12ihipStream_tbEUlT_E0_NS1_11comp_targetILNS1_3genE8ELNS1_11target_archE1030ELNS1_3gpuE2ELNS1_3repE0EEENS1_30default_config_static_selectorELNS0_4arch9wavefront6targetE1EEEvSM_
                                        ; -- End function
	.set _ZN7rocprim17ROCPRIM_400000_NS6detail17trampoline_kernelINS0_14default_configENS1_22reduce_config_selectorIbEEZNS1_11reduce_implILb1ES3_N6hipcub16HIPCUB_304000_NS22TransformInputIteratorIb7NonZeroIiEPilEEPllNS8_6detail34convert_binary_result_type_wrapperINS8_3SumESD_lEEEE10hipError_tPvRmT1_T2_T3_mT4_P12ihipStream_tbEUlT_E0_NS1_11comp_targetILNS1_3genE8ELNS1_11target_archE1030ELNS1_3gpuE2ELNS1_3repE0EEENS1_30default_config_static_selectorELNS0_4arch9wavefront6targetE1EEEvSM_.num_vgpr, 0
	.set _ZN7rocprim17ROCPRIM_400000_NS6detail17trampoline_kernelINS0_14default_configENS1_22reduce_config_selectorIbEEZNS1_11reduce_implILb1ES3_N6hipcub16HIPCUB_304000_NS22TransformInputIteratorIb7NonZeroIiEPilEEPllNS8_6detail34convert_binary_result_type_wrapperINS8_3SumESD_lEEEE10hipError_tPvRmT1_T2_T3_mT4_P12ihipStream_tbEUlT_E0_NS1_11comp_targetILNS1_3genE8ELNS1_11target_archE1030ELNS1_3gpuE2ELNS1_3repE0EEENS1_30default_config_static_selectorELNS0_4arch9wavefront6targetE1EEEvSM_.num_agpr, 0
	.set _ZN7rocprim17ROCPRIM_400000_NS6detail17trampoline_kernelINS0_14default_configENS1_22reduce_config_selectorIbEEZNS1_11reduce_implILb1ES3_N6hipcub16HIPCUB_304000_NS22TransformInputIteratorIb7NonZeroIiEPilEEPllNS8_6detail34convert_binary_result_type_wrapperINS8_3SumESD_lEEEE10hipError_tPvRmT1_T2_T3_mT4_P12ihipStream_tbEUlT_E0_NS1_11comp_targetILNS1_3genE8ELNS1_11target_archE1030ELNS1_3gpuE2ELNS1_3repE0EEENS1_30default_config_static_selectorELNS0_4arch9wavefront6targetE1EEEvSM_.numbered_sgpr, 0
	.set _ZN7rocprim17ROCPRIM_400000_NS6detail17trampoline_kernelINS0_14default_configENS1_22reduce_config_selectorIbEEZNS1_11reduce_implILb1ES3_N6hipcub16HIPCUB_304000_NS22TransformInputIteratorIb7NonZeroIiEPilEEPllNS8_6detail34convert_binary_result_type_wrapperINS8_3SumESD_lEEEE10hipError_tPvRmT1_T2_T3_mT4_P12ihipStream_tbEUlT_E0_NS1_11comp_targetILNS1_3genE8ELNS1_11target_archE1030ELNS1_3gpuE2ELNS1_3repE0EEENS1_30default_config_static_selectorELNS0_4arch9wavefront6targetE1EEEvSM_.num_named_barrier, 0
	.set _ZN7rocprim17ROCPRIM_400000_NS6detail17trampoline_kernelINS0_14default_configENS1_22reduce_config_selectorIbEEZNS1_11reduce_implILb1ES3_N6hipcub16HIPCUB_304000_NS22TransformInputIteratorIb7NonZeroIiEPilEEPllNS8_6detail34convert_binary_result_type_wrapperINS8_3SumESD_lEEEE10hipError_tPvRmT1_T2_T3_mT4_P12ihipStream_tbEUlT_E0_NS1_11comp_targetILNS1_3genE8ELNS1_11target_archE1030ELNS1_3gpuE2ELNS1_3repE0EEENS1_30default_config_static_selectorELNS0_4arch9wavefront6targetE1EEEvSM_.private_seg_size, 0
	.set _ZN7rocprim17ROCPRIM_400000_NS6detail17trampoline_kernelINS0_14default_configENS1_22reduce_config_selectorIbEEZNS1_11reduce_implILb1ES3_N6hipcub16HIPCUB_304000_NS22TransformInputIteratorIb7NonZeroIiEPilEEPllNS8_6detail34convert_binary_result_type_wrapperINS8_3SumESD_lEEEE10hipError_tPvRmT1_T2_T3_mT4_P12ihipStream_tbEUlT_E0_NS1_11comp_targetILNS1_3genE8ELNS1_11target_archE1030ELNS1_3gpuE2ELNS1_3repE0EEENS1_30default_config_static_selectorELNS0_4arch9wavefront6targetE1EEEvSM_.uses_vcc, 0
	.set _ZN7rocprim17ROCPRIM_400000_NS6detail17trampoline_kernelINS0_14default_configENS1_22reduce_config_selectorIbEEZNS1_11reduce_implILb1ES3_N6hipcub16HIPCUB_304000_NS22TransformInputIteratorIb7NonZeroIiEPilEEPllNS8_6detail34convert_binary_result_type_wrapperINS8_3SumESD_lEEEE10hipError_tPvRmT1_T2_T3_mT4_P12ihipStream_tbEUlT_E0_NS1_11comp_targetILNS1_3genE8ELNS1_11target_archE1030ELNS1_3gpuE2ELNS1_3repE0EEENS1_30default_config_static_selectorELNS0_4arch9wavefront6targetE1EEEvSM_.uses_flat_scratch, 0
	.set _ZN7rocprim17ROCPRIM_400000_NS6detail17trampoline_kernelINS0_14default_configENS1_22reduce_config_selectorIbEEZNS1_11reduce_implILb1ES3_N6hipcub16HIPCUB_304000_NS22TransformInputIteratorIb7NonZeroIiEPilEEPllNS8_6detail34convert_binary_result_type_wrapperINS8_3SumESD_lEEEE10hipError_tPvRmT1_T2_T3_mT4_P12ihipStream_tbEUlT_E0_NS1_11comp_targetILNS1_3genE8ELNS1_11target_archE1030ELNS1_3gpuE2ELNS1_3repE0EEENS1_30default_config_static_selectorELNS0_4arch9wavefront6targetE1EEEvSM_.has_dyn_sized_stack, 0
	.set _ZN7rocprim17ROCPRIM_400000_NS6detail17trampoline_kernelINS0_14default_configENS1_22reduce_config_selectorIbEEZNS1_11reduce_implILb1ES3_N6hipcub16HIPCUB_304000_NS22TransformInputIteratorIb7NonZeroIiEPilEEPllNS8_6detail34convert_binary_result_type_wrapperINS8_3SumESD_lEEEE10hipError_tPvRmT1_T2_T3_mT4_P12ihipStream_tbEUlT_E0_NS1_11comp_targetILNS1_3genE8ELNS1_11target_archE1030ELNS1_3gpuE2ELNS1_3repE0EEENS1_30default_config_static_selectorELNS0_4arch9wavefront6targetE1EEEvSM_.has_recursion, 0
	.set _ZN7rocprim17ROCPRIM_400000_NS6detail17trampoline_kernelINS0_14default_configENS1_22reduce_config_selectorIbEEZNS1_11reduce_implILb1ES3_N6hipcub16HIPCUB_304000_NS22TransformInputIteratorIb7NonZeroIiEPilEEPllNS8_6detail34convert_binary_result_type_wrapperINS8_3SumESD_lEEEE10hipError_tPvRmT1_T2_T3_mT4_P12ihipStream_tbEUlT_E0_NS1_11comp_targetILNS1_3genE8ELNS1_11target_archE1030ELNS1_3gpuE2ELNS1_3repE0EEENS1_30default_config_static_selectorELNS0_4arch9wavefront6targetE1EEEvSM_.has_indirect_call, 0
	.section	.AMDGPU.csdata,"",@progbits
; Kernel info:
; codeLenInByte = 0
; TotalNumSgprs: 6
; NumVgprs: 0
; NumAgprs: 0
; TotalNumVgprs: 0
; ScratchSize: 0
; MemoryBound: 0
; FloatMode: 240
; IeeeMode: 1
; LDSByteSize: 0 bytes/workgroup (compile time only)
; SGPRBlocks: 0
; VGPRBlocks: 0
; NumSGPRsForWavesPerEU: 6
; NumVGPRsForWavesPerEU: 1
; AccumOffset: 4
; Occupancy: 8
; WaveLimiterHint : 0
; COMPUTE_PGM_RSRC2:SCRATCH_EN: 0
; COMPUTE_PGM_RSRC2:USER_SGPR: 2
; COMPUTE_PGM_RSRC2:TRAP_HANDLER: 0
; COMPUTE_PGM_RSRC2:TGID_X_EN: 1
; COMPUTE_PGM_RSRC2:TGID_Y_EN: 0
; COMPUTE_PGM_RSRC2:TGID_Z_EN: 0
; COMPUTE_PGM_RSRC2:TIDIG_COMP_CNT: 0
; COMPUTE_PGM_RSRC3_GFX90A:ACCUM_OFFSET: 0
; COMPUTE_PGM_RSRC3_GFX90A:TG_SPLIT: 0
	.section	.text._ZN7rocprim17ROCPRIM_400000_NS6detail17trampoline_kernelINS0_14default_configENS1_22reduce_config_selectorIbEEZNS1_11reduce_implILb1ES3_N6hipcub16HIPCUB_304000_NS22TransformInputIteratorIb7NonZeroIiEPilEEPllNS8_6detail34convert_binary_result_type_wrapperINS8_3SumESD_lEEEE10hipError_tPvRmT1_T2_T3_mT4_P12ihipStream_tbEUlT_E1_NS1_11comp_targetILNS1_3genE0ELNS1_11target_archE4294967295ELNS1_3gpuE0ELNS1_3repE0EEENS1_30default_config_static_selectorELNS0_4arch9wavefront6targetE1EEEvSM_,"axG",@progbits,_ZN7rocprim17ROCPRIM_400000_NS6detail17trampoline_kernelINS0_14default_configENS1_22reduce_config_selectorIbEEZNS1_11reduce_implILb1ES3_N6hipcub16HIPCUB_304000_NS22TransformInputIteratorIb7NonZeroIiEPilEEPllNS8_6detail34convert_binary_result_type_wrapperINS8_3SumESD_lEEEE10hipError_tPvRmT1_T2_T3_mT4_P12ihipStream_tbEUlT_E1_NS1_11comp_targetILNS1_3genE0ELNS1_11target_archE4294967295ELNS1_3gpuE0ELNS1_3repE0EEENS1_30default_config_static_selectorELNS0_4arch9wavefront6targetE1EEEvSM_,comdat
	.protected	_ZN7rocprim17ROCPRIM_400000_NS6detail17trampoline_kernelINS0_14default_configENS1_22reduce_config_selectorIbEEZNS1_11reduce_implILb1ES3_N6hipcub16HIPCUB_304000_NS22TransformInputIteratorIb7NonZeroIiEPilEEPllNS8_6detail34convert_binary_result_type_wrapperINS8_3SumESD_lEEEE10hipError_tPvRmT1_T2_T3_mT4_P12ihipStream_tbEUlT_E1_NS1_11comp_targetILNS1_3genE0ELNS1_11target_archE4294967295ELNS1_3gpuE0ELNS1_3repE0EEENS1_30default_config_static_selectorELNS0_4arch9wavefront6targetE1EEEvSM_ ; -- Begin function _ZN7rocprim17ROCPRIM_400000_NS6detail17trampoline_kernelINS0_14default_configENS1_22reduce_config_selectorIbEEZNS1_11reduce_implILb1ES3_N6hipcub16HIPCUB_304000_NS22TransformInputIteratorIb7NonZeroIiEPilEEPllNS8_6detail34convert_binary_result_type_wrapperINS8_3SumESD_lEEEE10hipError_tPvRmT1_T2_T3_mT4_P12ihipStream_tbEUlT_E1_NS1_11comp_targetILNS1_3genE0ELNS1_11target_archE4294967295ELNS1_3gpuE0ELNS1_3repE0EEENS1_30default_config_static_selectorELNS0_4arch9wavefront6targetE1EEEvSM_
	.globl	_ZN7rocprim17ROCPRIM_400000_NS6detail17trampoline_kernelINS0_14default_configENS1_22reduce_config_selectorIbEEZNS1_11reduce_implILb1ES3_N6hipcub16HIPCUB_304000_NS22TransformInputIteratorIb7NonZeroIiEPilEEPllNS8_6detail34convert_binary_result_type_wrapperINS8_3SumESD_lEEEE10hipError_tPvRmT1_T2_T3_mT4_P12ihipStream_tbEUlT_E1_NS1_11comp_targetILNS1_3genE0ELNS1_11target_archE4294967295ELNS1_3gpuE0ELNS1_3repE0EEENS1_30default_config_static_selectorELNS0_4arch9wavefront6targetE1EEEvSM_
	.p2align	8
	.type	_ZN7rocprim17ROCPRIM_400000_NS6detail17trampoline_kernelINS0_14default_configENS1_22reduce_config_selectorIbEEZNS1_11reduce_implILb1ES3_N6hipcub16HIPCUB_304000_NS22TransformInputIteratorIb7NonZeroIiEPilEEPllNS8_6detail34convert_binary_result_type_wrapperINS8_3SumESD_lEEEE10hipError_tPvRmT1_T2_T3_mT4_P12ihipStream_tbEUlT_E1_NS1_11comp_targetILNS1_3genE0ELNS1_11target_archE4294967295ELNS1_3gpuE0ELNS1_3repE0EEENS1_30default_config_static_selectorELNS0_4arch9wavefront6targetE1EEEvSM_,@function
_ZN7rocprim17ROCPRIM_400000_NS6detail17trampoline_kernelINS0_14default_configENS1_22reduce_config_selectorIbEEZNS1_11reduce_implILb1ES3_N6hipcub16HIPCUB_304000_NS22TransformInputIteratorIb7NonZeroIiEPilEEPllNS8_6detail34convert_binary_result_type_wrapperINS8_3SumESD_lEEEE10hipError_tPvRmT1_T2_T3_mT4_P12ihipStream_tbEUlT_E1_NS1_11comp_targetILNS1_3genE0ELNS1_11target_archE4294967295ELNS1_3gpuE0ELNS1_3repE0EEENS1_30default_config_static_selectorELNS0_4arch9wavefront6targetE1EEEvSM_: ; @_ZN7rocprim17ROCPRIM_400000_NS6detail17trampoline_kernelINS0_14default_configENS1_22reduce_config_selectorIbEEZNS1_11reduce_implILb1ES3_N6hipcub16HIPCUB_304000_NS22TransformInputIteratorIb7NonZeroIiEPilEEPllNS8_6detail34convert_binary_result_type_wrapperINS8_3SumESD_lEEEE10hipError_tPvRmT1_T2_T3_mT4_P12ihipStream_tbEUlT_E1_NS1_11comp_targetILNS1_3genE0ELNS1_11target_archE4294967295ELNS1_3gpuE0ELNS1_3repE0EEENS1_30default_config_static_selectorELNS0_4arch9wavefront6targetE1EEEvSM_
; %bb.0:
	s_load_dword s33, s[0:1], 0x4
	s_load_dwordx2 s[40:41], s[0:1], 0x8
	s_load_dwordx4 s[36:39], s[0:1], 0x18
	s_waitcnt lgkmcnt(0)
	s_cmp_lt_i32 s33, 16
	s_cbranch_scc1 .LBB176_10
; %bb.1:
	s_cmp_gt_i32 s33, 63
	s_cbranch_scc0 .LBB176_11
; %bb.2:
	s_cmpk_gt_i32 s33, 0x7f
	s_cbranch_scc0 .LBB176_12
; %bb.3:
	s_mov_b64 s[6:7], 0
	s_cmpk_eq_i32 s33, 0x80
	s_mov_b64 s[4:5], 0
                                        ; implicit-def: $vgpr2_vgpr3
                                        ; implicit-def: $vgpr4_vgpr5
	s_cbranch_scc0 .LBB176_13
; %bb.4:
	s_mov_b32 s3, 0
	s_lshl_b32 s10, s2, 15
	s_mov_b32 s11, s3
	s_lshr_b64 s[4:5], s[36:37], 15
	s_lshl_b64 s[8:9], s[10:11], 2
	s_add_u32 s8, s40, s8
	s_addc_u32 s9, s41, s9
	s_cmp_lg_u64 s[4:5], s[2:3]
	s_cbranch_scc0 .LBB176_21
; %bb.5:
	v_lshlrev_b32_e32 v2, 2, v0
	v_mov_b32_e32 v3, 0
	global_load_dword v1, v2, s[8:9]
	global_load_dword v10, v2, s[8:9] offset:1024
	global_load_dword v6, v2, s[8:9] offset:2048
	;; [unrolled: 1-line block ×3, first 2 shown]
	v_lshl_add_u64 v[4:5], s[8:9], 0, v[2:3]
	v_add_co_u32_e32 v12, vcc, 0x1000, v4
	s_movk_i32 s5, 0x3000
	s_nop 0
	v_addc_co_u32_e32 v13, vcc, 0, v5, vcc
	global_load_dword v2, v[12:13], off
	global_load_dword v16, v[12:13], off offset:1024
	global_load_dword v17, v[12:13], off offset:2048
	;; [unrolled: 1-line block ×3, first 2 shown]
	v_add_co_u32_e32 v14, vcc, s5, v4
	s_movk_i32 s4, 0x2000
	s_nop 0
	v_addc_co_u32_e32 v15, vcc, 0, v5, vcc
	global_load_dword v19, v[14:15], off offset:-4096
	v_add_co_u32_e32 v12, vcc, s4, v4
	s_movk_i32 s5, 0x5000
	s_nop 0
	v_addc_co_u32_e32 v13, vcc, 0, v5, vcc
	global_load_dword v20, v[12:13], off offset:1024
	global_load_dword v21, v[12:13], off offset:2048
	;; [unrolled: 1-line block ×3, first 2 shown]
	global_load_dword v24, v[14:15], off
	global_load_dword v26, v[14:15], off offset:1024
	global_load_dword v28, v[14:15], off offset:2048
	v_add_co_u32_e32 v12, vcc, s5, v4
	s_movk_i32 s4, 0x4000
	s_nop 0
	v_addc_co_u32_e32 v13, vcc, 0, v5, vcc
	global_load_dword v30, v[14:15], off offset:3072
	global_load_dword v32, v[12:13], off offset:-4096
	v_add_co_u32_e32 v14, vcc, s4, v4
	s_movk_i32 s4, 0x6000
	s_nop 0
	v_addc_co_u32_e32 v15, vcc, 0, v5, vcc
	global_load_dword v34, v[14:15], off offset:1024
	global_load_dword v42, v[14:15], off offset:2048
	;; [unrolled: 1-line block ×3, first 2 shown]
	v_add_co_u32_e32 v38, vcc, s4, v4
	s_movk_i32 s5, 0x7000
	s_nop 0
	v_addc_co_u32_e32 v39, vcc, 0, v5, vcc
	v_add_co_u32_e32 v40, vcc, s5, v4
	s_mov_b32 s11, 0x1e000
	s_nop 0
	v_addc_co_u32_e32 v41, vcc, 0, v5, vcc
	v_add_co_u32_e32 v36, vcc, s11, v4
	s_mov_b32 s11, 0xa000
	s_nop 0
	v_addc_co_u32_e32 v37, vcc, 0, v5, vcc
	global_load_dword v44, v[12:13], off
	global_load_dword v45, v[12:13], off offset:1024
	global_load_dword v46, v[12:13], off offset:2048
	;; [unrolled: 1-line block ×3, first 2 shown]
	global_load_dword v50, v[40:41], off offset:-4096
	global_load_dword v52, v[38:39], off offset:1024
	global_load_dword v172, v[36:37], off offset:3072
	v_mov_b32_e32 v9, s3
	v_mov_b32_e32 v11, s3
	;; [unrolled: 1-line block ×27, first 2 shown]
	s_waitcnt vmcnt(25)
	v_cmp_ne_u32_e32 vcc, 0, v10
	v_mov_b32_e32 v95, s3
	s_waitcnt vmcnt(23)
	v_cmp_ne_u32_e64 s[4:5], 0, v8
	global_load_dword v60, v[38:39], off offset:3072
	global_load_dword v61, v[40:41], off
	global_load_dword v64, v[40:41], off offset:1024
	v_cndmask_b32_e64 v8, 0, 1, s[4:5]
	s_waitcnt vmcnt(25)
	v_cmp_ne_u32_e64 s[4:5], 0, v2
	global_load_dword v2, v[38:39], off offset:2048
	v_cndmask_b32_e64 v173, 0, 1, vcc
	v_cmp_ne_u32_e32 vcc, 0, v1
	v_cndmask_b32_e64 v10, 0, 1, s[4:5]
	s_waitcnt vmcnt(25)
	v_cmp_ne_u32_e64 s[4:5], 0, v16
	v_cndmask_b32_e64 v1, 0, 1, vcc
	v_cmp_ne_u32_e32 vcc, 0, v6
	v_cndmask_b32_e64 v6, 0, 1, s[4:5]
	s_waitcnt vmcnt(24)
	v_cmp_ne_u32_e64 s[4:5], 0, v17
	global_load_dword v65, v[40:41], off offset:2048
	global_load_dword v66, v[40:41], off offset:3072
	v_cndmask_b32_e64 v12, 0, 1, s[4:5]
	s_waitcnt vmcnt(25)
	v_cmp_ne_u32_e64 s[4:5], 0, v18
	v_mov_b32_e32 v17, s3
	v_mov_b32_e32 v41, s3
	v_cndmask_b32_e64 v14, 0, 1, s[4:5]
	s_waitcnt vmcnt(24)
	v_cmp_ne_u32_e64 s[4:5], 0, v19
	v_mov_b32_e32 v19, s3
	v_mov_b32_e32 v101, s3
	;; [unrolled: 5-line block ×11, first 2 shown]
	v_cndmask_b32_e64 v34, 0, 1, s[4:5]
	s_mov_b32 s4, 0x8000
	v_add_co_u32_e64 v38, s[4:5], s4, v4
	v_mov_b32_e32 v161, s3
	s_nop 0
	v_addc_co_u32_e64 v39, s[4:5], 0, v5, s[4:5]
	s_mov_b32 s4, 0x9000
	s_nop 0
	v_add_co_u32_e64 v56, s[4:5], s4, v4
	v_mov_b32_e32 v163, s3
	s_nop 0
	v_addc_co_u32_e64 v57, s[4:5], 0, v5, s[4:5]
	global_load_dword v67, v[56:57], off offset:-4096
	global_load_dword v68, v[38:39], off offset:1024
	global_load_dword v70, v[38:39], off offset:2048
	;; [unrolled: 1-line block ×3, first 2 shown]
	global_load_dword v76, v[56:57], off
	global_load_dword v77, v[56:57], off offset:1024
	s_waitcnt vmcnt(20)
	v_cmp_ne_u32_e64 s[4:5], 0, v42
	v_mov_b32_e32 v39, s3
	v_mov_b32_e32 v165, s3
	v_cndmask_b32_e64 v38, 0, 1, s[4:5]
	s_waitcnt vmcnt(19)
	v_cmp_ne_u32_e64 s[4:5], 0, v43
	v_mov_b32_e32 v43, s3
	v_mov_b32_e32 v177, s3
	v_cndmask_b32_e64 v40, 0, 1, s[4:5]
	;; [unrolled: 5-line block ×8, first 2 shown]
	s_waitcnt vmcnt(8)
	v_cmp_ne_u32_e64 s[4:5], 0, v2
	global_load_dword v2, v[56:57], off offset:2048
	v_mov_b32_e32 v213, s3
	v_cndmask_b32_e64 v54, 0, 1, s[4:5]
	s_mov_b32 s4, 0xb000
	v_add_co_u32_e64 v62, s[4:5], s4, v4
	v_mov_b32_e32 v215, s3
	s_nop 0
	v_addc_co_u32_e64 v63, s[4:5], 0, v5, s[4:5]
	v_add_co_u32_e64 v58, s[4:5], s11, v4
	global_load_dword v80, v[56:57], off offset:3072
	global_load_dword v82, v[62:63], off offset:-4096
	v_addc_co_u32_e64 v59, s[4:5], 0, v5, s[4:5]
	global_load_dword v84, v[58:59], off offset:1024
	global_load_dword v86, v[58:59], off offset:2048
	;; [unrolled: 1-line block ×3, first 2 shown]
	global_load_dword v90, v[62:63], off
	v_cmp_ne_u32_e64 s[4:5], 0, v60
	s_mov_b32 s11, 0xc000
	global_load_dword v92, v[62:63], off offset:1024
	global_load_dword v94, v[62:63], off offset:2048
	;; [unrolled: 1-line block ×3, first 2 shown]
	v_cndmask_b32_e64 v56, 0, 1, s[4:5]
	v_cmp_ne_u32_e64 s[4:5], 0, v61
	v_mov_b32_e32 v57, s3
	v_mov_b32_e32 v59, s3
	v_cndmask_b32_e64 v58, 0, 1, s[4:5]
	v_cmp_ne_u32_e64 s[4:5], 0, v64
	v_mov_b32_e32 v61, s3
	v_mov_b32_e32 v63, s3
	v_cndmask_b32_e64 v60, 0, 1, s[4:5]
	s_mov_b32 s4, 0xd000
	v_add_co_u32_e64 v78, s[4:5], s4, v4
	v_mov_b32_e32 v217, s3
	s_nop 0
	v_addc_co_u32_e64 v79, s[4:5], 0, v5, s[4:5]
	v_add_co_u32_e64 v74, s[4:5], s11, v4
	global_load_dword v99, v[78:79], off offset:-4096
	global_load_dword v107, v[78:79], off
	v_addc_co_u32_e64 v75, s[4:5], 0, v5, s[4:5]
	global_load_dword v100, v[74:75], off offset:1024
	global_load_dword v102, v[74:75], off offset:2048
	;; [unrolled: 1-line block ×3, first 2 shown]
	s_waitcnt vmcnt(22)
	v_cmp_ne_u32_e64 s[4:5], 0, v65
	global_load_dword v110, v[78:79], off offset:1024
	global_load_dword v111, v[78:79], off offset:2048
	v_cndmask_b32_e64 v62, 0, 1, s[4:5]
	s_waitcnt vmcnt(23)
	v_cmp_ne_u32_e64 s[4:5], 0, v66
	s_mov_b32 s11, 0xe000
	v_mov_b32_e32 v65, s3
	v_cndmask_b32_e64 v64, 0, 1, s[4:5]
	s_waitcnt vmcnt(22)
	v_cmp_ne_u32_e64 s[4:5], 0, v67
	v_mov_b32_e32 v67, s3
	v_mov_b32_e32 v75, s3
	v_cndmask_b32_e64 v66, 0, 1, s[4:5]
	s_waitcnt vmcnt(21)
	v_cmp_ne_u32_e64 s[4:5], 0, v68
	v_mov_b32_e32 v219, s3
	;; [unrolled: 5-line block ×6, first 2 shown]
	v_mov_b32_e32 v235, s3
	v_cndmask_b32_e64 v76, 0, 1, s[4:5]
	s_mov_b32 s4, 0xf000
	v_add_co_u32_e64 v104, s[4:5], s4, v4
	v_mov_b32_e32 v237, s3
	s_nop 0
	v_addc_co_u32_e64 v105, s[4:5], 0, v5, s[4:5]
	v_add_co_u32_e64 v96, s[4:5], s11, v4
	global_load_dword v112, v[78:79], off offset:3072
	global_load_dword v114, v[104:105], off offset:-4096
	v_addc_co_u32_e64 v97, s[4:5], 0, v5, s[4:5]
	global_load_dword v116, v[96:97], off offset:1024
	global_load_dword v118, v[96:97], off offset:2048
	global_load_dword v122, v[104:105], off
	s_waitcnt vmcnt(21)
	v_cmp_ne_u32_e64 s[4:5], 0, v2
	global_load_dword v2, v[96:97], off offset:3072
	s_mov_b32 s11, 0x10000
	v_cndmask_b32_e64 v78, 0, 1, s[4:5]
	s_waitcnt vmcnt(21)
	v_cmp_ne_u32_e64 s[4:5], 0, v80
	global_load_dword v126, v[104:105], off offset:1024
	global_load_dword v127, v[104:105], off offset:2048
	;; [unrolled: 1-line block ×3, first 2 shown]
	v_cndmask_b32_e64 v80, 0, 1, s[4:5]
	s_waitcnt vmcnt(23)
	v_cmp_ne_u32_e64 s[4:5], 0, v82
	v_mov_b32_e32 v79, s3
	v_mov_b32_e32 v97, s3
	v_cndmask_b32_e64 v82, 0, 1, s[4:5]
	s_waitcnt vmcnt(22)
	v_cmp_ne_u32_e64 s[4:5], 0, v84
	v_mov_b32_e32 v105, s3
	v_mov_b32_e32 v239, s3
	;; [unrolled: 5-line block ×4, first 2 shown]
	v_cndmask_b32_e64 v88, 0, 1, s[4:5]
	s_waitcnt vmcnt(19)
	v_cmp_ne_u32_e64 s[4:5], 0, v90
	v_mov_b32_e32 v249, s3
	s_nop 0
	v_cndmask_b32_e64 v90, 0, 1, s[4:5]
	s_waitcnt vmcnt(18)
	v_cmp_ne_u32_e64 s[4:5], 0, v92
	s_nop 1
	v_cndmask_b32_e64 v92, 0, 1, s[4:5]
	s_waitcnt vmcnt(17)
	v_cmp_ne_u32_e64 s[4:5], 0, v94
	;; [unrolled: 4-line block ×4, first 2 shown]
	v_mov_b32_e32 v99, s3
	s_nop 0
	v_cndmask_b32_e64 v98, 0, 1, s[4:5]
	s_waitcnt vmcnt(13)
	v_cmp_ne_u32_e64 s[4:5], 0, v100
	s_nop 1
	v_cndmask_b32_e64 v100, 0, 1, s[4:5]
	s_waitcnt vmcnt(12)
	v_cmp_ne_u32_e64 s[4:5], 0, v102
	s_nop 1
	v_cndmask_b32_e64 v102, 0, 1, s[4:5]
	s_mov_b32 s4, 0x11000
	v_add_co_u32_e64 v120, s[4:5], s4, v4
	s_nop 1
	v_addc_co_u32_e64 v121, s[4:5], 0, v5, s[4:5]
	v_add_co_u32_e64 v108, s[4:5], s11, v4
	global_load_dword v130, v[120:121], off offset:-4096
	global_load_dword v139, v[120:121], off
	v_addc_co_u32_e64 v109, s[4:5], 0, v5, s[4:5]
	global_load_dword v132, v[108:109], off offset:1024
	global_load_dword v134, v[108:109], off offset:2048
	;; [unrolled: 1-line block ×3, first 2 shown]
	s_waitcnt vmcnt(16)
	v_cmp_ne_u32_e64 s[4:5], 0, v106
	global_load_dword v142, v[120:121], off offset:1024
	global_load_dword v143, v[120:121], off offset:2048
	v_cndmask_b32_e64 v104, 0, 1, s[4:5]
	v_cmp_ne_u32_e64 s[4:5], 0, v107
	s_mov_b32 s11, 0x12000
	v_mov_b32_e32 v107, s3
	v_cndmask_b32_e64 v106, 0, 1, s[4:5]
	s_waitcnt vmcnt(17)
	v_cmp_ne_u32_e64 s[4:5], 0, v110
	v_mov_b32_e32 v109, s3
	s_nop 0
	v_cndmask_b32_e64 v108, 0, 1, s[4:5]
	s_waitcnt vmcnt(16)
	v_cmp_ne_u32_e64 s[4:5], 0, v111
	v_mov_b32_e32 v111, s3
	s_nop 0
	v_cndmask_b32_e64 v110, 0, 1, s[4:5]
	s_waitcnt vmcnt(15)
	v_cmp_ne_u32_e64 s[4:5], 0, v112
	s_nop 1
	v_cndmask_b32_e64 v112, 0, 1, s[4:5]
	s_waitcnt vmcnt(14)
	v_cmp_ne_u32_e64 s[4:5], 0, v114
	;; [unrolled: 4-line block ×4, first 2 shown]
	s_nop 1
	v_cndmask_b32_e64 v118, 0, 1, s[4:5]
	s_mov_b32 s4, 0x13000
	v_add_co_u32_e64 v124, s[4:5], s4, v4
	s_nop 1
	v_addc_co_u32_e64 v125, s[4:5], 0, v5, s[4:5]
	global_load_dword v144, v[120:121], off offset:3072
	global_load_dword v146, v[124:125], off offset:-4096
	v_add_co_u32_e64 v120, s[4:5], s11, v4
	s_mov_b32 s11, 0x16000
	s_nop 0
	v_addc_co_u32_e64 v121, s[4:5], 0, v5, s[4:5]
	s_mov_b32 s4, 0x14000
	s_nop 0
	v_add_co_u32_e64 v136, s[4:5], s4, v4
	global_load_dword v148, v[120:121], off offset:1024
	global_load_dword v150, v[120:121], off offset:2048
	;; [unrolled: 1-line block ×3, first 2 shown]
	global_load_dword v156, v[124:125], off
	v_addc_co_u32_e64 v137, s[4:5], 0, v5, s[4:5]
	global_load_dword v164, v[136:137], off offset:1024
	s_waitcnt vmcnt(17)
	v_cmp_ne_u32_e64 s[4:5], 0, v2
	global_load_dword v2, v[124:125], off offset:1024
	global_load_dword v158, v[124:125], off offset:2048
	;; [unrolled: 1-line block ×3, first 2 shown]
	v_cndmask_b32_e64 v120, 0, 1, s[4:5]
	v_cmp_ne_u32_e64 s[4:5], 0, v122
	global_load_dword v170, v[136:137], off offset:2048
	v_mov_b32_e32 v121, s3
	v_cndmask_b32_e64 v122, 0, 1, s[4:5]
	s_mov_b32 s4, 0x15000
	v_add_co_u32_e64 v140, s[4:5], s4, v4
	v_mov_b32_e32 v125, s3
	s_nop 0
	v_addc_co_u32_e64 v141, s[4:5], 0, v5, s[4:5]
	global_load_dword v162, v[140:141], off offset:-4096
	global_load_dword v174, v[140:141], off
	global_load_dword v171, v[136:137], off offset:3072
	s_waitcnt vmcnt(23)
	v_cmp_ne_u32_e64 s[4:5], 0, v126
	global_load_dword v176, v[140:141], off offset:1024
	global_load_dword v178, v[140:141], off offset:2048
	v_cndmask_b32_e64 v124, 0, 1, s[4:5]
	s_waitcnt vmcnt(24)
	v_cmp_ne_u32_e64 s[4:5], 0, v127
	v_mov_b32_e32 v127, s3
	v_mov_b32_e32 v137, s3
	v_cndmask_b32_e64 v126, 0, 1, s[4:5]
	s_waitcnt vmcnt(23)
	v_cmp_ne_u32_e64 s[4:5], 0, v128
	s_nop 1
	v_cndmask_b32_e64 v128, 0, 1, s[4:5]
	s_waitcnt vmcnt(22)
	v_cmp_ne_u32_e64 s[4:5], 0, v130
	s_nop 1
	;; [unrolled: 4-line block ×5, first 2 shown]
	v_cndmask_b32_e64 v136, 0, 1, s[4:5]
	v_cmp_ne_u32_e64 s[4:5], 0, v139
	v_mov_b32_e32 v139, s3
	s_nop 0
	v_cndmask_b32_e64 v138, 0, 1, s[4:5]
	s_mov_b32 s4, 0x17000
	v_add_co_u32_e64 v168, s[4:5], s4, v4
	s_nop 1
	v_addc_co_u32_e64 v169, s[4:5], 0, v5, s[4:5]
	v_add_co_u32_e64 v154, s[4:5], s11, v4
	global_load_dword v180, v[140:141], off offset:3072
	global_load_dword v182, v[168:169], off offset:-4096
	v_addc_co_u32_e64 v155, s[4:5], 0, v5, s[4:5]
	global_load_dword v184, v[154:155], off offset:1024
	global_load_dword v186, v[154:155], off offset:2048
	;; [unrolled: 1-line block ×3, first 2 shown]
	global_load_dword v192, v[168:169], off
	s_waitcnt vmcnt(23)
	v_cmp_ne_u32_e64 s[4:5], 0, v142
	s_mov_b32 s11, 0x1a000
	v_mov_b32_e32 v141, s3
	v_cndmask_b32_e64 v140, 0, 1, s[4:5]
	s_waitcnt vmcnt(22)
	v_cmp_ne_u32_e64 s[4:5], 0, v143
	v_mov_b32_e32 v143, s3
	v_mov_b32_e32 v155, s3
	v_cndmask_b32_e64 v142, 0, 1, s[4:5]
	s_waitcnt vmcnt(21)
	v_cmp_ne_u32_e64 s[4:5], 0, v144
	s_nop 1
	v_cndmask_b32_e64 v144, 0, 1, s[4:5]
	s_waitcnt vmcnt(20)
	v_cmp_ne_u32_e64 s[4:5], 0, v146
	s_nop 1
	;; [unrolled: 4-line block ×6, first 2 shown]
	v_cndmask_b32_e64 v154, 0, 1, s[4:5]
	s_waitcnt vmcnt(14)
	v_cmp_ne_u32_e64 s[4:5], 0, v2
	global_load_dword v2, v[168:169], off offset:1024
	global_load_dword v196, v[168:169], off offset:2048
	v_cndmask_b32_e64 v156, 0, 1, s[4:5]
	s_waitcnt vmcnt(15)
	v_cmp_ne_u32_e64 s[4:5], 0, v158
	s_nop 1
	v_cndmask_b32_e64 v158, 0, 1, s[4:5]
	s_waitcnt vmcnt(14)
	v_cmp_ne_u32_e64 s[4:5], 0, v160
	s_nop 1
	;; [unrolled: 4-line block ×3, first 2 shown]
	v_cndmask_b32_e64 v162, 0, 1, s[4:5]
	v_cmp_ne_u32_e64 s[4:5], 0, v164
	s_nop 1
	v_cndmask_b32_e64 v164, 0, 1, s[4:5]
	s_mov_b32 s4, 0x18000
	v_add_co_u32_e64 v166, s[4:5], s4, v4
	s_nop 1
	v_addc_co_u32_e64 v167, s[4:5], 0, v5, s[4:5]
	v_cmp_ne_u32_e64 s[4:5], 0, v170
	global_load_dword v198, v[166:167], off offset:1024
	global_load_dword v199, v[166:167], off offset:2048
	;; [unrolled: 1-line block ×3, first 2 shown]
	v_cndmask_b32_e64 v166, 0, 1, s[4:5]
	s_waitcnt vmcnt(13)
	v_cmp_ne_u32_e64 s[4:5], 0, v171
	global_load_dword v197, v[168:169], off offset:3072
	v_mov_b32_e32 v167, s3
	v_cndmask_b32_e64 v168, 0, 1, s[4:5]
	v_cmp_ne_u32_e64 s[4:5], 0, v174
	v_mov_b32_e32 v169, s3
	v_mov_b32_e32 v171, s3
	v_cndmask_b32_e64 v170, 0, 1, s[4:5]
	s_mov_b32 s4, 0x19000
	v_add_co_u32_e64 v174, s[4:5], s4, v4
	s_nop 1
	v_addc_co_u32_e64 v175, s[4:5], 0, v5, s[4:5]
	s_waitcnt vmcnt(13)
	v_cmp_ne_u32_e64 s[4:5], 0, v176
	global_load_dword v201, v[174:175], off offset:-4096
	global_load_dword v202, v[174:175], off
	v_cndmask_b32_e64 v176, 0, 1, s[4:5]
	s_waitcnt vmcnt(14)
	v_cmp_ne_u32_e64 s[4:5], 0, v178
	global_load_dword v204, v[174:175], off offset:1024
	global_load_dword v206, v[174:175], off offset:2048
	v_cndmask_b32_e64 v178, 0, 1, s[4:5]
	s_waitcnt vmcnt(15)
	v_cmp_ne_u32_e64 s[4:5], 0, v180
	s_nop 1
	v_cndmask_b32_e64 v180, 0, 1, s[4:5]
	s_waitcnt vmcnt(14)
	v_cmp_ne_u32_e64 s[4:5], 0, v182
	s_nop 1
	;; [unrolled: 4-line block ×4, first 2 shown]
	v_cndmask_b32_e64 v186, 0, 1, s[4:5]
	s_mov_b32 s4, 0x1b000
	v_add_co_u32_e64 v188, s[4:5], s4, v4
	s_nop 1
	v_addc_co_u32_e64 v189, s[4:5], 0, v5, s[4:5]
	global_load_dword v207, v[174:175], off offset:3072
	global_load_dword v208, v[188:189], off offset:-4096
	v_add_co_u32_e64 v174, s[4:5], s11, v4
	s_mov_b32 s11, 0x1c000
	s_nop 0
	v_addc_co_u32_e64 v175, s[4:5], 0, v5, s[4:5]
	global_load_dword v210, v[174:175], off offset:1024
	global_load_dword v212, v[174:175], off offset:2048
	;; [unrolled: 1-line block ×3, first 2 shown]
	s_waitcnt vmcnt(16)
	v_cmp_ne_u32_e64 s[4:5], 0, v190
	global_load_dword v216, v[188:189], off
	global_load_dword v218, v[188:189], off offset:1024
	global_load_dword v220, v[188:189], off offset:2048
	v_cndmask_b32_e64 v190, 0, 1, s[4:5]
	s_waitcnt vmcnt(18)
	v_cmp_ne_u32_e64 s[4:5], 0, v192
	v_mov_b32_e32 v175, s3
	s_nop 0
	v_cndmask_b32_e64 v174, 0, 1, s[4:5]
	s_mov_b32 s4, 0x1d000
	v_add_co_u32_e64 v192, s[4:5], s4, v4
	s_nop 1
	v_addc_co_u32_e64 v193, s[4:5], 0, v5, s[4:5]
	global_load_dword v222, v[188:189], off offset:3072
	global_load_dword v224, v[192:193], off offset:-4096
	v_add_co_u32_e64 v188, s[4:5], s11, v4
	global_load_dword v232, v[192:193], off
	global_load_dword v234, v[192:193], off offset:1024
	v_addc_co_u32_e64 v189, s[4:5], 0, v5, s[4:5]
	global_load_dword v226, v[188:189], off offset:1024
	global_load_dword v228, v[188:189], off offset:2048
	s_waitcnt vmcnt(23)
	v_cmp_ne_u32_e64 s[4:5], 0, v2
	global_load_dword v2, v[188:189], off offset:3072
	global_load_dword v236, v[192:193], off offset:2048
	;; [unrolled: 1-line block ×3, first 2 shown]
	v_cndmask_b32_e64 v194, 0, 1, s[4:5]
	s_waitcnt vmcnt(25)
	v_cmp_ne_u32_e64 s[4:5], 0, v196
	global_load_dword v242, v[36:37], off offset:1024
	global_load_dword v244, v[36:37], off offset:2048
	v_cndmask_b32_e64 v188, 0, 1, s[4:5]
	s_waitcnt vmcnt(23)
	v_cmp_ne_u32_e64 s[4:5], 0, v197
	v_mov_b32_e32 v189, s3
	v_mov_b32_e32 v197, s3
	v_cndmask_b32_e64 v196, 0, 1, s[4:5]
	s_mov_b32 s4, 0x1f000
	v_add_co_u32_e64 v4, s[4:5], s4, v4
	v_mov_b32_e32 v193, s3
	s_nop 0
	v_addc_co_u32_e64 v5, s[4:5], 0, v5, s[4:5]
	global_load_dword v240, v[4:5], off offset:-4096
	global_load_dword v248, v[4:5], off
	global_load_dword v250, v[4:5], off offset:1024
	global_load_dword v251, v[4:5], off offset:2048
	;; [unrolled: 1-line block ×3, first 2 shown]
	s_waitcnt vmcnt(27)
	v_cmp_ne_u32_e64 s[4:5], 0, v201
	v_mov_b32_e32 v37, s3
	v_mov_b32_e32 v201, s3
	v_cndmask_b32_e64 v192, 0, 1, s[4:5]
	v_cmp_ne_u32_e64 s[4:5], 0, v198
	v_mov_b32_e32 v5, s3
	s_nop 0
	v_cndmask_b32_e64 v36, 0, 1, s[4:5]
	v_cmp_ne_u32_e64 s[4:5], 0, v199
	v_mov_b32_e32 v199, s3
	s_nop 0
	v_cndmask_b32_e64 v198, 0, 1, s[4:5]
	v_cmp_ne_u32_e64 s[4:5], 0, v200
	s_nop 1
	v_cndmask_b32_e64 v200, 0, 1, s[4:5]
	s_waitcnt vmcnt(26)
	v_cmp_ne_u32_e64 s[4:5], 0, v202
	s_nop 1
	v_cndmask_b32_e64 v202, 0, 1, s[4:5]
	s_waitcnt vmcnt(25)
	;; [unrolled: 4-line block ×4, first 2 shown]
	v_cmp_ne_u32_e64 s[4:5], 0, v207
	v_mov_b32_e32 v207, s3
	s_nop 0
	v_cndmask_b32_e64 v206, 0, 1, s[4:5]
	s_waitcnt vmcnt(22)
	v_cmp_ne_u32_e64 s[4:5], 0, v208
	s_nop 1
	v_cndmask_b32_e64 v208, 0, 1, s[4:5]
	s_waitcnt vmcnt(21)
	v_cmp_ne_u32_e64 s[4:5], 0, v210
	;; [unrolled: 4-line block ×12, first 2 shown]
	v_addc_co_u32_e32 v2, vcc, v173, v1, vcc
	v_lshl_add_u64 v[8:9], v[2:3], 0, v[8:9]
	v_lshl_add_u64 v[8:9], v[8:9], 0, v[10:11]
	;; [unrolled: 1-line block ×111, first 2 shown]
	v_cndmask_b32_e64 v230, 0, 1, s[4:5]
	v_cmp_ne_u32_e64 s[4:5], 0, v232
	v_lshl_add_u64 v[4:5], v[4:5], 0, v[228:229]
	v_lshl_add_u64 v[4:5], v[4:5], 0, v[230:231]
	v_cndmask_b32_e64 v232, 0, 1, s[4:5]
	v_cmp_ne_u32_e64 s[4:5], 0, v234
	v_lshl_add_u64 v[4:5], v[4:5], 0, v[232:233]
	s_waitcnt vmcnt(2)
	v_cmp_ne_u32_e32 vcc, 0, v250
	v_cndmask_b32_e64 v234, 0, 1, s[4:5]
	v_cmp_ne_u32_e64 s[4:5], 0, v236
	v_lshl_add_u64 v[4:5], v[4:5], 0, v[234:235]
	v_mov_b32_e32 v173, s3
	v_cndmask_b32_e64 v236, 0, 1, s[4:5]
	v_cmp_ne_u32_e64 s[4:5], 0, v238
	v_lshl_add_u64 v[4:5], v[4:5], 0, v[236:237]
	v_mov_b32_dpp v7, v3 quad_perm:[1,0,3,2] row_mask:0xf bank_mask:0xf bound_ctrl:1
	v_cndmask_b32_e64 v238, 0, 1, s[4:5]
	v_cmp_ne_u32_e64 s[4:5], 0, v240
	v_lshl_add_u64 v[4:5], v[4:5], 0, v[238:239]
	v_mov_b32_e32 v6, v3
	v_cndmask_b32_e64 v240, 0, 1, s[4:5]
	v_cmp_ne_u32_e64 s[4:5], 0, v242
	v_lshl_add_u64 v[4:5], v[4:5], 0, v[240:241]
	v_mbcnt_lo_u32_b32 v1, -1, 0
	v_cndmask_b32_e64 v242, 0, 1, s[4:5]
	v_cmp_ne_u32_e64 s[4:5], 0, v244
	v_lshl_add_u64 v[4:5], v[4:5], 0, v[242:243]
	v_mbcnt_hi_u32_b32 v1, -1, v1
	v_cndmask_b32_e64 v244, 0, 1, s[4:5]
	v_cmp_ne_u32_e64 s[4:5], 0, v172
	v_lshl_add_u64 v[4:5], v[4:5], 0, v[244:245]
	v_cndmask_b32_e64 v172, 0, 1, vcc
	v_cndmask_b32_e64 v246, 0, 1, s[4:5]
	v_cmp_ne_u32_e64 s[4:5], 0, v248
	v_lshl_add_u64 v[4:5], v[4:5], 0, v[246:247]
	s_waitcnt vmcnt(1)
	v_cmp_ne_u32_e32 vcc, 0, v251
	v_cndmask_b32_e64 v248, 0, 1, s[4:5]
	v_lshl_add_u64 v[4:5], v[4:5], 0, v[248:249]
	v_cndmask_b32_e64 v250, 0, 1, vcc
	v_mov_b32_e32 v251, s3
	s_waitcnt vmcnt(0)
	v_cmp_ne_u32_e32 vcc, 0, v252
	v_lshl_add_u64 v[4:5], v[4:5], 0, v[172:173]
	v_lshl_add_u64 v[4:5], v[4:5], 0, v[250:251]
	v_cndmask_b32_e64 v10, 0, 1, vcc
	v_lshl_add_u64 v[4:5], v[4:5], 0, v[10:11]
	v_cmp_eq_u32_e32 vcc, 0, v1
	s_nop 0
	v_mov_b32_dpp v2, v4 quad_perm:[1,0,3,2] row_mask:0xf bank_mask:0xf bound_ctrl:1
	v_lshl_add_u64 v[4:5], v[4:5], 0, v[2:3]
	v_lshl_add_u64 v[6:7], v[6:7], 0, v[4:5]
	s_nop 0
	v_mov_b32_dpp v2, v4 quad_perm:[2,3,0,1] row_mask:0xf bank_mask:0xf bound_ctrl:1
	v_mov_b32_dpp v5, v7 quad_perm:[2,3,0,1] row_mask:0xf bank_mask:0xf bound_ctrl:1
	v_mov_b32_e32 v4, v3
	v_lshl_add_u64 v[6:7], v[6:7], 0, v[2:3]
	v_lshl_add_u64 v[4:5], v[6:7], 0, v[4:5]
	s_nop 0
	v_mov_b32_dpp v2, v6 row_ror:4 row_mask:0xf bank_mask:0xf bound_ctrl:1
	v_mov_b32_dpp v7, v5 row_ror:4 row_mask:0xf bank_mask:0xf bound_ctrl:1
	v_mov_b32_e32 v6, v3
	v_lshl_add_u64 v[4:5], v[4:5], 0, v[2:3]
	v_lshl_add_u64 v[6:7], v[4:5], 0, v[6:7]
	s_nop 0
	v_mov_b32_dpp v2, v4 row_ror:8 row_mask:0xf bank_mask:0xf bound_ctrl:1
	v_mov_b32_dpp v5, v7 row_ror:8 row_mask:0xf bank_mask:0xf bound_ctrl:1
	v_mov_b32_e32 v4, v3
	v_lshl_add_u64 v[6:7], v[6:7], 0, v[2:3]
	v_lshl_add_u64 v[4:5], v[6:7], 0, v[4:5]
	s_nop 0
	v_mov_b32_dpp v2, v6 row_bcast:15 row_mask:0xf bank_mask:0xf bound_ctrl:1
	v_mov_b32_dpp v7, v5 row_bcast:15 row_mask:0xf bank_mask:0xf bound_ctrl:1
	v_mov_b32_e32 v6, v3
	v_lshl_add_u64 v[4:5], v[4:5], 0, v[2:3]
	v_lshl_add_u64 v[6:7], v[4:5], 0, v[6:7]
	s_nop 0
	v_mov_b32_dpp v2, v4 row_bcast:31 row_mask:0xf bank_mask:0xf bound_ctrl:1
	v_lshl_add_u64 v[2:3], v[6:7], 0, v[2:3]
	v_lshlrev_b32_e32 v4, 2, v1
	v_or_b32_e32 v5, 0xfc, v4
	v_add_u32_dpp v3, v7, v3 row_bcast:31 row_mask:0xf bank_mask:0xf bound_ctrl:1
	ds_bpermute_b32 v2, v5, v2
	ds_bpermute_b32 v3, v5, v3
	s_and_saveexec_b64 s[4:5], vcc
	s_cbranch_execz .LBB176_7
; %bb.6:
	v_lshrrev_b32_e32 v5, 3, v0
	v_and_b32_e32 v5, 24, v5
	s_waitcnt lgkmcnt(0)
	ds_write_b64 v5, v[2:3]
.LBB176_7:
	s_or_b64 exec, exec, s[4:5]
	v_cmp_gt_u32_e32 vcc, 64, v0
	s_waitcnt lgkmcnt(0)
	s_barrier
	s_and_saveexec_b64 s[4:5], vcc
	s_cbranch_execz .LBB176_9
; %bb.8:
	v_and_b32_e32 v5, 3, v1
	v_lshlrev_b32_e32 v2, 3, v5
	ds_read_b64 v[2:3], v2
	v_cmp_ne_u32_e32 vcc, 3, v5
	v_mov_b32_e32 v8, 0
	v_mov_b32_e32 v7, v8
	v_addc_co_u32_e32 v1, vcc, 0, v1, vcc
	v_lshlrev_b32_e32 v1, 2, v1
	s_waitcnt lgkmcnt(0)
	ds_bpermute_b32 v6, v1, v2
	ds_bpermute_b32 v9, v1, v3
	v_or_b32_e32 v1, 8, v4
	s_waitcnt lgkmcnt(1)
	v_lshl_add_u64 v[2:3], v[2:3], 0, v[6:7]
	s_waitcnt lgkmcnt(0)
	v_lshl_add_u64 v[4:5], v[8:9], 0, v[2:3]
	ds_bpermute_b32 v2, v1, v2
	ds_bpermute_b32 v9, v1, v5
	v_mov_b32_e32 v3, v8
	s_waitcnt lgkmcnt(1)
	v_lshl_add_u64 v[2:3], v[4:5], 0, v[2:3]
	s_waitcnt lgkmcnt(0)
	v_lshl_add_u64 v[2:3], v[2:3], 0, v[8:9]
.LBB176_9:
	s_or_b64 exec, exec, s[4:5]
	s_mov_b64 s[4:5], 0
	s_branch .LBB176_22
.LBB176_10:
	s_mov_b64 s[4:5], 0
                                        ; implicit-def: $vgpr2_vgpr3
                                        ; implicit-def: $vgpr4_vgpr5
	s_cbranch_execnz .LBB176_568
	s_branch .LBB176_683
.LBB176_11:
	s_mov_b64 s[4:5], 0
                                        ; implicit-def: $vgpr2_vgpr3
                                        ; implicit-def: $vgpr4_vgpr5
	s_cbranch_execnz .LBB176_430
	s_branch .LBB176_567
.LBB176_12:
	s_mov_b64 s[6:7], -1
	s_mov_b64 s[4:5], 0
                                        ; implicit-def: $vgpr2_vgpr3
                                        ; implicit-def: $vgpr4_vgpr5
.LBB176_13:
	s_and_b64 vcc, exec, s[6:7]
	s_cbranch_vccz .LBB176_429
.LBB176_14:
	s_cmp_eq_u32 s33, 64
                                        ; implicit-def: $vgpr2_vgpr3
                                        ; implicit-def: $vgpr4_vgpr5
	s_cbranch_scc0 .LBB176_429
; %bb.15:
	s_mov_b32 s3, 0
	s_lshl_b32 s6, s2, 14
	s_mov_b32 s7, s3
	s_lshr_b64 s[8:9], s[36:37], 14
	s_lshl_b64 s[4:5], s[6:7], 2
	s_add_u32 s4, s40, s4
	s_addc_u32 s5, s41, s5
	s_cmp_lg_u64 s[8:9], s[2:3]
	s_cbranch_scc0 .LBB176_289
; %bb.16:
	v_lshlrev_b32_e32 v2, 2, v0
	v_mov_b32_e32 v3, 0
	v_lshl_add_u64 v[16:17], s[4:5], 0, v[2:3]
	s_waitcnt lgkmcnt(1)
	global_load_dword v1, v2, s[4:5] offset:3072
	v_add_co_u32_e32 v4, vcc, 0x1000, v16
	s_movk_i32 s7, 0x3000
	s_nop 0
	v_addc_co_u32_e32 v5, vcc, 0, v17, vcc
	v_add_co_u32_e32 v6, vcc, s7, v16
	s_movk_i32 s7, 0x2000
	s_waitcnt lgkmcnt(0)
	v_addc_co_u32_e32 v7, vcc, 0, v17, vcc
	global_load_dword v8, v[6:7], off offset:-4096
	global_load_dword v10, v[4:5], off
	global_load_dword v12, v[4:5], off offset:1024
	global_load_dword v20, v[4:5], off offset:2048
	global_load_dword v21, v[4:5], off offset:3072
	v_add_co_u32_e32 v4, vcc, s7, v16
	s_movk_i32 s8, 0x5000
	s_nop 0
	v_addc_co_u32_e32 v5, vcc, 0, v17, vcc
	v_add_co_u32_e32 v18, vcc, s8, v16
	global_load_dword v22, v[4:5], off offset:1024
	global_load_dword v23, v[4:5], off offset:2048
	;; [unrolled: 1-line block ×3, first 2 shown]
	global_load_dword v25, v[6:7], off
	global_load_dword v26, v[6:7], off offset:1024
	global_load_dword v28, v[6:7], off offset:2048
	s_movk_i32 s7, 0x4000
	v_addc_co_u32_e32 v19, vcc, 0, v17, vcc
	v_add_co_u32_e32 v14, vcc, s7, v16
	global_load_dword v32, v[6:7], off offset:3072
	global_load_dword v33, v[18:19], off offset:-4096
	v_addc_co_u32_e32 v15, vcc, 0, v17, vcc
	global_load_dword v34, v[14:15], off offset:1024
	global_load_dword v38, v[14:15], off offset:2048
	;; [unrolled: 1-line block ×3, first 2 shown]
	global_load_dword v40, v[18:19], off
	s_movk_i32 s8, 0x7000
	global_load_dword v42, v[18:19], off offset:1024
	global_load_dword v44, v[18:19], off offset:2048
	v_add_co_u32_e32 v30, vcc, s8, v16
	s_movk_i32 s7, 0x6000
	s_nop 0
	v_addc_co_u32_e32 v31, vcc, 0, v17, vcc
	global_load_dword v46, v[18:19], off offset:3072
	global_load_dword v48, v[30:31], off offset:-4096
	v_add_co_u32_e32 v18, vcc, s7, v16
	s_mov_b32 s7, 0x8000
	s_nop 0
	v_addc_co_u32_e32 v19, vcc, 0, v17, vcc
	global_load_dword v50, v[18:19], off offset:1024
	global_load_dword v52, v[18:19], off offset:2048
	global_load_dword v54, v[18:19], off offset:3072
	global_load_dword v56, v[30:31], off
	global_load_dword v58, v[30:31], off offset:1024
	s_mov_b32 s8, 0xb000
	v_mov_b32_e32 v5, s3
	v_mov_b32_e32 v7, s3
	v_mov_b32_e32 v9, s3
	v_mov_b32_e32 v11, s3
	v_mov_b32_e32 v13, s3
	v_mov_b32_e32 v15, s3
	v_mov_b32_e32 v19, s3
	v_mov_b32_e32 v27, s3
	v_mov_b32_e32 v29, s3
	v_mov_b32_e32 v35, s3
	v_mov_b32_e32 v41, s3
	v_mov_b32_e32 v43, s3
	v_mov_b32_e32 v45, s3
	v_mov_b32_e32 v47, s3
	v_mov_b32_e32 v49, s3
	v_mov_b32_e32 v51, s3
	v_mov_b32_e32 v53, s3
	v_mov_b32_e32 v55, s3
	v_mov_b32_e32 v57, s3
	v_mov_b32_e32 v59, s3
	v_mov_b32_e32 v69, s3
	v_mov_b32_e32 v79, s3
	v_mov_b32_e32 v81, s3
	v_mov_b32_e32 v83, s3
	v_mov_b32_e32 v85, s3
	v_mov_b32_e32 v87, s3
	v_mov_b32_e32 v89, s3
	v_mov_b32_e32 v91, s3
	v_mov_b32_e32 v93, s3
	v_mov_b32_e32 v95, s3
	v_mov_b32_e32 v97, s3
	global_load_dword v66, v[30:31], off offset:3072
	v_mov_b32_e32 v99, s3
	s_waitcnt vmcnt(27)
	v_cmp_ne_u32_e32 vcc, 0, v1
	global_load_dword v1, v[30:31], off offset:2048
	v_mov_b32_e32 v31, s3
	v_cndmask_b32_e64 v4, 0, 1, vcc
	v_mov_b32_e32 v101, s3
	v_mov_b32_e32 v103, s3
	;; [unrolled: 1-line block ×3, first 2 shown]
	s_waitcnt vmcnt(27)
	v_cmp_ne_u32_e32 vcc, 0, v8
	v_mov_b32_e32 v107, s3
	v_mov_b32_e32 v109, s3
	v_cndmask_b32_e64 v14, 0, 1, vcc
	s_waitcnt vmcnt(26)
	v_cmp_ne_u32_e32 vcc, 0, v10
	v_mov_b32_e32 v111, s3
	v_mov_b32_e32 v113, s3
	v_cndmask_b32_e64 v6, 0, 1, vcc
	;; [unrolled: 5-line block ×5, first 2 shown]
	s_waitcnt vmcnt(22)
	v_cmp_ne_u32_e32 vcc, 0, v22
	v_mov_b32_e32 v125, s3
	s_nop 0
	v_cndmask_b32_e64 v18, 0, 1, vcc
	s_waitcnt vmcnt(21)
	v_cmp_ne_u32_e32 vcc, 0, v23
	v_mov_b32_e32 v23, s3
	s_nop 0
	v_cndmask_b32_e64 v20, 0, 1, vcc
	s_waitcnt vmcnt(20)
	v_cmp_ne_u32_e32 vcc, 0, v24
	s_nop 1
	v_cndmask_b32_e64 v22, 0, 1, vcc
	s_waitcnt vmcnt(19)
	v_cmp_ne_u32_e32 vcc, 0, v25
	v_mov_b32_e32 v25, s3
	s_nop 0
	v_cndmask_b32_e64 v24, 0, 1, vcc
	s_waitcnt vmcnt(18)
	v_cmp_ne_u32_e32 vcc, 0, v26
	s_nop 1
	v_cndmask_b32_e64 v26, 0, 1, vcc
	s_waitcnt vmcnt(17)
	v_cmp_ne_u32_e32 vcc, 0, v28
	;; [unrolled: 4-line block ×4, first 2 shown]
	v_mov_b32_e32 v33, s3
	s_nop 0
	v_cndmask_b32_e64 v32, 0, 1, vcc
	s_waitcnt vmcnt(14)
	v_cmp_ne_u32_e32 vcc, 0, v34
	s_nop 1
	v_cndmask_b32_e64 v34, 0, 1, vcc
	v_add_co_u32_e32 v36, vcc, s7, v16
	s_mov_b32 s7, 0x9000
	s_nop 0
	v_addc_co_u32_e32 v37, vcc, 0, v17, vcc
	v_add_co_u32_e32 v60, vcc, s7, v16
	s_mov_b32 s7, 0xa000
	s_nop 0
	v_addc_co_u32_e32 v61, vcc, 0, v17, vcc
	global_load_dword v68, v[60:61], off offset:-4096
	global_load_dword v70, v[36:37], off offset:1024
	global_load_dword v72, v[36:37], off offset:2048
	;; [unrolled: 1-line block ×3, first 2 shown]
	s_waitcnt vmcnt(17)
	v_cmp_ne_u32_e32 vcc, 0, v38
	global_load_dword v74, v[60:61], off
	global_load_dword v75, v[60:61], off offset:1024
	global_load_dword v76, v[60:61], off offset:2048
	v_cndmask_b32_e64 v36, 0, 1, vcc
	s_waitcnt vmcnt(19)
	v_cmp_ne_u32_e32 vcc, 0, v39
	v_mov_b32_e32 v37, s3
	v_mov_b32_e32 v39, s3
	v_cndmask_b32_e64 v38, 0, 1, vcc
	s_waitcnt vmcnt(18)
	v_cmp_ne_u32_e32 vcc, 0, v40
	s_nop 1
	v_cndmask_b32_e64 v40, 0, 1, vcc
	s_waitcnt vmcnt(17)
	v_cmp_ne_u32_e32 vcc, 0, v42
	s_nop 1
	;; [unrolled: 4-line block ×10, first 2 shown]
	v_cndmask_b32_e64 v58, 0, 1, vcc
	v_add_co_u32_e32 v64, vcc, s8, v16
	s_mov_b32 s8, 0xd000
	s_nop 0
	v_addc_co_u32_e32 v65, vcc, 0, v17, vcc
	v_add_co_u32_e32 v62, vcc, s7, v16
	global_load_dword v77, v[60:61], off offset:3072
	global_load_dword v78, v[64:65], off offset:-4096
	v_addc_co_u32_e32 v63, vcc, 0, v17, vcc
	global_load_dword v80, v[62:63], off offset:1024
	global_load_dword v82, v[62:63], off offset:2048
	s_waitcnt vmcnt(11)
	v_cmp_ne_u32_e32 vcc, 0, v1
	global_load_dword v1, v[62:63], off offset:3072
	global_load_dword v86, v[64:65], off
	global_load_dword v88, v[64:65], off offset:1024
	global_load_dword v90, v[64:65], off offset:2048
	v_cndmask_b32_e64 v60, 0, 1, vcc
	v_cmp_ne_u32_e32 vcc, 0, v66
	s_mov_b32 s7, 0xc000
	v_mov_b32_e32 v61, s3
	v_cndmask_b32_e64 v62, 0, 1, vcc
	v_add_co_u32_e32 v66, vcc, s8, v16
	s_mov_b32 s8, 0xf000
	s_nop 0
	v_addc_co_u32_e32 v67, vcc, 0, v17, vcc
	global_load_dword v92, v[64:65], off offset:3072
	global_load_dword v94, v[66:67], off offset:-4096
	v_add_co_u32_e32 v64, vcc, s7, v16
	s_mov_b32 s7, 0xe000
	s_nop 0
	v_addc_co_u32_e32 v65, vcc, 0, v17, vcc
	global_load_dword v96, v[64:65], off offset:1024
	global_load_dword v98, v[64:65], off offset:2048
	;; [unrolled: 1-line block ×3, first 2 shown]
	s_waitcnt vmcnt(19)
	v_cmp_ne_u32_e32 vcc, 0, v68
	global_load_dword v102, v[66:67], off
	global_load_dword v104, v[66:67], off offset:1024
	global_load_dword v106, v[66:67], off offset:2048
	v_cndmask_b32_e64 v68, 0, 1, vcc
	s_waitcnt vmcnt(21)
	v_cmp_ne_u32_e32 vcc, 0, v70
	v_mov_b32_e32 v63, s3
	v_mov_b32_e32 v65, s3
	v_cndmask_b32_e64 v64, 0, 1, vcc
	v_add_co_u32_e32 v70, vcc, s8, v16
	s_nop 1
	v_addc_co_u32_e32 v71, vcc, 0, v17, vcc
	v_add_co_u32_e32 v16, vcc, s7, v16
	global_load_dword v108, v[66:67], off offset:3072
	global_load_dword v110, v[70:71], off offset:-4096
	v_addc_co_u32_e32 v17, vcc, 0, v17, vcc
	global_load_dword v112, v[16:17], off offset:1024
	global_load_dword v114, v[16:17], off offset:2048
	global_load_dword v126, v2, s[4:5]
	global_load_dword v127, v2, s[4:5] offset:1024
	global_load_dword v128, v2, s[4:5] offset:2048
	global_load_dword v116, v[16:17], off offset:3072
	global_load_dword v120, v[70:71], off offset:1024
	global_load_dword v122, v[70:71], off offset:2048
	global_load_dword v124, v[70:71], off offset:3072
	s_waitcnt vmcnt(31)
	v_cmp_ne_u32_e32 vcc, 0, v72
	global_load_dword v2, v[70:71], off
	v_mov_b32_e32 v17, s3
	v_cndmask_b32_e64 v16, 0, 1, vcc
	s_waitcnt vmcnt(31)
	v_cmp_ne_u32_e32 vcc, 0, v73
	v_mov_b32_e32 v67, s3
	v_mov_b32_e32 v73, s3
	v_cndmask_b32_e64 v66, 0, 1, vcc
	s_waitcnt vmcnt(30)
	v_cmp_ne_u32_e32 vcc, 0, v74
	v_mov_b32_e32 v71, s3
	s_nop 0
	v_cndmask_b32_e64 v72, 0, 1, vcc
	s_waitcnt vmcnt(29)
	v_cmp_ne_u32_e32 vcc, 0, v75
	v_mov_b32_e32 v75, s3
	s_nop 0
	v_cndmask_b32_e64 v70, 0, 1, vcc
	s_waitcnt vmcnt(28)
	v_cmp_ne_u32_e32 vcc, 0, v76
	s_nop 1
	v_cndmask_b32_e64 v74, 0, 1, vcc
	s_waitcnt vmcnt(27)
	v_cmp_ne_u32_e32 vcc, 0, v77
	;; [unrolled: 4-line block ×3, first 2 shown]
	v_mov_b32_e32 v77, s3
	s_nop 0
	v_cndmask_b32_e64 v78, 0, 1, vcc
	s_waitcnt vmcnt(25)
	v_cmp_ne_u32_e32 vcc, 0, v80
	s_nop 1
	v_cndmask_b32_e64 v80, 0, 1, vcc
	s_waitcnt vmcnt(24)
	v_cmp_ne_u32_e32 vcc, 0, v82
	;; [unrolled: 4-line block ×20, first 2 shown]
	s_nop 1
	v_cndmask_b32_e64 v118, 0, 1, vcc
	v_cmp_ne_u32_e32 vcc, 0, v120
	s_nop 1
	v_cndmask_b32_e64 v120, 0, 1, vcc
	v_cmp_ne_u32_e32 vcc, 0, v122
	;; [unrolled: 3-line block ×6, first 2 shown]
	s_nop 1
	v_addc_co_u32_e32 v2, vcc, v1, v2, vcc
	v_lshl_add_u64 v[4:5], v[2:3], 0, v[4:5]
	v_lshl_add_u64 v[4:5], v[4:5], 0, v[6:7]
	;; [unrolled: 1-line block ×61, first 2 shown]
	v_mov_b32_dpp v7, v3 quad_perm:[1,0,3,2] row_mask:0xf bank_mask:0xf bound_ctrl:1
	v_mov_b32_e32 v6, v3
	v_mov_b32_dpp v2, v4 quad_perm:[1,0,3,2] row_mask:0xf bank_mask:0xf bound_ctrl:1
	v_lshl_add_u64 v[4:5], v[4:5], 0, v[2:3]
	v_lshl_add_u64 v[6:7], v[6:7], 0, v[4:5]
	v_mbcnt_lo_u32_b32 v1, -1, 0
	v_mov_b32_dpp v2, v4 quad_perm:[2,3,0,1] row_mask:0xf bank_mask:0xf bound_ctrl:1
	v_mov_b32_dpp v5, v7 quad_perm:[2,3,0,1] row_mask:0xf bank_mask:0xf bound_ctrl:1
	v_mov_b32_e32 v4, v3
	v_lshl_add_u64 v[6:7], v[6:7], 0, v[2:3]
	v_lshl_add_u64 v[4:5], v[6:7], 0, v[4:5]
	v_mbcnt_hi_u32_b32 v1, -1, v1
	v_mov_b32_dpp v2, v6 row_ror:4 row_mask:0xf bank_mask:0xf bound_ctrl:1
	v_mov_b32_dpp v7, v5 row_ror:4 row_mask:0xf bank_mask:0xf bound_ctrl:1
	v_mov_b32_e32 v6, v3
	v_lshl_add_u64 v[4:5], v[4:5], 0, v[2:3]
	v_lshl_add_u64 v[6:7], v[4:5], 0, v[6:7]
	v_cmp_eq_u32_e32 vcc, 0, v1
	v_mov_b32_dpp v2, v4 row_ror:8 row_mask:0xf bank_mask:0xf bound_ctrl:1
	v_mov_b32_dpp v5, v7 row_ror:8 row_mask:0xf bank_mask:0xf bound_ctrl:1
	v_mov_b32_e32 v4, v3
	v_lshl_add_u64 v[6:7], v[6:7], 0, v[2:3]
	v_lshl_add_u64 v[4:5], v[6:7], 0, v[4:5]
	s_nop 0
	v_mov_b32_dpp v2, v6 row_bcast:15 row_mask:0xf bank_mask:0xf bound_ctrl:1
	v_mov_b32_dpp v7, v5 row_bcast:15 row_mask:0xf bank_mask:0xf bound_ctrl:1
	v_mov_b32_e32 v6, v3
	v_lshl_add_u64 v[4:5], v[4:5], 0, v[2:3]
	v_lshl_add_u64 v[6:7], v[4:5], 0, v[6:7]
	s_nop 0
	v_mov_b32_dpp v2, v4 row_bcast:31 row_mask:0xf bank_mask:0xf bound_ctrl:1
	v_lshl_add_u64 v[2:3], v[6:7], 0, v[2:3]
	v_lshlrev_b32_e32 v4, 2, v1
	v_or_b32_e32 v5, 0xfc, v4
	v_add_u32_dpp v3, v7, v3 row_bcast:31 row_mask:0xf bank_mask:0xf bound_ctrl:1
	ds_bpermute_b32 v2, v5, v2
	ds_bpermute_b32 v3, v5, v3
	s_and_saveexec_b64 s[8:9], vcc
	s_cbranch_execz .LBB176_18
; %bb.17:
	v_lshrrev_b32_e32 v5, 3, v0
	v_and_b32_e32 v5, 24, v5
	s_waitcnt lgkmcnt(0)
	ds_write_b64 v5, v[2:3] offset:192
.LBB176_18:
	s_or_b64 exec, exec, s[8:9]
	v_cmp_gt_u32_e32 vcc, 64, v0
	s_waitcnt lgkmcnt(0)
	s_barrier
	s_and_saveexec_b64 s[8:9], vcc
	s_cbranch_execz .LBB176_20
; %bb.19:
	v_and_b32_e32 v5, 3, v1
	v_lshlrev_b32_e32 v2, 3, v5
	ds_read_b64 v[2:3], v2 offset:192
	v_cmp_ne_u32_e32 vcc, 3, v5
	v_mov_b32_e32 v8, 0
	v_mov_b32_e32 v7, v8
	v_addc_co_u32_e32 v1, vcc, 0, v1, vcc
	v_lshlrev_b32_e32 v1, 2, v1
	s_waitcnt lgkmcnt(0)
	ds_bpermute_b32 v6, v1, v2
	ds_bpermute_b32 v9, v1, v3
	v_or_b32_e32 v1, 8, v4
	s_waitcnt lgkmcnt(1)
	v_lshl_add_u64 v[2:3], v[2:3], 0, v[6:7]
	s_waitcnt lgkmcnt(0)
	v_lshl_add_u64 v[4:5], v[8:9], 0, v[2:3]
	ds_bpermute_b32 v2, v1, v2
	ds_bpermute_b32 v9, v1, v5
	v_mov_b32_e32 v3, v8
	s_waitcnt lgkmcnt(1)
	v_lshl_add_u64 v[2:3], v[4:5], 0, v[2:3]
	s_waitcnt lgkmcnt(0)
	v_lshl_add_u64 v[2:3], v[2:3], 0, v[8:9]
.LBB176_20:
	s_or_b64 exec, exec, s[8:9]
	s_mov_b64 s[8:9], 0
	s_branch .LBB176_290
.LBB176_21:
	s_mov_b64 s[4:5], -1
                                        ; implicit-def: $vgpr2_vgpr3
.LBB176_22:
	s_and_b64 vcc, exec, s[4:5]
	s_cbranch_vccz .LBB176_288
; %bb.23:
	s_sub_i32 s10, s36, s10
	v_cmp_gt_u32_e32 vcc, s10, v0
                                        ; implicit-def: $vgpr4_vgpr5
	s_and_saveexec_b64 s[4:5], vcc
	s_cbranch_execz .LBB176_25
; %bb.24:
	v_lshlrev_b32_e32 v1, 2, v0
	global_load_dword v1, v1, s[8:9]
	s_mov_b32 s11, 0
	v_mov_b32_e32 v5, s11
	s_waitcnt vmcnt(0)
	v_cmp_ne_u32_e32 vcc, 0, v1
	s_nop 1
	v_cndmask_b32_e64 v4, 0, 1, vcc
.LBB176_25:
	s_or_b64 exec, exec, s[4:5]
	v_or_b32_e32 v1, 0x100, v0
	v_cmp_gt_u32_e32 vcc, s10, v1
	v_mov_b64_e32 v[2:3], 0
	v_mov_b64_e32 v[6:7], 0
	s_and_saveexec_b64 s[4:5], vcc
	s_cbranch_execz .LBB176_27
; %bb.26:
	v_lshlrev_b32_e32 v1, 2, v0
	global_load_dword v1, v1, s[8:9] offset:1024
	s_mov_b32 s11, 0
	v_mov_b32_e32 v7, s11
	s_waitcnt vmcnt(0)
	v_cmp_ne_u32_e32 vcc, 0, v1
	s_nop 1
	v_cndmask_b32_e64 v6, 0, 1, vcc
.LBB176_27:
	s_or_b64 exec, exec, s[4:5]
	v_or_b32_e32 v1, 0x200, v0
	v_cmp_gt_u32_e32 vcc, s10, v1
	s_and_saveexec_b64 s[4:5], vcc
	s_cbranch_execz .LBB176_29
; %bb.28:
	v_lshlrev_b32_e32 v1, 2, v0
	global_load_dword v1, v1, s[8:9] offset:2048
	s_mov_b32 s11, 0
	v_mov_b32_e32 v3, s11
	s_waitcnt vmcnt(0)
	v_cmp_ne_u32_e32 vcc, 0, v1
	s_nop 1
	v_cndmask_b32_e64 v2, 0, 1, vcc
.LBB176_29:
	s_or_b64 exec, exec, s[4:5]
	v_or_b32_e32 v1, 0x300, v0
	v_cmp_gt_u32_e32 vcc, s10, v1
	v_mov_b64_e32 v[8:9], 0
	v_mov_b64_e32 v[10:11], 0
	s_and_saveexec_b64 s[4:5], vcc
	s_cbranch_execz .LBB176_31
; %bb.30:
	v_lshlrev_b32_e32 v1, 2, v0
	global_load_dword v1, v1, s[8:9] offset:3072
	s_mov_b32 s11, 0
	v_mov_b32_e32 v11, s11
	s_waitcnt vmcnt(0)
	v_cmp_ne_u32_e32 vcc, 0, v1
	s_nop 1
	v_cndmask_b32_e64 v10, 0, 1, vcc
.LBB176_31:
	s_or_b64 exec, exec, s[4:5]
	v_or_b32_e32 v1, 0x400, v0
	v_cmp_gt_u32_e32 vcc, s10, v1
	s_and_saveexec_b64 s[4:5], vcc
	s_cbranch_execz .LBB176_33
; %bb.32:
	v_lshlrev_b32_e32 v1, 2, v1
	global_load_dword v1, v1, s[8:9]
	s_mov_b32 s11, 0
	v_mov_b32_e32 v9, s11
	s_waitcnt vmcnt(0)
	v_cmp_ne_u32_e32 vcc, 0, v1
	s_nop 1
	v_cndmask_b32_e64 v8, 0, 1, vcc
.LBB176_33:
	s_or_b64 exec, exec, s[4:5]
	v_or_b32_e32 v1, 0x500, v0
	v_cmp_gt_u32_e32 vcc, s10, v1
	v_mov_b64_e32 v[12:13], 0
	v_mov_b64_e32 v[14:15], 0
	s_and_saveexec_b64 s[4:5], vcc
	s_cbranch_execz .LBB176_35
; %bb.34:
	v_lshlrev_b32_e32 v1, 2, v1
	global_load_dword v1, v1, s[8:9]
	s_mov_b32 s11, 0
	v_mov_b32_e32 v15, s11
	s_waitcnt vmcnt(0)
	v_cmp_ne_u32_e32 vcc, 0, v1
	s_nop 1
	v_cndmask_b32_e64 v14, 0, 1, vcc
.LBB176_35:
	s_or_b64 exec, exec, s[4:5]
	v_or_b32_e32 v1, 0x600, v0
	v_cmp_gt_u32_e32 vcc, s10, v1
	s_and_saveexec_b64 s[4:5], vcc
	s_cbranch_execz .LBB176_37
; %bb.36:
	v_lshlrev_b32_e32 v1, 2, v1
	global_load_dword v1, v1, s[8:9]
	s_mov_b32 s11, 0
	v_mov_b32_e32 v13, s11
	s_waitcnt vmcnt(0)
	v_cmp_ne_u32_e32 vcc, 0, v1
	s_nop 1
	v_cndmask_b32_e64 v12, 0, 1, vcc
.LBB176_37:
	s_or_b64 exec, exec, s[4:5]
	v_or_b32_e32 v1, 0x700, v0
	v_cmp_gt_u32_e32 vcc, s10, v1
	v_mov_b64_e32 v[16:17], 0
	v_mov_b64_e32 v[18:19], 0
	s_and_saveexec_b64 s[4:5], vcc
	s_cbranch_execz .LBB176_39
; %bb.38:
	v_lshlrev_b32_e32 v1, 2, v1
	global_load_dword v1, v1, s[8:9]
	s_mov_b32 s11, 0
	v_mov_b32_e32 v19, s11
	s_waitcnt vmcnt(0)
	v_cmp_ne_u32_e32 vcc, 0, v1
	s_nop 1
	v_cndmask_b32_e64 v18, 0, 1, vcc
.LBB176_39:
	;; [unrolled: 32-line block ×61, first 2 shown]
	s_or_b64 exec, exec, s[4:5]
	v_or_b32_e32 v1, 0x7e00, v0
	v_cmp_gt_u32_e32 vcc, s10, v1
	s_and_saveexec_b64 s[4:5], vcc
	s_cbranch_execz .LBB176_277
; %bb.276:
	v_lshlrev_b32_e32 v1, 2, v1
	global_load_dword v1, v1, s[8:9]
	s_mov_b32 s11, 0
	v_mov_b32_e32 v253, s11
	s_waitcnt vmcnt(0)
	v_cmp_ne_u32_e32 vcc, 0, v1
	s_nop 1
	v_cndmask_b32_e64 v252, 0, 1, vcc
.LBB176_277:
	s_or_b64 exec, exec, s[4:5]
	v_accvgpr_write_b32 a2, v2
	v_or_b32_e32 v1, 0x7f00, v0
	v_accvgpr_write_b32 a3, v3
	v_cmp_gt_u32_e32 vcc, s10, v1
	v_mov_b64_e32 v[2:3], 0
	s_and_saveexec_b64 s[4:5], vcc
	s_cbranch_execz .LBB176_279
; %bb.278:
	v_lshlrev_b32_e32 v1, 2, v1
	global_load_dword v1, v1, s[8:9]
	s_mov_b32 s8, 0
	v_mov_b32_e32 v3, s8
	s_waitcnt vmcnt(0)
	v_cmp_ne_u32_e32 vcc, 0, v1
	s_nop 1
	v_cndmask_b32_e64 v2, 0, 1, vcc
.LBB176_279:
	s_or_b64 exec, exec, s[4:5]
	v_lshl_add_u64 v[6:7], v[6:7], 0, v[4:5]
	v_accvgpr_read_b32 v5, a3
	v_accvgpr_read_b32 v4, a2
	v_lshl_add_u64 v[4:5], v[6:7], 0, v[4:5]
	v_lshl_add_u64 v[4:5], v[4:5], 0, v[10:11]
	;; [unrolled: 1-line block ×123, first 2 shown]
	v_mbcnt_lo_u32_b32 v1, -1, 0
	v_lshl_add_u64 v[4:5], v[4:5], 0, v[254:255]
	v_mbcnt_hi_u32_b32 v1, -1, v1
	v_lshl_add_u64 v[4:5], v[4:5], 0, v[252:253]
	v_and_b32_e32 v9, 63, v1
	v_lshl_add_u64 v[2:3], v[4:5], 0, v[2:3]
	s_min_u32 s10, s10, 0x100
	v_and_b32_e32 v4, 0xc0, v0
	v_cmp_ne_u32_e32 vcc, 63, v9
	v_sub_u32_e64 v8, s10, v4 clamp
	v_add_u32_e32 v5, 1, v9
	v_addc_co_u32_e32 v4, vcc, 0, v1, vcc
	v_lshlrev_b32_e32 v6, 2, v4
	ds_bpermute_b32 v4, v6, v2
	ds_bpermute_b32 v7, v6, v3
	v_mov_b32_e32 v6, 0
	v_cmp_lt_u32_e32 vcc, v5, v8
	v_mov_b32_e32 v5, v6
	s_waitcnt lgkmcnt(1)
	v_lshl_add_u64 v[4:5], v[2:3], 0, v[4:5]
	s_waitcnt lgkmcnt(0)
	v_lshl_add_u64 v[6:7], v[6:7], 0, v[4:5]
	v_cmp_gt_u32_e64 s[4:5], 62, v9
	v_cndmask_b32_e32 v10, v2, v4, vcc
	v_cndmask_b32_e32 v4, v2, v6, vcc
	v_cndmask_b32_e64 v6, 0, 2, s[4:5]
	v_cndmask_b32_e32 v5, v3, v7, vcc
	v_add_lshl_u32 v7, v6, v1, 2
	ds_bpermute_b32 v6, v7, v10
	ds_bpermute_b32 v7, v7, v5
	v_add_u32_e32 v11, 2, v9
	v_cmp_lt_u32_e64 s[4:5], v11, v8
	v_add_u32_e32 v11, 4, v9
	s_waitcnt lgkmcnt(0)
	v_lshl_add_u64 v[6:7], v[6:7], 0, v[4:5]
	v_cndmask_b32_e64 v10, v10, v6, s[4:5]
	v_cndmask_b32_e64 v5, v5, v7, s[4:5]
	v_cndmask_b32_e64 v4, v4, v6, s[4:5]
	v_cmp_gt_u32_e64 s[4:5], 60, v9
	s_nop 1
	v_cndmask_b32_e64 v6, 0, 4, s[4:5]
	v_add_lshl_u32 v7, v6, v1, 2
	ds_bpermute_b32 v6, v7, v10
	ds_bpermute_b32 v7, v7, v5
	v_cmp_lt_u32_e64 s[4:5], v11, v8
	v_add_u32_e32 v11, 8, v9
	s_waitcnt lgkmcnt(0)
	v_lshl_add_u64 v[6:7], v[6:7], 0, v[4:5]
	v_cndmask_b32_e64 v10, v10, v6, s[4:5]
	v_cndmask_b32_e64 v5, v5, v7, s[4:5]
	v_cndmask_b32_e64 v4, v4, v6, s[4:5]
	v_cmp_gt_u32_e64 s[4:5], 56, v9
	s_nop 1
	v_cndmask_b32_e64 v6, 0, 8, s[4:5]
	v_add_lshl_u32 v7, v6, v1, 2
	ds_bpermute_b32 v6, v7, v10
	ds_bpermute_b32 v7, v7, v5
	;; [unrolled: 13-line block ×3, first 2 shown]
	v_cmp_lt_u32_e64 s[4:5], v11, v8
	s_waitcnt lgkmcnt(0)
	v_lshl_add_u64 v[6:7], v[6:7], 0, v[4:5]
	v_cndmask_b32_e64 v11, v10, v6, s[4:5]
	v_lshlrev_b32_e32 v10, 2, v1
	v_cndmask_b32_e64 v12, v5, v7, s[4:5]
	v_or_b32_e32 v13, 0x80, v10
	ds_bpermute_b32 v11, v13, v11
	ds_bpermute_b32 v12, v13, v12
	s_and_saveexec_b64 s[8:9], vcc
	s_cbranch_execz .LBB176_281
; %bb.280:
	v_add_u32_e32 v9, 32, v9
	v_cmp_lt_u32_e32 vcc, v9, v8
	v_cndmask_b32_e64 v3, v5, v7, s[4:5]
	v_cndmask_b32_e64 v2, v4, v6, s[4:5]
	s_waitcnt lgkmcnt(0)
	v_cndmask_b32_e32 v5, 0, v12, vcc
	v_cndmask_b32_e32 v4, 0, v11, vcc
	v_lshl_add_u64 v[2:3], v[4:5], 0, v[2:3]
.LBB176_281:
	s_or_b64 exec, exec, s[8:9]
	v_cmp_eq_u32_e32 vcc, 0, v1
	s_and_saveexec_b64 s[4:5], vcc
; %bb.282:
	v_lshrrev_b32_e32 v4, 3, v0
	v_and_b32_e32 v4, 24, v4
	ds_write_b64 v4, v[2:3] offset:256
; %bb.283:
	s_or_b64 exec, exec, s[4:5]
	v_cmp_gt_u32_e32 vcc, 4, v0
	s_waitcnt lgkmcnt(0)
	s_barrier
	s_and_saveexec_b64 s[4:5], vcc
	s_cbranch_execz .LBB176_287
; %bb.284:
	v_lshlrev_b32_e32 v2, 3, v1
	ds_read_b64 v[2:3], v2 offset:256
	v_and_b32_e32 v6, 3, v1
	v_cmp_ne_u32_e32 vcc, 3, v6
	v_mov_b32_e32 v8, 0
	s_add_i32 s10, s10, 63
	v_addc_co_u32_e32 v1, vcc, 0, v1, vcc
	v_lshlrev_b32_e32 v1, 2, v1
	s_waitcnt lgkmcnt(0)
	ds_bpermute_b32 v4, v1, v2
	ds_bpermute_b32 v9, v1, v3
	v_mov_b32_e32 v5, v8
	s_lshr_b32 s10, s10, 6
	v_add_u32_e32 v1, 1, v6
	s_waitcnt lgkmcnt(1)
	v_lshl_add_u64 v[12:13], v[2:3], 0, v[4:5]
	s_waitcnt lgkmcnt(0)
	v_lshl_add_u64 v[4:5], v[8:9], 0, v[12:13]
	v_cmp_gt_u32_e32 vcc, s10, v1
	v_or_b32_e32 v8, 8, v10
	s_nop 0
	v_cndmask_b32_e32 v7, v3, v5, vcc
	v_cndmask_b32_e32 v1, v2, v12, vcc
	ds_bpermute_b32 v1, v8, v1
	ds_bpermute_b32 v7, v8, v7
	s_and_saveexec_b64 s[8:9], vcc
	s_cbranch_execz .LBB176_286
; %bb.285:
	v_add_u32_e32 v2, 2, v6
	v_cmp_gt_u32_e32 vcc, s10, v2
	s_waitcnt lgkmcnt(0)
	s_nop 0
	v_cndmask_b32_e32 v3, 0, v7, vcc
	v_cndmask_b32_e32 v2, 0, v1, vcc
	v_lshl_add_u64 v[2:3], v[2:3], 0, v[4:5]
.LBB176_286:
	s_or_b64 exec, exec, s[8:9]
.LBB176_287:
	s_or_b64 exec, exec, s[4:5]
.LBB176_288:
	v_cmp_eq_u32_e64 s[4:5], 0, v0
	v_mov_b64_e32 v[4:5], s[2:3]
	s_and_b64 vcc, exec, s[6:7]
	s_cbranch_vccnz .LBB176_14
	s_branch .LBB176_429
.LBB176_289:
	s_mov_b64 s[8:9], -1
                                        ; implicit-def: $vgpr2_vgpr3
.LBB176_290:
	s_and_b64 vcc, exec, s[8:9]
	s_cbranch_vccz .LBB176_428
; %bb.291:
	s_sub_i32 s8, s36, s6
	v_cmp_gt_u32_e32 vcc, s8, v0
                                        ; implicit-def: $vgpr2_vgpr3
	s_and_saveexec_b64 s[6:7], vcc
	s_cbranch_execz .LBB176_293
; %bb.292:
	s_waitcnt lgkmcnt(1)
	v_lshlrev_b32_e32 v1, 2, v0
	global_load_dword v1, v1, s[4:5]
	s_mov_b32 s9, 0
	v_mov_b32_e32 v3, s9
	s_waitcnt vmcnt(0)
	v_cmp_ne_u32_e32 vcc, 0, v1
	s_nop 1
	v_cndmask_b32_e64 v2, 0, 1, vcc
.LBB176_293:
	s_or_b64 exec, exec, s[6:7]
	s_waitcnt lgkmcnt(1)
	v_or_b32_e32 v1, 0x100, v0
	v_cmp_gt_u32_e32 vcc, s8, v1
	v_mov_b64_e32 v[4:5], 0
	s_waitcnt lgkmcnt(0)
	v_mov_b64_e32 v[6:7], 0
	s_and_saveexec_b64 s[6:7], vcc
	s_cbranch_execz .LBB176_295
; %bb.294:
	v_lshlrev_b32_e32 v1, 2, v0
	global_load_dword v1, v1, s[4:5] offset:1024
	s_mov_b32 s9, 0
	v_mov_b32_e32 v7, s9
	s_waitcnt vmcnt(0)
	v_cmp_ne_u32_e32 vcc, 0, v1
	s_nop 1
	v_cndmask_b32_e64 v6, 0, 1, vcc
.LBB176_295:
	s_or_b64 exec, exec, s[6:7]
	v_or_b32_e32 v1, 0x200, v0
	v_cmp_gt_u32_e32 vcc, s8, v1
	s_and_saveexec_b64 s[6:7], vcc
	s_cbranch_execz .LBB176_297
; %bb.296:
	v_lshlrev_b32_e32 v1, 2, v0
	global_load_dword v1, v1, s[4:5] offset:2048
	s_mov_b32 s9, 0
	v_mov_b32_e32 v5, s9
	s_waitcnt vmcnt(0)
	v_cmp_ne_u32_e32 vcc, 0, v1
	s_nop 1
	v_cndmask_b32_e64 v4, 0, 1, vcc
.LBB176_297:
	s_or_b64 exec, exec, s[6:7]
	v_or_b32_e32 v1, 0x300, v0
	v_cmp_gt_u32_e32 vcc, s8, v1
	v_mov_b64_e32 v[8:9], 0
	v_mov_b64_e32 v[10:11], 0
	s_and_saveexec_b64 s[6:7], vcc
	s_cbranch_execz .LBB176_299
; %bb.298:
	v_lshlrev_b32_e32 v1, 2, v0
	global_load_dword v1, v1, s[4:5] offset:3072
	s_mov_b32 s9, 0
	v_mov_b32_e32 v11, s9
	s_waitcnt vmcnt(0)
	v_cmp_ne_u32_e32 vcc, 0, v1
	s_nop 1
	v_cndmask_b32_e64 v10, 0, 1, vcc
.LBB176_299:
	s_or_b64 exec, exec, s[6:7]
	v_or_b32_e32 v1, 0x400, v0
	v_cmp_gt_u32_e32 vcc, s8, v1
	s_and_saveexec_b64 s[6:7], vcc
	s_cbranch_execz .LBB176_301
; %bb.300:
	v_lshlrev_b32_e32 v1, 2, v1
	global_load_dword v1, v1, s[4:5]
	s_mov_b32 s9, 0
	v_mov_b32_e32 v9, s9
	s_waitcnt vmcnt(0)
	v_cmp_ne_u32_e32 vcc, 0, v1
	s_nop 1
	v_cndmask_b32_e64 v8, 0, 1, vcc
.LBB176_301:
	s_or_b64 exec, exec, s[6:7]
	v_or_b32_e32 v1, 0x500, v0
	v_cmp_gt_u32_e32 vcc, s8, v1
	v_mov_b64_e32 v[12:13], 0
	v_mov_b64_e32 v[14:15], 0
	s_and_saveexec_b64 s[6:7], vcc
	s_cbranch_execz .LBB176_303
; %bb.302:
	v_lshlrev_b32_e32 v1, 2, v1
	global_load_dword v1, v1, s[4:5]
	s_mov_b32 s9, 0
	v_mov_b32_e32 v15, s9
	s_waitcnt vmcnt(0)
	v_cmp_ne_u32_e32 vcc, 0, v1
	s_nop 1
	v_cndmask_b32_e64 v14, 0, 1, vcc
.LBB176_303:
	s_or_b64 exec, exec, s[6:7]
	v_or_b32_e32 v1, 0x600, v0
	v_cmp_gt_u32_e32 vcc, s8, v1
	s_and_saveexec_b64 s[6:7], vcc
	s_cbranch_execz .LBB176_305
; %bb.304:
	v_lshlrev_b32_e32 v1, 2, v1
	global_load_dword v1, v1, s[4:5]
	s_mov_b32 s9, 0
	v_mov_b32_e32 v13, s9
	s_waitcnt vmcnt(0)
	v_cmp_ne_u32_e32 vcc, 0, v1
	s_nop 1
	v_cndmask_b32_e64 v12, 0, 1, vcc
.LBB176_305:
	s_or_b64 exec, exec, s[6:7]
	v_or_b32_e32 v1, 0x700, v0
	v_cmp_gt_u32_e32 vcc, s8, v1
	v_mov_b64_e32 v[16:17], 0
	v_mov_b64_e32 v[18:19], 0
	s_and_saveexec_b64 s[6:7], vcc
	s_cbranch_execz .LBB176_307
; %bb.306:
	v_lshlrev_b32_e32 v1, 2, v1
	global_load_dword v1, v1, s[4:5]
	s_mov_b32 s9, 0
	v_mov_b32_e32 v19, s9
	s_waitcnt vmcnt(0)
	v_cmp_ne_u32_e32 vcc, 0, v1
	s_nop 1
	v_cndmask_b32_e64 v18, 0, 1, vcc
.LBB176_307:
	;; [unrolled: 32-line block ×29, first 2 shown]
	s_or_b64 exec, exec, s[6:7]
	v_or_b32_e32 v1, 0x3e00, v0
	v_cmp_gt_u32_e32 vcc, s8, v1
	s_and_saveexec_b64 s[6:7], vcc
	s_cbranch_execz .LBB176_417
; %bb.416:
	v_lshlrev_b32_e32 v1, 2, v1
	global_load_dword v1, v1, s[4:5]
	s_mov_b32 s9, 0
	v_mov_b32_e32 v125, s9
	s_waitcnt vmcnt(0)
	v_cmp_ne_u32_e32 vcc, 0, v1
	s_nop 1
	v_cndmask_b32_e64 v124, 0, 1, vcc
.LBB176_417:
	s_or_b64 exec, exec, s[6:7]
	v_or_b32_e32 v1, 0x3f00, v0
	v_cmp_gt_u32_e32 vcc, s8, v1
	v_mov_b64_e32 v[128:129], 0
	s_and_saveexec_b64 s[6:7], vcc
	s_cbranch_execz .LBB176_419
; %bb.418:
	v_lshlrev_b32_e32 v1, 2, v1
	global_load_dword v1, v1, s[4:5]
	s_mov_b32 s4, 0
	v_mov_b32_e32 v129, s4
	s_waitcnt vmcnt(0)
	v_cmp_ne_u32_e32 vcc, 0, v1
	s_nop 1
	v_cndmask_b32_e64 v128, 0, 1, vcc
.LBB176_419:
	s_or_b64 exec, exec, s[6:7]
	v_lshl_add_u64 v[2:3], v[6:7], 0, v[2:3]
	v_lshl_add_u64 v[2:3], v[2:3], 0, v[4:5]
	;; [unrolled: 1-line block ×58, first 2 shown]
	v_mbcnt_lo_u32_b32 v1, -1, 0
	v_lshl_add_u64 v[2:3], v[2:3], 0, v[122:123]
	v_mbcnt_hi_u32_b32 v1, -1, v1
	v_lshl_add_u64 v[2:3], v[2:3], 0, v[120:121]
	v_and_b32_e32 v9, 63, v1
	v_lshl_add_u64 v[2:3], v[2:3], 0, v[126:127]
	s_min_u32 s8, s8, 0x100
	v_and_b32_e32 v4, 0xc0, v0
	v_cmp_ne_u32_e32 vcc, 63, v9
	v_lshl_add_u64 v[2:3], v[2:3], 0, v[124:125]
	v_sub_u32_e64 v8, s8, v4 clamp
	v_addc_co_u32_e32 v4, vcc, 0, v1, vcc
	v_lshl_add_u64 v[2:3], v[2:3], 0, v[128:129]
	v_lshlrev_b32_e32 v5, 2, v4
	ds_bpermute_b32 v4, v5, v2
	ds_bpermute_b32 v7, v5, v3
	v_mov_b32_e32 v6, 0
	v_add_u32_e32 v10, 1, v9
	v_mov_b32_e32 v5, v6
	s_waitcnt lgkmcnt(1)
	v_lshl_add_u64 v[4:5], v[2:3], 0, v[4:5]
	v_cmp_lt_u32_e64 s[4:5], v10, v8
	v_cmp_gt_u32_e32 vcc, 62, v9
	s_waitcnt lgkmcnt(0)
	v_lshl_add_u64 v[6:7], v[6:7], 0, v[4:5]
	v_cndmask_b32_e64 v12, v2, v4, s[4:5]
	v_cndmask_b32_e64 v4, 0, 2, vcc
	v_cndmask_b32_e64 v5, v3, v7, s[4:5]
	v_add_lshl_u32 v4, v4, v1, 2
	ds_bpermute_b32 v10, v4, v12
	ds_bpermute_b32 v11, v4, v5
	v_cndmask_b32_e64 v4, v2, v6, s[4:5]
	v_add_u32_e32 v13, 2, v9
	v_cmp_lt_u32_e32 vcc, v13, v8
	v_cmp_gt_u32_e64 s[6:7], 60, v9
	s_waitcnt lgkmcnt(0)
	v_lshl_add_u64 v[6:7], v[10:11], 0, v[4:5]
	v_cndmask_b32_e32 v5, v5, v7, vcc
	v_cndmask_b32_e64 v7, 0, 4, s[6:7]
	v_cndmask_b32_e32 v12, v12, v6, vcc
	v_add_lshl_u32 v7, v7, v1, 2
	ds_bpermute_b32 v10, v7, v12
	ds_bpermute_b32 v11, v7, v5
	v_cndmask_b32_e32 v4, v4, v6, vcc
	v_add_u32_e32 v13, 4, v9
	v_cmp_lt_u32_e32 vcc, v13, v8
	v_cmp_gt_u32_e64 s[6:7], 56, v9
	s_waitcnt lgkmcnt(0)
	v_lshl_add_u64 v[6:7], v[10:11], 0, v[4:5]
	v_cndmask_b32_e32 v5, v5, v7, vcc
	v_cndmask_b32_e64 v7, 0, 8, s[6:7]
	v_cndmask_b32_e32 v12, v12, v6, vcc
	v_add_lshl_u32 v7, v7, v1, 2
	ds_bpermute_b32 v10, v7, v12
	ds_bpermute_b32 v11, v7, v5
	v_cndmask_b32_e32 v4, v4, v6, vcc
	;; [unrolled: 12-line block ×3, first 2 shown]
	v_add_u32_e32 v13, 16, v9
	v_cmp_lt_u32_e32 vcc, v13, v8
	s_waitcnt lgkmcnt(0)
	v_lshl_add_u64 v[6:7], v[10:11], 0, v[4:5]
	v_lshlrev_b32_e32 v10, 2, v1
	v_cndmask_b32_e32 v13, v5, v7, vcc
	v_cndmask_b32_e32 v11, v12, v6, vcc
	v_or_b32_e32 v12, 0x80, v10
	ds_bpermute_b32 v11, v12, v11
	ds_bpermute_b32 v12, v12, v13
	s_and_saveexec_b64 s[6:7], s[4:5]
	s_cbranch_execz .LBB176_421
; %bb.420:
	v_add_u32_e32 v9, 32, v9
	v_cndmask_b32_e32 v3, v5, v7, vcc
	v_cndmask_b32_e32 v2, v4, v6, vcc
	v_cmp_lt_u32_e32 vcc, v9, v8
	s_waitcnt lgkmcnt(0)
	s_nop 0
	v_cndmask_b32_e32 v5, 0, v12, vcc
	v_cndmask_b32_e32 v4, 0, v11, vcc
	v_lshl_add_u64 v[2:3], v[4:5], 0, v[2:3]
.LBB176_421:
	s_or_b64 exec, exec, s[6:7]
	v_cmp_eq_u32_e32 vcc, 0, v1
	s_and_saveexec_b64 s[4:5], vcc
; %bb.422:
	v_lshrrev_b32_e32 v4, 3, v0
	v_and_b32_e32 v4, 24, v4
	ds_write_b64 v4, v[2:3] offset:256
; %bb.423:
	s_or_b64 exec, exec, s[4:5]
	v_cmp_gt_u32_e32 vcc, 4, v0
	s_waitcnt lgkmcnt(0)
	s_barrier
	s_and_saveexec_b64 s[4:5], vcc
	s_cbranch_execz .LBB176_427
; %bb.424:
	v_lshlrev_b32_e32 v2, 3, v1
	ds_read_b64 v[2:3], v2 offset:256
	v_and_b32_e32 v6, 3, v1
	v_cmp_ne_u32_e32 vcc, 3, v6
	v_mov_b32_e32 v8, 0
	s_add_i32 s8, s8, 63
	v_addc_co_u32_e32 v1, vcc, 0, v1, vcc
	v_lshlrev_b32_e32 v1, 2, v1
	s_waitcnt lgkmcnt(0)
	ds_bpermute_b32 v4, v1, v2
	ds_bpermute_b32 v9, v1, v3
	v_mov_b32_e32 v5, v8
	s_lshr_b32 s8, s8, 6
	v_add_u32_e32 v1, 1, v6
	s_waitcnt lgkmcnt(1)
	v_lshl_add_u64 v[12:13], v[2:3], 0, v[4:5]
	s_waitcnt lgkmcnt(0)
	v_lshl_add_u64 v[4:5], v[8:9], 0, v[12:13]
	v_cmp_gt_u32_e32 vcc, s8, v1
	v_or_b32_e32 v8, 8, v10
	s_nop 0
	v_cndmask_b32_e32 v7, v3, v5, vcc
	v_cndmask_b32_e32 v1, v2, v12, vcc
	ds_bpermute_b32 v1, v8, v1
	ds_bpermute_b32 v7, v8, v7
	s_and_saveexec_b64 s[6:7], vcc
	s_cbranch_execz .LBB176_426
; %bb.425:
	v_add_u32_e32 v2, 2, v6
	v_cmp_gt_u32_e32 vcc, s8, v2
	s_waitcnt lgkmcnt(0)
	s_nop 0
	v_cndmask_b32_e32 v3, 0, v7, vcc
	v_cndmask_b32_e32 v2, 0, v1, vcc
	v_lshl_add_u64 v[2:3], v[2:3], 0, v[4:5]
.LBB176_426:
	s_or_b64 exec, exec, s[6:7]
.LBB176_427:
	s_or_b64 exec, exec, s[4:5]
.LBB176_428:
	v_cmp_eq_u32_e64 s[4:5], 0, v0
	v_mov_b64_e32 v[4:5], s[2:3]
.LBB176_429:
	s_branch .LBB176_567
.LBB176_430:
	s_cmp_gt_i32 s33, 31
	s_cbranch_scc0 .LBB176_438
; %bb.431:
	s_cmp_eq_u32 s33, 32
                                        ; implicit-def: $vgpr2_vgpr3
                                        ; implicit-def: $vgpr4_vgpr5
	s_cbranch_scc0 .LBB176_439
; %bb.432:
	s_mov_b32 s3, 0
	s_lshl_b32 s6, s2, 13
	s_mov_b32 s7, s3
	s_lshr_b64 s[8:9], s[36:37], 13
	s_lshl_b64 s[4:5], s[6:7], 2
	s_add_u32 s4, s40, s4
	s_addc_u32 s5, s41, s5
	s_cmp_lg_u64 s[8:9], s[2:3]
	s_cbranch_scc0 .LBB176_440
; %bb.433:
	v_lshlrev_b32_e32 v2, 2, v0
	v_mov_b32_e32 v3, 0
	v_lshl_add_u64 v[4:5], s[4:5], 0, v[2:3]
	s_waitcnt lgkmcnt(1)
	global_load_dword v1, v2, s[4:5] offset:3072
	v_add_co_u32_e32 v6, vcc, 0x1000, v4
	s_movk_i32 s8, 0x3000
	s_waitcnt lgkmcnt(0)
	v_addc_co_u32_e32 v7, vcc, 0, v5, vcc
	global_load_dword v10, v[6:7], off
	global_load_dword v12, v[6:7], off offset:1024
	global_load_dword v14, v[6:7], off offset:2048
	;; [unrolled: 1-line block ×3, first 2 shown]
	v_add_co_u32_e32 v6, vcc, s8, v4
	s_movk_i32 s7, 0x2000
	s_nop 0
	v_addc_co_u32_e32 v7, vcc, 0, v5, vcc
	global_load_dword v17, v[6:7], off offset:-4096
	v_add_co_u32_e32 v8, vcc, s7, v4
	s_movk_i32 s8, 0x5000
	s_nop 0
	v_addc_co_u32_e32 v9, vcc, 0, v5, vcc
	global_load_dword v18, v[8:9], off offset:1024
	global_load_dword v19, v[8:9], off offset:2048
	;; [unrolled: 1-line block ×3, first 2 shown]
	global_load_dword v22, v[6:7], off
	global_load_dword v24, v[6:7], off offset:1024
	global_load_dword v26, v[6:7], off offset:2048
	v_add_co_u32_e32 v8, vcc, s8, v4
	s_movk_i32 s7, 0x4000
	s_nop 0
	v_addc_co_u32_e32 v9, vcc, 0, v5, vcc
	global_load_dword v28, v[6:7], off offset:3072
	global_load_dword v30, v[8:9], off offset:-4096
	v_add_co_u32_e32 v6, vcc, s7, v4
	s_movk_i32 s8, 0x7000
	s_nop 0
	v_addc_co_u32_e32 v7, vcc, 0, v5, vcc
	global_load_dword v32, v[6:7], off offset:1024
	global_load_dword v34, v[6:7], off offset:2048
	;; [unrolled: 1-line block ×3, first 2 shown]
	global_load_dword v38, v[8:9], off
	global_load_dword v40, v[8:9], off offset:1024
	global_load_dword v42, v[8:9], off offset:2048
	v_add_co_u32_e32 v6, vcc, s8, v4
	s_movk_i32 s7, 0x6000
	s_nop 0
	v_addc_co_u32_e32 v7, vcc, 0, v5, vcc
	global_load_dword v44, v[8:9], off offset:3072
	global_load_dword v46, v[6:7], off offset:-4096
	v_add_co_u32_e32 v4, vcc, s7, v4
	v_mov_b32_e32 v9, s3
	s_nop 0
	v_addc_co_u32_e32 v5, vcc, 0, v5, vcc
	global_load_dword v48, v[4:5], off offset:1024
	global_load_dword v50, v[4:5], off offset:2048
	global_load_dword v62, v2, s[4:5] offset:1024
	global_load_dword v63, v2, s[4:5] offset:2048
	global_load_dword v52, v[4:5], off offset:3072
	global_load_dword v54, v[6:7], off
	global_load_dword v64, v2, s[4:5]
	global_load_dword v58, v[6:7], off offset:2048
	global_load_dword v60, v[6:7], off offset:3072
	v_mov_b32_e32 v5, s3
	global_load_dword v2, v[6:7], off offset:1024
	v_mov_b32_e32 v11, s3
	v_mov_b32_e32 v13, s3
	;; [unrolled: 1-line block ×25, first 2 shown]
	s_waitcnt vmcnt(31)
	v_cmp_ne_u32_e32 vcc, 0, v1
	s_nop 1
	v_cndmask_b32_e64 v4, 0, 1, vcc
	s_waitcnt vmcnt(30)
	v_cmp_ne_u32_e32 vcc, 0, v10
	s_nop 1
	v_cndmask_b32_e64 v8, 0, 1, vcc
	s_waitcnt vmcnt(29)
	v_cmp_ne_u32_e32 vcc, 0, v12
	s_nop 1
	v_cndmask_b32_e64 v10, 0, 1, vcc
	s_waitcnt vmcnt(28)
	v_cmp_ne_u32_e32 vcc, 0, v14
	s_nop 1
	v_cndmask_b32_e64 v12, 0, 1, vcc
	s_waitcnt vmcnt(27)
	v_cmp_ne_u32_e32 vcc, 0, v16
	s_nop 1
	v_cndmask_b32_e64 v14, 0, 1, vcc
	s_waitcnt vmcnt(26)
	v_cmp_ne_u32_e32 vcc, 0, v17
	v_mov_b32_e32 v17, s3
	s_nop 0
	v_cndmask_b32_e64 v6, 0, 1, vcc
	s_waitcnt vmcnt(25)
	v_cmp_ne_u32_e32 vcc, 0, v18
	s_nop 1
	v_cndmask_b32_e64 v16, 0, 1, vcc
	s_waitcnt vmcnt(24)
	v_cmp_ne_u32_e32 vcc, 0, v19
	v_mov_b32_e32 v19, s3
	s_nop 0
	v_cndmask_b32_e64 v18, 0, 1, vcc
	s_waitcnt vmcnt(23)
	v_cmp_ne_u32_e32 vcc, 0, v20
	s_nop 1
	v_cndmask_b32_e64 v20, 0, 1, vcc
	s_waitcnt vmcnt(22)
	v_cmp_ne_u32_e32 vcc, 0, v22
	;; [unrolled: 4-line block ×19, first 2 shown]
	s_nop 1
	v_cndmask_b32_e64 v56, 0, 1, vcc
	v_cmp_ne_u32_e32 vcc, 0, v58
	s_nop 1
	v_cndmask_b32_e64 v58, 0, 1, vcc
	v_cmp_ne_u32_e32 vcc, 0, v60
	;; [unrolled: 3-line block ×5, first 2 shown]
	s_nop 1
	v_addc_co_u32_e32 v2, vcc, v1, v2, vcc
	v_lshl_add_u64 v[4:5], v[2:3], 0, v[4:5]
	v_lshl_add_u64 v[4:5], v[4:5], 0, v[8:9]
	;; [unrolled: 1-line block ×29, first 2 shown]
	v_mov_b32_dpp v7, v3 quad_perm:[1,0,3,2] row_mask:0xf bank_mask:0xf bound_ctrl:1
	v_mov_b32_e32 v6, v3
	v_mov_b32_dpp v2, v4 quad_perm:[1,0,3,2] row_mask:0xf bank_mask:0xf bound_ctrl:1
	v_lshl_add_u64 v[4:5], v[4:5], 0, v[2:3]
	v_lshl_add_u64 v[6:7], v[6:7], 0, v[4:5]
	v_mbcnt_lo_u32_b32 v1, -1, 0
	v_mov_b32_dpp v2, v4 quad_perm:[2,3,0,1] row_mask:0xf bank_mask:0xf bound_ctrl:1
	v_mov_b32_dpp v5, v7 quad_perm:[2,3,0,1] row_mask:0xf bank_mask:0xf bound_ctrl:1
	v_mov_b32_e32 v4, v3
	v_lshl_add_u64 v[6:7], v[6:7], 0, v[2:3]
	v_lshl_add_u64 v[4:5], v[6:7], 0, v[4:5]
	v_mbcnt_hi_u32_b32 v1, -1, v1
	v_mov_b32_dpp v2, v6 row_ror:4 row_mask:0xf bank_mask:0xf bound_ctrl:1
	v_mov_b32_dpp v7, v5 row_ror:4 row_mask:0xf bank_mask:0xf bound_ctrl:1
	v_mov_b32_e32 v6, v3
	v_lshl_add_u64 v[4:5], v[4:5], 0, v[2:3]
	v_lshl_add_u64 v[6:7], v[4:5], 0, v[6:7]
	v_cmp_eq_u32_e32 vcc, 0, v1
	v_mov_b32_dpp v2, v4 row_ror:8 row_mask:0xf bank_mask:0xf bound_ctrl:1
	v_mov_b32_dpp v5, v7 row_ror:8 row_mask:0xf bank_mask:0xf bound_ctrl:1
	v_mov_b32_e32 v4, v3
	v_lshl_add_u64 v[6:7], v[6:7], 0, v[2:3]
	v_lshl_add_u64 v[4:5], v[6:7], 0, v[4:5]
	s_nop 0
	v_mov_b32_dpp v2, v6 row_bcast:15 row_mask:0xf bank_mask:0xf bound_ctrl:1
	v_mov_b32_dpp v7, v5 row_bcast:15 row_mask:0xf bank_mask:0xf bound_ctrl:1
	v_mov_b32_e32 v6, v3
	v_lshl_add_u64 v[4:5], v[4:5], 0, v[2:3]
	v_lshl_add_u64 v[6:7], v[4:5], 0, v[6:7]
	s_nop 0
	v_mov_b32_dpp v2, v4 row_bcast:31 row_mask:0xf bank_mask:0xf bound_ctrl:1
	v_lshl_add_u64 v[2:3], v[6:7], 0, v[2:3]
	v_lshlrev_b32_e32 v4, 2, v1
	v_or_b32_e32 v5, 0xfc, v4
	v_add_u32_dpp v3, v7, v3 row_bcast:31 row_mask:0xf bank_mask:0xf bound_ctrl:1
	ds_bpermute_b32 v2, v5, v2
	ds_bpermute_b32 v3, v5, v3
	s_and_saveexec_b64 s[8:9], vcc
	s_cbranch_execz .LBB176_435
; %bb.434:
	v_lshrrev_b32_e32 v5, 3, v0
	v_and_b32_e32 v5, 24, v5
	s_waitcnt lgkmcnt(0)
	ds_write_b64 v5, v[2:3] offset:128
.LBB176_435:
	s_or_b64 exec, exec, s[8:9]
	v_cmp_gt_u32_e32 vcc, 64, v0
	s_waitcnt lgkmcnt(0)
	s_barrier
	s_and_saveexec_b64 s[8:9], vcc
	s_cbranch_execz .LBB176_437
; %bb.436:
	v_and_b32_e32 v5, 3, v1
	v_lshlrev_b32_e32 v2, 3, v5
	ds_read_b64 v[2:3], v2 offset:128
	v_cmp_ne_u32_e32 vcc, 3, v5
	v_mov_b32_e32 v8, 0
	v_mov_b32_e32 v7, v8
	v_addc_co_u32_e32 v1, vcc, 0, v1, vcc
	v_lshlrev_b32_e32 v1, 2, v1
	s_waitcnt lgkmcnt(0)
	ds_bpermute_b32 v6, v1, v2
	ds_bpermute_b32 v9, v1, v3
	v_or_b32_e32 v1, 8, v4
	s_waitcnt lgkmcnt(1)
	v_lshl_add_u64 v[2:3], v[2:3], 0, v[6:7]
	s_waitcnt lgkmcnt(0)
	v_lshl_add_u64 v[4:5], v[8:9], 0, v[2:3]
	ds_bpermute_b32 v2, v1, v2
	ds_bpermute_b32 v9, v1, v5
	v_mov_b32_e32 v3, v8
	s_waitcnt lgkmcnt(1)
	v_lshl_add_u64 v[2:3], v[4:5], 0, v[2:3]
	s_waitcnt lgkmcnt(0)
	v_lshl_add_u64 v[2:3], v[2:3], 0, v[8:9]
.LBB176_437:
	s_or_b64 exec, exec, s[8:9]
	s_mov_b64 s[8:9], 0
	s_branch .LBB176_441
.LBB176_438:
                                        ; implicit-def: $vgpr2_vgpr3
                                        ; implicit-def: $vgpr4_vgpr5
	s_cbranch_execnz .LBB176_516
	s_branch .LBB176_567
.LBB176_439:
	s_branch .LBB176_567
.LBB176_440:
	s_mov_b64 s[8:9], -1
                                        ; implicit-def: $vgpr2_vgpr3
.LBB176_441:
	s_and_b64 vcc, exec, s[8:9]
	s_cbranch_vccz .LBB176_515
; %bb.442:
	s_sub_i32 s8, s36, s6
	v_cmp_gt_u32_e32 vcc, s8, v0
                                        ; implicit-def: $vgpr2_vgpr3
	s_and_saveexec_b64 s[6:7], vcc
	s_cbranch_execz .LBB176_444
; %bb.443:
	s_waitcnt lgkmcnt(1)
	v_lshlrev_b32_e32 v1, 2, v0
	global_load_dword v1, v1, s[4:5]
	s_mov_b32 s9, 0
	v_mov_b32_e32 v3, s9
	s_waitcnt vmcnt(0)
	v_cmp_ne_u32_e32 vcc, 0, v1
	s_nop 1
	v_cndmask_b32_e64 v2, 0, 1, vcc
.LBB176_444:
	s_or_b64 exec, exec, s[6:7]
	s_waitcnt lgkmcnt(1)
	v_or_b32_e32 v1, 0x100, v0
	v_cmp_gt_u32_e32 vcc, s8, v1
	v_mov_b64_e32 v[4:5], 0
	s_waitcnt lgkmcnt(0)
	v_mov_b64_e32 v[6:7], 0
	s_and_saveexec_b64 s[6:7], vcc
	s_cbranch_execz .LBB176_446
; %bb.445:
	v_lshlrev_b32_e32 v1, 2, v0
	global_load_dword v1, v1, s[4:5] offset:1024
	s_mov_b32 s9, 0
	v_mov_b32_e32 v7, s9
	s_waitcnt vmcnt(0)
	v_cmp_ne_u32_e32 vcc, 0, v1
	s_nop 1
	v_cndmask_b32_e64 v6, 0, 1, vcc
.LBB176_446:
	s_or_b64 exec, exec, s[6:7]
	v_or_b32_e32 v1, 0x200, v0
	v_cmp_gt_u32_e32 vcc, s8, v1
	s_and_saveexec_b64 s[6:7], vcc
	s_cbranch_execz .LBB176_448
; %bb.447:
	v_lshlrev_b32_e32 v1, 2, v0
	global_load_dword v1, v1, s[4:5] offset:2048
	s_mov_b32 s9, 0
	v_mov_b32_e32 v5, s9
	s_waitcnt vmcnt(0)
	v_cmp_ne_u32_e32 vcc, 0, v1
	s_nop 1
	v_cndmask_b32_e64 v4, 0, 1, vcc
.LBB176_448:
	s_or_b64 exec, exec, s[6:7]
	v_or_b32_e32 v1, 0x300, v0
	v_cmp_gt_u32_e32 vcc, s8, v1
	v_mov_b64_e32 v[8:9], 0
	v_mov_b64_e32 v[10:11], 0
	s_and_saveexec_b64 s[6:7], vcc
	s_cbranch_execz .LBB176_450
; %bb.449:
	v_lshlrev_b32_e32 v1, 2, v0
	global_load_dword v1, v1, s[4:5] offset:3072
	s_mov_b32 s9, 0
	v_mov_b32_e32 v11, s9
	s_waitcnt vmcnt(0)
	v_cmp_ne_u32_e32 vcc, 0, v1
	s_nop 1
	v_cndmask_b32_e64 v10, 0, 1, vcc
.LBB176_450:
	s_or_b64 exec, exec, s[6:7]
	v_or_b32_e32 v1, 0x400, v0
	v_cmp_gt_u32_e32 vcc, s8, v1
	s_and_saveexec_b64 s[6:7], vcc
	s_cbranch_execz .LBB176_452
; %bb.451:
	v_lshlrev_b32_e32 v1, 2, v1
	global_load_dword v1, v1, s[4:5]
	s_mov_b32 s9, 0
	v_mov_b32_e32 v9, s9
	s_waitcnt vmcnt(0)
	v_cmp_ne_u32_e32 vcc, 0, v1
	s_nop 1
	v_cndmask_b32_e64 v8, 0, 1, vcc
.LBB176_452:
	s_or_b64 exec, exec, s[6:7]
	v_or_b32_e32 v1, 0x500, v0
	v_cmp_gt_u32_e32 vcc, s8, v1
	v_mov_b64_e32 v[12:13], 0
	v_mov_b64_e32 v[14:15], 0
	s_and_saveexec_b64 s[6:7], vcc
	s_cbranch_execz .LBB176_454
; %bb.453:
	v_lshlrev_b32_e32 v1, 2, v1
	global_load_dword v1, v1, s[4:5]
	s_mov_b32 s9, 0
	v_mov_b32_e32 v15, s9
	s_waitcnt vmcnt(0)
	v_cmp_ne_u32_e32 vcc, 0, v1
	s_nop 1
	v_cndmask_b32_e64 v14, 0, 1, vcc
.LBB176_454:
	s_or_b64 exec, exec, s[6:7]
	v_or_b32_e32 v1, 0x600, v0
	v_cmp_gt_u32_e32 vcc, s8, v1
	s_and_saveexec_b64 s[6:7], vcc
	s_cbranch_execz .LBB176_456
; %bb.455:
	v_lshlrev_b32_e32 v1, 2, v1
	global_load_dword v1, v1, s[4:5]
	s_mov_b32 s9, 0
	v_mov_b32_e32 v13, s9
	s_waitcnt vmcnt(0)
	v_cmp_ne_u32_e32 vcc, 0, v1
	s_nop 1
	v_cndmask_b32_e64 v12, 0, 1, vcc
.LBB176_456:
	s_or_b64 exec, exec, s[6:7]
	v_or_b32_e32 v1, 0x700, v0
	v_cmp_gt_u32_e32 vcc, s8, v1
	v_mov_b64_e32 v[16:17], 0
	v_mov_b64_e32 v[18:19], 0
	s_and_saveexec_b64 s[6:7], vcc
	s_cbranch_execz .LBB176_458
; %bb.457:
	v_lshlrev_b32_e32 v1, 2, v1
	global_load_dword v1, v1, s[4:5]
	s_mov_b32 s9, 0
	v_mov_b32_e32 v19, s9
	s_waitcnt vmcnt(0)
	v_cmp_ne_u32_e32 vcc, 0, v1
	s_nop 1
	v_cndmask_b32_e64 v18, 0, 1, vcc
.LBB176_458:
	;; [unrolled: 32-line block ×13, first 2 shown]
	s_or_b64 exec, exec, s[6:7]
	v_or_b32_e32 v1, 0x1e00, v0
	v_cmp_gt_u32_e32 vcc, s8, v1
	s_and_saveexec_b64 s[6:7], vcc
	s_cbranch_execz .LBB176_504
; %bb.503:
	v_lshlrev_b32_e32 v1, 2, v1
	global_load_dword v1, v1, s[4:5]
	s_mov_b32 s9, 0
	v_mov_b32_e32 v61, s9
	s_waitcnt vmcnt(0)
	v_cmp_ne_u32_e32 vcc, 0, v1
	s_nop 1
	v_cndmask_b32_e64 v60, 0, 1, vcc
.LBB176_504:
	s_or_b64 exec, exec, s[6:7]
	v_or_b32_e32 v1, 0x1f00, v0
	v_cmp_gt_u32_e32 vcc, s8, v1
	v_mov_b64_e32 v[64:65], 0
	s_and_saveexec_b64 s[6:7], vcc
	s_cbranch_execz .LBB176_506
; %bb.505:
	v_lshlrev_b32_e32 v1, 2, v1
	global_load_dword v1, v1, s[4:5]
	s_mov_b32 s4, 0
	v_mov_b32_e32 v65, s4
	s_waitcnt vmcnt(0)
	v_cmp_ne_u32_e32 vcc, 0, v1
	s_nop 1
	v_cndmask_b32_e64 v64, 0, 1, vcc
.LBB176_506:
	s_or_b64 exec, exec, s[6:7]
	v_lshl_add_u64 v[2:3], v[6:7], 0, v[2:3]
	v_lshl_add_u64 v[2:3], v[2:3], 0, v[4:5]
	;; [unrolled: 1-line block ×26, first 2 shown]
	v_mbcnt_lo_u32_b32 v1, -1, 0
	v_lshl_add_u64 v[2:3], v[2:3], 0, v[58:59]
	v_mbcnt_hi_u32_b32 v1, -1, v1
	v_lshl_add_u64 v[2:3], v[2:3], 0, v[56:57]
	v_and_b32_e32 v9, 63, v1
	v_lshl_add_u64 v[2:3], v[2:3], 0, v[62:63]
	s_min_u32 s8, s8, 0x100
	v_and_b32_e32 v4, 0xc0, v0
	v_cmp_ne_u32_e32 vcc, 63, v9
	v_lshl_add_u64 v[2:3], v[2:3], 0, v[60:61]
	v_sub_u32_e64 v8, s8, v4 clamp
	v_addc_co_u32_e32 v4, vcc, 0, v1, vcc
	v_lshl_add_u64 v[2:3], v[2:3], 0, v[64:65]
	v_lshlrev_b32_e32 v5, 2, v4
	ds_bpermute_b32 v4, v5, v2
	ds_bpermute_b32 v7, v5, v3
	v_mov_b32_e32 v6, 0
	v_add_u32_e32 v10, 1, v9
	v_mov_b32_e32 v5, v6
	s_waitcnt lgkmcnt(1)
	v_lshl_add_u64 v[4:5], v[2:3], 0, v[4:5]
	v_cmp_lt_u32_e64 s[4:5], v10, v8
	v_cmp_gt_u32_e32 vcc, 62, v9
	s_waitcnt lgkmcnt(0)
	v_lshl_add_u64 v[6:7], v[6:7], 0, v[4:5]
	v_cndmask_b32_e64 v12, v2, v4, s[4:5]
	v_cndmask_b32_e64 v4, 0, 2, vcc
	v_cndmask_b32_e64 v5, v3, v7, s[4:5]
	v_add_lshl_u32 v4, v4, v1, 2
	ds_bpermute_b32 v10, v4, v12
	ds_bpermute_b32 v11, v4, v5
	v_cndmask_b32_e64 v4, v2, v6, s[4:5]
	v_add_u32_e32 v13, 2, v9
	v_cmp_lt_u32_e32 vcc, v13, v8
	v_cmp_gt_u32_e64 s[6:7], 60, v9
	s_waitcnt lgkmcnt(0)
	v_lshl_add_u64 v[6:7], v[10:11], 0, v[4:5]
	v_cndmask_b32_e32 v5, v5, v7, vcc
	v_cndmask_b32_e64 v7, 0, 4, s[6:7]
	v_cndmask_b32_e32 v12, v12, v6, vcc
	v_add_lshl_u32 v7, v7, v1, 2
	ds_bpermute_b32 v10, v7, v12
	ds_bpermute_b32 v11, v7, v5
	v_cndmask_b32_e32 v4, v4, v6, vcc
	v_add_u32_e32 v13, 4, v9
	v_cmp_lt_u32_e32 vcc, v13, v8
	v_cmp_gt_u32_e64 s[6:7], 56, v9
	s_waitcnt lgkmcnt(0)
	v_lshl_add_u64 v[6:7], v[10:11], 0, v[4:5]
	v_cndmask_b32_e32 v5, v5, v7, vcc
	v_cndmask_b32_e64 v7, 0, 8, s[6:7]
	v_cndmask_b32_e32 v12, v12, v6, vcc
	v_add_lshl_u32 v7, v7, v1, 2
	ds_bpermute_b32 v10, v7, v12
	ds_bpermute_b32 v11, v7, v5
	v_cndmask_b32_e32 v4, v4, v6, vcc
	v_add_u32_e32 v13, 8, v9
	v_cmp_lt_u32_e32 vcc, v13, v8
	v_cmp_gt_u32_e64 s[6:7], 48, v9
	s_waitcnt lgkmcnt(0)
	v_lshl_add_u64 v[6:7], v[10:11], 0, v[4:5]
	v_cndmask_b32_e32 v5, v5, v7, vcc
	v_cndmask_b32_e64 v7, 0, 16, s[6:7]
	v_cndmask_b32_e32 v12, v12, v6, vcc
	v_add_lshl_u32 v7, v7, v1, 2
	ds_bpermute_b32 v10, v7, v12
	ds_bpermute_b32 v11, v7, v5
	v_cndmask_b32_e32 v4, v4, v6, vcc
	v_add_u32_e32 v13, 16, v9
	v_cmp_lt_u32_e32 vcc, v13, v8
	s_waitcnt lgkmcnt(0)
	v_lshl_add_u64 v[6:7], v[10:11], 0, v[4:5]
	v_lshlrev_b32_e32 v10, 2, v1
	v_cndmask_b32_e32 v13, v5, v7, vcc
	v_cndmask_b32_e32 v11, v12, v6, vcc
	v_or_b32_e32 v12, 0x80, v10
	ds_bpermute_b32 v11, v12, v11
	ds_bpermute_b32 v12, v12, v13
	s_and_saveexec_b64 s[6:7], s[4:5]
	s_cbranch_execz .LBB176_508
; %bb.507:
	v_add_u32_e32 v9, 32, v9
	v_cndmask_b32_e32 v3, v5, v7, vcc
	v_cndmask_b32_e32 v2, v4, v6, vcc
	v_cmp_lt_u32_e32 vcc, v9, v8
	s_waitcnt lgkmcnt(0)
	s_nop 0
	v_cndmask_b32_e32 v5, 0, v12, vcc
	v_cndmask_b32_e32 v4, 0, v11, vcc
	v_lshl_add_u64 v[2:3], v[4:5], 0, v[2:3]
.LBB176_508:
	s_or_b64 exec, exec, s[6:7]
	v_cmp_eq_u32_e32 vcc, 0, v1
	s_and_saveexec_b64 s[4:5], vcc
; %bb.509:
	v_lshrrev_b32_e32 v4, 3, v0
	v_and_b32_e32 v4, 24, v4
	ds_write_b64 v4, v[2:3] offset:256
; %bb.510:
	s_or_b64 exec, exec, s[4:5]
	v_cmp_gt_u32_e32 vcc, 4, v0
	s_waitcnt lgkmcnt(0)
	s_barrier
	s_and_saveexec_b64 s[4:5], vcc
	s_cbranch_execz .LBB176_514
; %bb.511:
	v_lshlrev_b32_e32 v2, 3, v1
	ds_read_b64 v[2:3], v2 offset:256
	v_and_b32_e32 v6, 3, v1
	v_cmp_ne_u32_e32 vcc, 3, v6
	v_mov_b32_e32 v8, 0
	s_add_i32 s8, s8, 63
	v_addc_co_u32_e32 v1, vcc, 0, v1, vcc
	v_lshlrev_b32_e32 v1, 2, v1
	s_waitcnt lgkmcnt(0)
	ds_bpermute_b32 v4, v1, v2
	ds_bpermute_b32 v9, v1, v3
	v_mov_b32_e32 v5, v8
	s_lshr_b32 s8, s8, 6
	v_add_u32_e32 v1, 1, v6
	s_waitcnt lgkmcnt(1)
	v_lshl_add_u64 v[12:13], v[2:3], 0, v[4:5]
	s_waitcnt lgkmcnt(0)
	v_lshl_add_u64 v[4:5], v[8:9], 0, v[12:13]
	v_cmp_gt_u32_e32 vcc, s8, v1
	v_or_b32_e32 v8, 8, v10
	s_nop 0
	v_cndmask_b32_e32 v7, v3, v5, vcc
	v_cndmask_b32_e32 v1, v2, v12, vcc
	ds_bpermute_b32 v1, v8, v1
	ds_bpermute_b32 v7, v8, v7
	s_and_saveexec_b64 s[6:7], vcc
	s_cbranch_execz .LBB176_513
; %bb.512:
	v_add_u32_e32 v2, 2, v6
	v_cmp_gt_u32_e32 vcc, s8, v2
	s_waitcnt lgkmcnt(0)
	s_nop 0
	v_cndmask_b32_e32 v3, 0, v7, vcc
	v_cndmask_b32_e32 v2, 0, v1, vcc
	v_lshl_add_u64 v[2:3], v[2:3], 0, v[4:5]
.LBB176_513:
	s_or_b64 exec, exec, s[6:7]
.LBB176_514:
	s_or_b64 exec, exec, s[4:5]
.LBB176_515:
	v_cmp_eq_u32_e64 s[4:5], 0, v0
	v_mov_b64_e32 v[4:5], s[2:3]
	s_branch .LBB176_567
.LBB176_516:
	s_cmp_eq_u32 s33, 16
                                        ; implicit-def: $vgpr2_vgpr3
                                        ; implicit-def: $vgpr4_vgpr5
	s_cbranch_scc0 .LBB176_567
; %bb.517:
	s_mov_b32 s3, 0
	s_lshl_b32 s4, s2, 12
	s_mov_b32 s5, s3
	s_lshr_b64 s[6:7], s[36:37], 12
	s_lshl_b64 s[8:9], s[4:5], 2
	s_add_u32 s34, s40, s8
	s_addc_u32 s35, s41, s9
	s_cmp_lg_u64 s[6:7], s[2:3]
	s_cbranch_scc0 .LBB176_523
; %bb.518:
	v_lshlrev_b32_e32 v2, 2, v0
	global_load_dword v10, v2, s[34:35] offset:1024
	global_load_dword v12, v2, s[34:35] offset:2048
	;; [unrolled: 1-line block ×3, first 2 shown]
	v_mov_b32_e32 v3, 0
	v_lshl_add_u64 v[4:5], s[34:35], 0, v[2:3]
	global_load_dword v2, v2, s[34:35]
	s_movk_i32 s5, 0x3000
	v_add_co_u32_e32 v6, vcc, s5, v4
	s_movk_i32 s5, 0x2000
	s_waitcnt lgkmcnt(0)
	v_addc_co_u32_e32 v7, vcc, 0, v5, vcc
	global_load_dword v16, v[6:7], off offset:-4096
	global_load_dword v18, v[6:7], off
	global_load_dword v20, v[6:7], off offset:1024
	global_load_dword v26, v[6:7], off offset:2048
	;; [unrolled: 1-line block ×3, first 2 shown]
	v_add_co_u32_e32 v8, vcc, 0x1000, v4
	v_mov_b32_e32 v7, s3
	s_nop 0
	v_addc_co_u32_e32 v9, vcc, 0, v5, vcc
	global_load_dword v6, v[8:9], off
	global_load_dword v32, v[8:9], off offset:1024
	global_load_dword v33, v[8:9], off offset:2048
	global_load_dword v34, v[8:9], off offset:3072
	v_add_co_u32_e32 v4, vcc, s5, v4
	v_mov_b32_e32 v9, s3
	s_nop 0
	v_addc_co_u32_e32 v5, vcc, 0, v5, vcc
	global_load_dword v35, v[4:5], off offset:1024
	global_load_dword v36, v[4:5], off offset:2048
	;; [unrolled: 1-line block ×3, first 2 shown]
	v_mov_b32_e32 v5, s3
	v_mov_b32_e32 v11, s3
	;; [unrolled: 1-line block ×11, first 2 shown]
	v_mov_b32_dpp v31, v3 quad_perm:[1,0,3,2] row_mask:0xf bank_mask:0xf bound_ctrl:1
	v_mov_b32_e32 v30, v3
	v_mbcnt_lo_u32_b32 v1, -1, 0
	v_mbcnt_hi_u32_b32 v1, -1, v1
	s_waitcnt vmcnt(13)
	v_cmp_ne_u32_e32 vcc, 0, v14
	s_nop 1
	v_cndmask_b32_e64 v4, 0, 1, vcc
	v_cmp_ne_u32_e32 vcc, 0, v10
	s_nop 1
	v_cndmask_b32_e64 v8, 0, 1, vcc
	s_waitcnt vmcnt(12)
	v_cmp_ne_u32_e32 vcc, 0, v2
	s_nop 1
	v_cndmask_b32_e64 v2, 0, 1, vcc
	v_cmp_ne_u32_e32 vcc, 0, v12
	s_nop 1
	v_addc_co_u32_e32 v2, vcc, v8, v2, vcc
	s_waitcnt vmcnt(11)
	v_cmp_ne_u32_e32 vcc, 0, v16
	v_lshl_add_u64 v[4:5], v[2:3], 0, v[4:5]
	s_nop 0
	v_cndmask_b32_e64 v14, 0, 1, vcc
	s_waitcnt vmcnt(10)
	v_cmp_ne_u32_e32 vcc, 0, v18
	s_nop 1
	v_cndmask_b32_e64 v22, 0, 1, vcc
	s_waitcnt vmcnt(9)
	v_cmp_ne_u32_e32 vcc, 0, v20
	;; [unrolled: 4-line block ×6, first 2 shown]
	v_lshl_add_u64 v[4:5], v[4:5], 0, v[6:7]
	s_nop 0
	v_cndmask_b32_e64 v8, 0, 1, vcc
	s_waitcnt vmcnt(4)
	v_cmp_ne_u32_e32 vcc, 0, v33
	v_lshl_add_u64 v[4:5], v[4:5], 0, v[8:9]
	s_nop 0
	v_cndmask_b32_e64 v10, 0, 1, vcc
	s_waitcnt vmcnt(3)
	v_cmp_ne_u32_e32 vcc, 0, v34
	v_lshl_add_u64 v[4:5], v[4:5], 0, v[10:11]
	s_nop 0
	v_cndmask_b32_e64 v12, 0, 1, vcc
	s_waitcnt vmcnt(2)
	v_cmp_ne_u32_e32 vcc, 0, v35
	v_lshl_add_u64 v[4:5], v[4:5], 0, v[12:13]
	v_lshl_add_u64 v[4:5], v[4:5], 0, v[14:15]
	v_cndmask_b32_e64 v16, 0, 1, vcc
	s_waitcnt vmcnt(1)
	v_cmp_ne_u32_e32 vcc, 0, v36
	v_lshl_add_u64 v[4:5], v[4:5], 0, v[16:17]
	s_nop 0
	v_cndmask_b32_e64 v18, 0, 1, vcc
	s_waitcnt vmcnt(0)
	v_cmp_ne_u32_e32 vcc, 0, v37
	v_lshl_add_u64 v[4:5], v[4:5], 0, v[18:19]
	s_nop 0
	v_cndmask_b32_e64 v20, 0, 1, vcc
	v_lshl_add_u64 v[4:5], v[4:5], 0, v[20:21]
	v_lshl_add_u64 v[4:5], v[4:5], 0, v[22:23]
	;; [unrolled: 1-line block ×5, first 2 shown]
	v_cmp_eq_u32_e32 vcc, 0, v1
	s_nop 0
	v_mov_b32_dpp v2, v4 quad_perm:[1,0,3,2] row_mask:0xf bank_mask:0xf bound_ctrl:1
	v_lshl_add_u64 v[4:5], v[4:5], 0, v[2:3]
	v_lshl_add_u64 v[6:7], v[30:31], 0, v[4:5]
	s_nop 0
	v_mov_b32_dpp v2, v4 quad_perm:[2,3,0,1] row_mask:0xf bank_mask:0xf bound_ctrl:1
	v_mov_b32_dpp v5, v7 quad_perm:[2,3,0,1] row_mask:0xf bank_mask:0xf bound_ctrl:1
	v_mov_b32_e32 v4, v3
	v_lshl_add_u64 v[6:7], v[6:7], 0, v[2:3]
	v_lshl_add_u64 v[4:5], v[6:7], 0, v[4:5]
	s_nop 0
	v_mov_b32_dpp v2, v6 row_ror:4 row_mask:0xf bank_mask:0xf bound_ctrl:1
	v_mov_b32_dpp v7, v5 row_ror:4 row_mask:0xf bank_mask:0xf bound_ctrl:1
	v_mov_b32_e32 v6, v3
	v_lshl_add_u64 v[4:5], v[4:5], 0, v[2:3]
	v_lshl_add_u64 v[6:7], v[4:5], 0, v[6:7]
	s_nop 0
	v_mov_b32_dpp v2, v4 row_ror:8 row_mask:0xf bank_mask:0xf bound_ctrl:1
	v_mov_b32_dpp v5, v7 row_ror:8 row_mask:0xf bank_mask:0xf bound_ctrl:1
	v_mov_b32_e32 v4, v3
	v_lshl_add_u64 v[6:7], v[6:7], 0, v[2:3]
	v_lshl_add_u64 v[4:5], v[6:7], 0, v[4:5]
	s_nop 0
	v_mov_b32_dpp v2, v6 row_bcast:15 row_mask:0xf bank_mask:0xf bound_ctrl:1
	v_mov_b32_dpp v7, v5 row_bcast:15 row_mask:0xf bank_mask:0xf bound_ctrl:1
	v_mov_b32_e32 v6, v3
	v_lshl_add_u64 v[4:5], v[4:5], 0, v[2:3]
	v_lshl_add_u64 v[6:7], v[4:5], 0, v[6:7]
	s_nop 0
	v_mov_b32_dpp v2, v4 row_bcast:31 row_mask:0xf bank_mask:0xf bound_ctrl:1
	v_lshl_add_u64 v[2:3], v[6:7], 0, v[2:3]
	v_lshlrev_b32_e32 v4, 2, v1
	v_or_b32_e32 v5, 0xfc, v4
	v_add_u32_dpp v3, v7, v3 row_bcast:31 row_mask:0xf bank_mask:0xf bound_ctrl:1
	ds_bpermute_b32 v2, v5, v2
	ds_bpermute_b32 v3, v5, v3
	s_and_saveexec_b64 s[6:7], vcc
	s_cbranch_execz .LBB176_520
; %bb.519:
	v_lshrrev_b32_e32 v5, 3, v0
	v_and_b32_e32 v5, 24, v5
	s_waitcnt lgkmcnt(0)
	ds_write_b64 v5, v[2:3] offset:32
.LBB176_520:
	s_or_b64 exec, exec, s[6:7]
	v_cmp_gt_u32_e32 vcc, 64, v0
	s_waitcnt lgkmcnt(0)
	s_barrier
	s_and_saveexec_b64 s[6:7], vcc
	s_cbranch_execz .LBB176_522
; %bb.521:
	v_and_b32_e32 v5, 3, v1
	v_lshlrev_b32_e32 v2, 3, v5
	ds_read_b64 v[2:3], v2 offset:32
	v_cmp_ne_u32_e32 vcc, 3, v5
	v_mov_b32_e32 v8, 0
	v_mov_b32_e32 v7, v8
	v_addc_co_u32_e32 v1, vcc, 0, v1, vcc
	v_lshlrev_b32_e32 v1, 2, v1
	s_waitcnt lgkmcnt(0)
	ds_bpermute_b32 v6, v1, v2
	ds_bpermute_b32 v9, v1, v3
	v_or_b32_e32 v1, 8, v4
	s_waitcnt lgkmcnt(1)
	v_lshl_add_u64 v[2:3], v[2:3], 0, v[6:7]
	s_waitcnt lgkmcnt(0)
	v_lshl_add_u64 v[4:5], v[8:9], 0, v[2:3]
	ds_bpermute_b32 v2, v1, v2
	ds_bpermute_b32 v9, v1, v5
	v_mov_b32_e32 v3, v8
	s_waitcnt lgkmcnt(1)
	v_lshl_add_u64 v[2:3], v[4:5], 0, v[2:3]
	s_waitcnt lgkmcnt(0)
	v_lshl_add_u64 v[2:3], v[2:3], 0, v[8:9]
.LBB176_522:
	s_or_b64 exec, exec, s[6:7]
	s_mov_b64 s[6:7], 0
	s_branch .LBB176_524
.LBB176_523:
	s_mov_b64 s[6:7], -1
                                        ; implicit-def: $vgpr2_vgpr3
.LBB176_524:
	s_and_b64 vcc, exec, s[6:7]
	s_cbranch_vccz .LBB176_566
; %bb.525:
	s_sub_i32 s44, s36, s4
	v_mov_b32_e32 v2, 0
	v_cmp_gt_u32_e32 vcc, s44, v0
	v_mov_b32_e32 v3, v2
	v_mov_b32_e32 v4, v2
	;; [unrolled: 1-line block ×4, first 2 shown]
	s_waitcnt lgkmcnt(0)
	v_mov_b32_e32 v7, v2
	v_mov_b32_e32 v8, v2
	;; [unrolled: 1-line block ×27, first 2 shown]
	s_and_saveexec_b64 s[4:5], vcc
	s_cbranch_execz .LBB176_527
; %bb.526:
	v_lshlrev_b32_e32 v1, 2, v0
	global_load_dword v1, v1, s[34:35]
	v_mov_b32_e32 v3, v2
	v_mov_b32_e32 v4, v2
	;; [unrolled: 1-line block ×31, first 2 shown]
	s_waitcnt vmcnt(0)
	v_cmp_ne_u32_e32 vcc, 0, v1
	s_nop 1
	v_cndmask_b32_e64 v2, 0, 1, vcc
.LBB176_527:
	s_or_b64 exec, exec, s[4:5]
	v_or_b32_e32 v1, 0x100, v0
	v_cmp_gt_u32_e32 vcc, s44, v1
	s_and_saveexec_b64 s[6:7], vcc
	s_cbranch_execz .LBB176_529
; %bb.528:
	v_lshlrev_b32_e32 v1, 2, v0
	global_load_dword v1, v1, s[34:35] offset:1024
	s_mov_b32 s8, 0
	v_mov_b32_e32 v5, s8
	s_waitcnt vmcnt(0)
	v_cmp_ne_u32_e64 s[4:5], 0, v1
	s_nop 1
	v_cndmask_b32_e64 v4, 0, 1, s[4:5]
.LBB176_529:
	s_or_b64 exec, exec, s[6:7]
	v_or_b32_e32 v1, 0x200, v0
	v_cmp_gt_u32_e64 s[4:5], s44, v1
	s_and_saveexec_b64 s[8:9], s[4:5]
	s_cbranch_execz .LBB176_531
; %bb.530:
	v_lshlrev_b32_e32 v1, 2, v0
	global_load_dword v1, v1, s[34:35] offset:2048
	s_mov_b32 s10, 0
	v_mov_b32_e32 v7, s10
	s_waitcnt vmcnt(0)
	v_cmp_ne_u32_e64 s[6:7], 0, v1
	s_nop 1
	v_cndmask_b32_e64 v6, 0, 1, s[6:7]
.LBB176_531:
	s_or_b64 exec, exec, s[8:9]
	v_or_b32_e32 v1, 0x300, v0
	v_cmp_gt_u32_e64 s[6:7], s44, v1
	s_and_saveexec_b64 s[10:11], s[6:7]
	;; [unrolled: 15-line block ×3, first 2 shown]
	s_cbranch_execz .LBB176_535
; %bb.534:
	v_lshlrev_b32_e32 v1, 2, v1
	global_load_dword v1, v1, s[34:35]
	s_mov_b32 s14, 0
	v_mov_b32_e32 v11, s14
	s_waitcnt vmcnt(0)
	v_cmp_ne_u32_e64 s[10:11], 0, v1
	s_nop 1
	v_cndmask_b32_e64 v10, 0, 1, s[10:11]
.LBB176_535:
	s_or_b64 exec, exec, s[12:13]
	v_or_b32_e32 v1, 0x500, v0
	v_cmp_gt_u32_e64 s[10:11], s44, v1
	s_and_saveexec_b64 s[14:15], s[10:11]
	s_cbranch_execz .LBB176_537
; %bb.536:
	v_lshlrev_b32_e32 v1, 2, v1
	global_load_dword v1, v1, s[34:35]
	s_mov_b32 s16, 0
	v_mov_b32_e32 v13, s16
	s_waitcnt vmcnt(0)
	v_cmp_ne_u32_e64 s[12:13], 0, v1
	s_nop 1
	v_cndmask_b32_e64 v12, 0, 1, s[12:13]
.LBB176_537:
	s_or_b64 exec, exec, s[14:15]
	v_or_b32_e32 v1, 0x600, v0
	v_cmp_gt_u32_e64 s[12:13], s44, v1
	s_and_saveexec_b64 s[16:17], s[12:13]
	;; [unrolled: 15-line block ×11, first 2 shown]
	s_cbranch_execz .LBB176_557
; %bb.556:
	v_lshlrev_b32_e32 v1, 2, v1
	global_load_dword v1, v1, s[34:35]
	s_mov_b32 s45, 0
	v_mov_b32_e32 v33, s45
	s_waitcnt vmcnt(0)
	v_cmp_ne_u32_e64 s[34:35], 0, v1
	s_nop 1
	v_cndmask_b32_e64 v32, 0, 1, s[34:35]
.LBB176_557:
	s_or_b64 exec, exec, s[42:43]
	v_cndmask_b32_e32 v5, 0, v5, vcc
	v_cndmask_b32_e32 v4, 0, v4, vcc
	v_lshl_add_u64 v[2:3], v[4:5], 0, v[2:3]
	v_cndmask_b32_e64 v5, 0, v7, s[4:5]
	v_cndmask_b32_e64 v4, 0, v6, s[4:5]
	v_lshl_add_u64 v[2:3], v[2:3], 0, v[4:5]
	v_cndmask_b32_e64 v5, 0, v9, s[6:7]
	v_cndmask_b32_e64 v4, 0, v8, s[6:7]
	;; [unrolled: 3-line block ×12, first 2 shown]
	v_mbcnt_lo_u32_b32 v1, -1, 0
	v_lshl_add_u64 v[2:3], v[2:3], 0, v[4:5]
	v_cndmask_b32_e64 v5, 0, v31, s[28:29]
	v_cndmask_b32_e64 v4, 0, v30, s[28:29]
	v_mbcnt_hi_u32_b32 v1, -1, v1
	v_lshl_add_u64 v[2:3], v[2:3], 0, v[4:5]
	v_cndmask_b32_e64 v5, 0, v33, s[30:31]
	v_cndmask_b32_e64 v4, 0, v32, s[30:31]
	v_and_b32_e32 v9, 63, v1
	v_lshl_add_u64 v[2:3], v[2:3], 0, v[4:5]
	s_min_u32 s8, s44, 0x100
	v_and_b32_e32 v4, 0xc0, v0
	v_cmp_ne_u32_e32 vcc, 63, v9
	v_sub_u32_e64 v8, s8, v4 clamp
	v_mov_b32_e32 v6, 0
	v_addc_co_u32_e32 v4, vcc, 0, v1, vcc
	v_lshlrev_b32_e32 v5, 2, v4
	ds_bpermute_b32 v4, v5, v2
	ds_bpermute_b32 v7, v5, v3
	v_add_u32_e32 v10, 1, v9
	v_mov_b32_e32 v5, v6
	v_cmp_lt_u32_e64 s[4:5], v10, v8
	s_waitcnt lgkmcnt(1)
	v_lshl_add_u64 v[4:5], v[2:3], 0, v[4:5]
	v_cmp_gt_u32_e32 vcc, 62, v9
	s_waitcnt lgkmcnt(0)
	v_lshl_add_u64 v[6:7], v[4:5], 0, v[6:7]
	v_cndmask_b32_e64 v12, v2, v4, s[4:5]
	v_cndmask_b32_e64 v4, 0, 2, vcc
	v_cndmask_b32_e64 v5, v3, v7, s[4:5]
	v_add_lshl_u32 v4, v4, v1, 2
	ds_bpermute_b32 v10, v4, v12
	ds_bpermute_b32 v11, v4, v5
	v_cndmask_b32_e64 v4, v2, v6, s[4:5]
	v_add_u32_e32 v13, 2, v9
	v_cmp_lt_u32_e32 vcc, v13, v8
	v_cmp_gt_u32_e64 s[6:7], 60, v9
	s_waitcnt lgkmcnt(0)
	v_lshl_add_u64 v[6:7], v[10:11], 0, v[4:5]
	v_cndmask_b32_e32 v5, v5, v7, vcc
	v_cndmask_b32_e64 v7, 0, 4, s[6:7]
	v_cndmask_b32_e32 v12, v12, v6, vcc
	v_add_lshl_u32 v7, v7, v1, 2
	ds_bpermute_b32 v10, v7, v12
	ds_bpermute_b32 v11, v7, v5
	v_cndmask_b32_e32 v4, v4, v6, vcc
	v_add_u32_e32 v13, 4, v9
	v_cmp_lt_u32_e32 vcc, v13, v8
	v_cmp_gt_u32_e64 s[6:7], 56, v9
	s_waitcnt lgkmcnt(0)
	v_lshl_add_u64 v[6:7], v[10:11], 0, v[4:5]
	v_cndmask_b32_e32 v5, v5, v7, vcc
	v_cndmask_b32_e64 v7, 0, 8, s[6:7]
	v_cndmask_b32_e32 v12, v12, v6, vcc
	v_add_lshl_u32 v7, v7, v1, 2
	ds_bpermute_b32 v10, v7, v12
	ds_bpermute_b32 v11, v7, v5
	v_cndmask_b32_e32 v4, v4, v6, vcc
	;; [unrolled: 12-line block ×3, first 2 shown]
	v_add_u32_e32 v13, 16, v9
	v_cmp_lt_u32_e32 vcc, v13, v8
	s_waitcnt lgkmcnt(0)
	v_lshl_add_u64 v[6:7], v[10:11], 0, v[4:5]
	v_lshlrev_b32_e32 v10, 2, v1
	v_cndmask_b32_e32 v13, v5, v7, vcc
	v_cndmask_b32_e32 v11, v12, v6, vcc
	v_or_b32_e32 v12, 0x80, v10
	ds_bpermute_b32 v11, v12, v11
	ds_bpermute_b32 v12, v12, v13
	s_and_saveexec_b64 s[6:7], s[4:5]
	s_cbranch_execz .LBB176_559
; %bb.558:
	v_add_u32_e32 v9, 32, v9
	v_cndmask_b32_e32 v3, v5, v7, vcc
	v_cndmask_b32_e32 v2, v4, v6, vcc
	v_cmp_lt_u32_e32 vcc, v9, v8
	s_waitcnt lgkmcnt(0)
	s_nop 0
	v_cndmask_b32_e32 v5, 0, v12, vcc
	v_cndmask_b32_e32 v4, 0, v11, vcc
	v_lshl_add_u64 v[2:3], v[2:3], 0, v[4:5]
.LBB176_559:
	s_or_b64 exec, exec, s[6:7]
	v_cmp_eq_u32_e32 vcc, 0, v1
	s_and_saveexec_b64 s[4:5], vcc
; %bb.560:
	v_lshrrev_b32_e32 v4, 3, v0
	v_and_b32_e32 v4, 24, v4
	ds_write_b64 v4, v[2:3] offset:256
; %bb.561:
	s_or_b64 exec, exec, s[4:5]
	v_cmp_gt_u32_e32 vcc, 4, v0
	s_waitcnt lgkmcnt(0)
	s_barrier
	s_and_saveexec_b64 s[4:5], vcc
	s_cbranch_execz .LBB176_565
; %bb.562:
	v_lshlrev_b32_e32 v2, 3, v1
	ds_read_b64 v[2:3], v2 offset:256
	v_and_b32_e32 v6, 3, v1
	v_cmp_ne_u32_e32 vcc, 3, v6
	v_mov_b32_e32 v8, 0
	s_add_i32 s8, s8, 63
	v_addc_co_u32_e32 v1, vcc, 0, v1, vcc
	v_lshlrev_b32_e32 v1, 2, v1
	s_waitcnt lgkmcnt(0)
	ds_bpermute_b32 v4, v1, v2
	ds_bpermute_b32 v9, v1, v3
	v_mov_b32_e32 v5, v8
	s_lshr_b32 s8, s8, 6
	v_add_u32_e32 v1, 1, v6
	s_waitcnt lgkmcnt(1)
	v_lshl_add_u64 v[12:13], v[2:3], 0, v[4:5]
	s_waitcnt lgkmcnt(0)
	v_lshl_add_u64 v[4:5], v[8:9], 0, v[12:13]
	v_cmp_gt_u32_e32 vcc, s8, v1
	v_or_b32_e32 v8, 8, v10
	s_nop 0
	v_cndmask_b32_e32 v7, v3, v5, vcc
	v_cndmask_b32_e32 v1, v2, v12, vcc
	ds_bpermute_b32 v1, v8, v1
	ds_bpermute_b32 v7, v8, v7
	s_and_saveexec_b64 s[6:7], vcc
	s_cbranch_execz .LBB176_564
; %bb.563:
	v_add_u32_e32 v2, 2, v6
	v_cmp_gt_u32_e32 vcc, s8, v2
	s_waitcnt lgkmcnt(0)
	s_nop 0
	v_cndmask_b32_e32 v3, 0, v7, vcc
	v_cndmask_b32_e32 v2, 0, v1, vcc
	v_lshl_add_u64 v[2:3], v[2:3], 0, v[4:5]
.LBB176_564:
	s_or_b64 exec, exec, s[6:7]
.LBB176_565:
	s_or_b64 exec, exec, s[4:5]
.LBB176_566:
	v_cmp_eq_u32_e64 s[4:5], 0, v0
	v_mov_b64_e32 v[4:5], s[2:3]
.LBB176_567:
	s_branch .LBB176_683
.LBB176_568:
	s_cmp_gt_i32 s33, 3
	s_cbranch_scc0 .LBB176_577
; %bb.569:
	s_cmp_gt_i32 s33, 7
	s_cbranch_scc0 .LBB176_578
; %bb.570:
	s_cmp_eq_u32 s33, 8
                                        ; implicit-def: $vgpr2_vgpr3
                                        ; implicit-def: $vgpr4_vgpr5
	s_cbranch_scc0 .LBB176_579
; %bb.571:
	s_mov_b32 s3, 0
	s_lshl_b32 s4, s2, 11
	s_mov_b32 s5, s3
	s_lshr_b64 s[6:7], s[36:37], 11
	s_lshl_b64 s[8:9], s[4:5], 2
	s_add_u32 s16, s40, s8
	s_addc_u32 s17, s41, s9
	s_cmp_lg_u64 s[6:7], s[2:3]
	s_cbranch_scc0 .LBB176_580
; %bb.572:
	v_lshlrev_b32_e32 v2, 2, v0
	global_load_dword v8, v2, s[16:17]
	global_load_dword v6, v2, s[16:17] offset:3072
	global_load_dword v10, v2, s[16:17] offset:1024
	;; [unrolled: 1-line block ×3, first 2 shown]
	v_mov_b32_e32 v3, 0
	v_lshl_add_u64 v[4:5], s[16:17], 0, v[2:3]
	v_add_co_u32_e32 v4, vcc, 0x1000, v4
	s_waitcnt lgkmcnt(0)
	v_mov_b32_e32 v7, s3
	v_addc_co_u32_e32 v5, vcc, 0, v5, vcc
	global_load_dword v14, v[4:5], off
	global_load_dword v19, v[4:5], off offset:1024
	global_load_dword v21, v[4:5], off offset:2048
	;; [unrolled: 1-line block ×3, first 2 shown]
	v_mov_b32_e32 v9, s3
	v_mov_b32_e32 v11, s3
	;; [unrolled: 1-line block ×4, first 2 shown]
	v_mov_b32_dpp v17, v3 quad_perm:[1,0,3,2] row_mask:0xf bank_mask:0xf bound_ctrl:1
	v_mov_b32_e32 v16, v3
	v_mov_b32_e32 v18, v3
	;; [unrolled: 1-line block ×4, first 2 shown]
	v_mbcnt_lo_u32_b32 v1, -1, 0
	v_mov_b32_e32 v24, v3
	v_mbcnt_hi_u32_b32 v1, -1, v1
	v_lshlrev_b32_e32 v4, 2, v1
	v_or_b32_e32 v5, 0xfc, v4
	s_waitcnt vmcnt(6)
	v_cmp_ne_u32_e32 vcc, 0, v6
	s_nop 1
	v_cndmask_b32_e64 v6, 0, 1, vcc
	s_waitcnt vmcnt(5)
	v_cmp_ne_u32_e32 vcc, 0, v10
	s_nop 1
	v_cndmask_b32_e64 v2, 0, 1, vcc
	v_cmp_ne_u32_e32 vcc, 0, v8
	s_nop 1
	v_cndmask_b32_e64 v8, 0, 1, vcc
	s_waitcnt vmcnt(4)
	v_cmp_ne_u32_e32 vcc, 0, v12
	s_nop 1
	v_addc_co_u32_e32 v2, vcc, v2, v8, vcc
	s_waitcnt vmcnt(3)
	v_cmp_ne_u32_e32 vcc, 0, v14
	v_lshl_add_u64 v[6:7], v[2:3], 0, v[6:7]
	s_nop 0
	v_cndmask_b32_e64 v8, 0, 1, vcc
	s_waitcnt vmcnt(2)
	v_cmp_ne_u32_e32 vcc, 0, v19
	v_lshl_add_u64 v[6:7], v[6:7], 0, v[8:9]
	s_nop 0
	v_cndmask_b32_e64 v10, 0, 1, vcc
	;; [unrolled: 5-line block ×4, first 2 shown]
	v_lshl_add_u64 v[6:7], v[6:7], 0, v[14:15]
	v_cmp_eq_u32_e32 vcc, 0, v1
	s_nop 0
	v_mov_b32_dpp v2, v6 quad_perm:[1,0,3,2] row_mask:0xf bank_mask:0xf bound_ctrl:1
	v_lshl_add_u64 v[6:7], v[6:7], 0, v[2:3]
	v_lshl_add_u64 v[8:9], v[16:17], 0, v[6:7]
	s_nop 0
	v_mov_b32_dpp v2, v6 quad_perm:[2,3,0,1] row_mask:0xf bank_mask:0xf bound_ctrl:1
	v_mov_b32_dpp v19, v9 quad_perm:[2,3,0,1] row_mask:0xf bank_mask:0xf bound_ctrl:1
	v_lshl_add_u64 v[6:7], v[8:9], 0, v[2:3]
	v_lshl_add_u64 v[8:9], v[6:7], 0, v[18:19]
	s_nop 0
	v_mov_b32_dpp v2, v6 row_ror:4 row_mask:0xf bank_mask:0xf bound_ctrl:1
	v_mov_b32_dpp v21, v9 row_ror:4 row_mask:0xf bank_mask:0xf bound_ctrl:1
	v_lshl_add_u64 v[6:7], v[8:9], 0, v[2:3]
	v_lshl_add_u64 v[8:9], v[6:7], 0, v[20:21]
	s_nop 0
	v_mov_b32_dpp v2, v6 row_ror:8 row_mask:0xf bank_mask:0xf bound_ctrl:1
	v_mov_b32_dpp v23, v9 row_ror:8 row_mask:0xf bank_mask:0xf bound_ctrl:1
	v_lshl_add_u64 v[6:7], v[8:9], 0, v[2:3]
	v_lshl_add_u64 v[8:9], v[6:7], 0, v[22:23]
	s_nop 0
	v_mov_b32_dpp v2, v6 row_bcast:15 row_mask:0xf bank_mask:0xf bound_ctrl:1
	v_mov_b32_dpp v25, v9 row_bcast:15 row_mask:0xf bank_mask:0xf bound_ctrl:1
	v_lshl_add_u64 v[6:7], v[8:9], 0, v[2:3]
	v_lshl_add_u64 v[8:9], v[6:7], 0, v[24:25]
	s_nop 0
	v_mov_b32_dpp v2, v6 row_bcast:31 row_mask:0xf bank_mask:0xf bound_ctrl:1
	v_lshl_add_u64 v[2:3], v[8:9], 0, v[2:3]
	ds_bpermute_b32 v2, v5, v2
	s_nop 0
	v_add_u32_dpp v3, v9, v3 row_bcast:31 row_mask:0xf bank_mask:0xf bound_ctrl:1
	ds_bpermute_b32 v3, v5, v3
	s_and_saveexec_b64 s[6:7], vcc
	s_cbranch_execz .LBB176_574
; %bb.573:
	v_lshrrev_b32_e32 v5, 3, v0
	v_and_b32_e32 v5, 24, v5
	s_waitcnt lgkmcnt(0)
	ds_write_b64 v5, v[2:3] offset:224
.LBB176_574:
	s_or_b64 exec, exec, s[6:7]
	v_cmp_gt_u32_e32 vcc, 64, v0
	s_waitcnt lgkmcnt(0)
	s_barrier
	s_and_saveexec_b64 s[6:7], vcc
	s_cbranch_execz .LBB176_576
; %bb.575:
	v_and_b32_e32 v5, 3, v1
	v_lshlrev_b32_e32 v2, 3, v5
	ds_read_b64 v[2:3], v2 offset:224
	v_cmp_ne_u32_e32 vcc, 3, v5
	v_mov_b32_e32 v8, 0
	v_mov_b32_e32 v7, v8
	v_addc_co_u32_e32 v1, vcc, 0, v1, vcc
	v_lshlrev_b32_e32 v1, 2, v1
	s_waitcnt lgkmcnt(0)
	ds_bpermute_b32 v6, v1, v2
	ds_bpermute_b32 v9, v1, v3
	v_or_b32_e32 v1, 8, v4
	s_waitcnt lgkmcnt(1)
	v_lshl_add_u64 v[2:3], v[2:3], 0, v[6:7]
	s_waitcnt lgkmcnt(0)
	v_lshl_add_u64 v[4:5], v[8:9], 0, v[2:3]
	ds_bpermute_b32 v2, v1, v2
	ds_bpermute_b32 v9, v1, v5
	v_mov_b32_e32 v3, v8
	s_waitcnt lgkmcnt(1)
	v_lshl_add_u64 v[2:3], v[4:5], 0, v[2:3]
	s_waitcnt lgkmcnt(0)
	v_lshl_add_u64 v[2:3], v[2:3], 0, v[8:9]
.LBB176_576:
	s_or_b64 exec, exec, s[6:7]
	s_mov_b64 s[6:7], 0
	s_branch .LBB176_581
.LBB176_577:
                                        ; implicit-def: $vgpr2_vgpr3
                                        ; implicit-def: $vgpr4_vgpr5
	s_cbranch_execnz .LBB176_636
	s_branch .LBB176_683
.LBB176_578:
                                        ; implicit-def: $vgpr2_vgpr3
                                        ; implicit-def: $vgpr4_vgpr5
	s_cbranch_execnz .LBB176_608
	s_branch .LBB176_635
.LBB176_579:
	s_branch .LBB176_635
.LBB176_580:
	s_mov_b64 s[6:7], -1
                                        ; implicit-def: $vgpr2_vgpr3
.LBB176_581:
	s_and_b64 vcc, exec, s[6:7]
	s_cbranch_vccz .LBB176_607
; %bb.582:
	s_sub_i32 s20, s36, s4
	v_mov_b32_e32 v2, 0
	v_cmp_gt_u32_e32 vcc, s20, v0
	v_mov_b32_e32 v3, v2
	v_mov_b32_e32 v4, v2
	;; [unrolled: 1-line block ×4, first 2 shown]
	s_waitcnt lgkmcnt(0)
	v_mov_b32_e32 v7, v2
	v_mov_b32_e32 v8, v2
	;; [unrolled: 1-line block ×11, first 2 shown]
	s_and_saveexec_b64 s[4:5], vcc
	s_cbranch_execz .LBB176_584
; %bb.583:
	v_lshlrev_b32_e32 v1, 2, v0
	global_load_dword v1, v1, s[16:17]
	v_mov_b32_e32 v5, v2
	v_mov_b32_e32 v6, v2
	;; [unrolled: 1-line block ×15, first 2 shown]
	s_waitcnt vmcnt(0)
	v_cmp_ne_u32_e32 vcc, 0, v1
	s_nop 1
	v_cndmask_b32_e64 v1, 0, 1, vcc
	v_and_b32_e32 v4, 0xffff, v1
	v_mov_b64_e32 v[2:3], v[4:5]
	v_mov_b64_e32 v[4:5], v[6:7]
	v_mov_b64_e32 v[6:7], v[8:9]
	v_mov_b64_e32 v[8:9], v[10:11]
	v_mov_b64_e32 v[10:11], v[12:13]
	v_mov_b64_e32 v[12:13], v[14:15]
	v_mov_b64_e32 v[14:15], v[16:17]
	v_mov_b64_e32 v[16:17], v[18:19]
.LBB176_584:
	s_or_b64 exec, exec, s[4:5]
	v_or_b32_e32 v1, 0x100, v0
	v_cmp_gt_u32_e32 vcc, s20, v1
	s_and_saveexec_b64 s[6:7], vcc
	s_cbranch_execz .LBB176_586
; %bb.585:
	v_lshlrev_b32_e32 v1, 2, v0
	global_load_dword v1, v1, s[16:17] offset:1024
	s_mov_b32 s8, 0
	v_mov_b32_e32 v5, s8
	s_waitcnt vmcnt(0)
	v_cmp_ne_u32_e64 s[4:5], 0, v1
	s_nop 1
	v_cndmask_b32_e64 v4, 0, 1, s[4:5]
.LBB176_586:
	s_or_b64 exec, exec, s[6:7]
	v_or_b32_e32 v1, 0x200, v0
	v_cmp_gt_u32_e64 s[4:5], s20, v1
	s_and_saveexec_b64 s[8:9], s[4:5]
	s_cbranch_execz .LBB176_588
; %bb.587:
	v_lshlrev_b32_e32 v1, 2, v0
	global_load_dword v1, v1, s[16:17] offset:2048
	s_mov_b32 s10, 0
	v_mov_b32_e32 v7, s10
	s_waitcnt vmcnt(0)
	v_cmp_ne_u32_e64 s[6:7], 0, v1
	s_nop 1
	v_cndmask_b32_e64 v6, 0, 1, s[6:7]
.LBB176_588:
	s_or_b64 exec, exec, s[8:9]
	v_or_b32_e32 v1, 0x300, v0
	v_cmp_gt_u32_e64 s[6:7], s20, v1
	s_and_saveexec_b64 s[10:11], s[6:7]
	s_cbranch_execz .LBB176_590
; %bb.589:
	v_lshlrev_b32_e32 v1, 2, v0
	global_load_dword v1, v1, s[16:17] offset:3072
	s_mov_b32 s12, 0
	v_mov_b32_e32 v9, s12
	s_waitcnt vmcnt(0)
	v_cmp_ne_u32_e64 s[8:9], 0, v1
	s_nop 1
	v_cndmask_b32_e64 v8, 0, 1, s[8:9]
.LBB176_590:
	s_or_b64 exec, exec, s[10:11]
	v_or_b32_e32 v1, 0x400, v0
	v_cmp_gt_u32_e64 s[8:9], s20, v1
	s_and_saveexec_b64 s[12:13], s[8:9]
	s_cbranch_execz .LBB176_592
; %bb.591:
	v_lshlrev_b32_e32 v1, 2, v1
	global_load_dword v1, v1, s[16:17]
	s_mov_b32 s14, 0
	v_mov_b32_e32 v11, s14
	s_waitcnt vmcnt(0)
	v_cmp_ne_u32_e64 s[10:11], 0, v1
	s_nop 1
	v_cndmask_b32_e64 v10, 0, 1, s[10:11]
.LBB176_592:
	s_or_b64 exec, exec, s[12:13]
	v_or_b32_e32 v1, 0x500, v0
	v_cmp_gt_u32_e64 s[10:11], s20, v1
	s_and_saveexec_b64 s[14:15], s[10:11]
	s_cbranch_execz .LBB176_594
; %bb.593:
	v_lshlrev_b32_e32 v1, 2, v1
	global_load_dword v1, v1, s[16:17]
	s_mov_b32 s18, 0
	v_mov_b32_e32 v13, s18
	s_waitcnt vmcnt(0)
	v_cmp_ne_u32_e64 s[12:13], 0, v1
	s_nop 1
	v_cndmask_b32_e64 v12, 0, 1, s[12:13]
.LBB176_594:
	s_or_b64 exec, exec, s[14:15]
	v_or_b32_e32 v1, 0x600, v0
	v_cmp_gt_u32_e64 s[12:13], s20, v1
	s_and_saveexec_b64 s[18:19], s[12:13]
	;; [unrolled: 15-line block ×3, first 2 shown]
	s_cbranch_execz .LBB176_598
; %bb.597:
	v_lshlrev_b32_e32 v1, 2, v1
	global_load_dword v1, v1, s[16:17]
	s_mov_b32 s21, 0
	v_mov_b32_e32 v17, s21
	s_waitcnt vmcnt(0)
	v_cmp_ne_u32_e64 s[16:17], 0, v1
	s_nop 1
	v_cndmask_b32_e64 v16, 0, 1, s[16:17]
.LBB176_598:
	s_or_b64 exec, exec, s[18:19]
	v_cndmask_b32_e32 v5, 0, v5, vcc
	v_cndmask_b32_e32 v4, 0, v4, vcc
	v_lshl_add_u64 v[2:3], v[4:5], 0, v[2:3]
	v_cndmask_b32_e64 v5, 0, v7, s[4:5]
	v_cndmask_b32_e64 v4, 0, v6, s[4:5]
	v_lshl_add_u64 v[2:3], v[2:3], 0, v[4:5]
	v_cndmask_b32_e64 v5, 0, v9, s[6:7]
	v_cndmask_b32_e64 v4, 0, v8, s[6:7]
	;; [unrolled: 3-line block ×4, first 2 shown]
	v_mbcnt_lo_u32_b32 v1, -1, 0
	v_lshl_add_u64 v[2:3], v[2:3], 0, v[4:5]
	v_cndmask_b32_e64 v5, 0, v15, s[12:13]
	v_cndmask_b32_e64 v4, 0, v14, s[12:13]
	v_mbcnt_hi_u32_b32 v1, -1, v1
	v_lshl_add_u64 v[2:3], v[2:3], 0, v[4:5]
	v_cndmask_b32_e64 v5, 0, v17, s[14:15]
	v_cndmask_b32_e64 v4, 0, v16, s[14:15]
	v_and_b32_e32 v9, 63, v1
	v_lshl_add_u64 v[2:3], v[2:3], 0, v[4:5]
	s_min_u32 s8, s20, 0x100
	v_and_b32_e32 v4, 0xc0, v0
	v_cmp_ne_u32_e32 vcc, 63, v9
	v_sub_u32_e64 v8, s8, v4 clamp
	v_mov_b32_e32 v6, 0
	v_addc_co_u32_e32 v4, vcc, 0, v1, vcc
	v_lshlrev_b32_e32 v5, 2, v4
	ds_bpermute_b32 v4, v5, v2
	ds_bpermute_b32 v7, v5, v3
	v_add_u32_e32 v10, 1, v9
	v_mov_b32_e32 v5, v6
	v_cmp_lt_u32_e64 s[4:5], v10, v8
	s_waitcnt lgkmcnt(1)
	v_lshl_add_u64 v[4:5], v[2:3], 0, v[4:5]
	v_cmp_gt_u32_e32 vcc, 62, v9
	s_waitcnt lgkmcnt(0)
	v_lshl_add_u64 v[6:7], v[4:5], 0, v[6:7]
	v_cndmask_b32_e64 v12, v2, v4, s[4:5]
	v_cndmask_b32_e64 v4, 0, 2, vcc
	v_cndmask_b32_e64 v5, v3, v7, s[4:5]
	v_add_lshl_u32 v4, v4, v1, 2
	ds_bpermute_b32 v10, v4, v12
	ds_bpermute_b32 v11, v4, v5
	v_cndmask_b32_e64 v4, v2, v6, s[4:5]
	v_add_u32_e32 v13, 2, v9
	v_cmp_lt_u32_e32 vcc, v13, v8
	v_cmp_gt_u32_e64 s[6:7], 60, v9
	s_waitcnt lgkmcnt(0)
	v_lshl_add_u64 v[6:7], v[10:11], 0, v[4:5]
	v_cndmask_b32_e32 v5, v5, v7, vcc
	v_cndmask_b32_e64 v7, 0, 4, s[6:7]
	v_cndmask_b32_e32 v12, v12, v6, vcc
	v_add_lshl_u32 v7, v7, v1, 2
	ds_bpermute_b32 v10, v7, v12
	ds_bpermute_b32 v11, v7, v5
	v_cndmask_b32_e32 v4, v4, v6, vcc
	v_add_u32_e32 v13, 4, v9
	v_cmp_lt_u32_e32 vcc, v13, v8
	v_cmp_gt_u32_e64 s[6:7], 56, v9
	s_waitcnt lgkmcnt(0)
	v_lshl_add_u64 v[6:7], v[10:11], 0, v[4:5]
	v_cndmask_b32_e32 v5, v5, v7, vcc
	v_cndmask_b32_e64 v7, 0, 8, s[6:7]
	v_cndmask_b32_e32 v12, v12, v6, vcc
	v_add_lshl_u32 v7, v7, v1, 2
	ds_bpermute_b32 v10, v7, v12
	ds_bpermute_b32 v11, v7, v5
	v_cndmask_b32_e32 v4, v4, v6, vcc
	;; [unrolled: 12-line block ×3, first 2 shown]
	v_add_u32_e32 v13, 16, v9
	v_cmp_lt_u32_e32 vcc, v13, v8
	s_waitcnt lgkmcnt(0)
	v_lshl_add_u64 v[6:7], v[10:11], 0, v[4:5]
	v_lshlrev_b32_e32 v10, 2, v1
	v_cndmask_b32_e32 v13, v5, v7, vcc
	v_cndmask_b32_e32 v11, v12, v6, vcc
	v_or_b32_e32 v12, 0x80, v10
	ds_bpermute_b32 v11, v12, v11
	ds_bpermute_b32 v12, v12, v13
	s_and_saveexec_b64 s[6:7], s[4:5]
	s_cbranch_execz .LBB176_600
; %bb.599:
	v_add_u32_e32 v9, 32, v9
	v_cndmask_b32_e32 v3, v5, v7, vcc
	v_cndmask_b32_e32 v2, v4, v6, vcc
	v_cmp_lt_u32_e32 vcc, v9, v8
	s_waitcnt lgkmcnt(0)
	s_nop 0
	v_cndmask_b32_e32 v5, 0, v12, vcc
	v_cndmask_b32_e32 v4, 0, v11, vcc
	v_lshl_add_u64 v[2:3], v[2:3], 0, v[4:5]
.LBB176_600:
	s_or_b64 exec, exec, s[6:7]
	v_cmp_eq_u32_e32 vcc, 0, v1
	s_and_saveexec_b64 s[4:5], vcc
; %bb.601:
	v_lshrrev_b32_e32 v4, 3, v0
	v_and_b32_e32 v4, 24, v4
	ds_write_b64 v4, v[2:3] offset:256
; %bb.602:
	s_or_b64 exec, exec, s[4:5]
	v_cmp_gt_u32_e32 vcc, 4, v0
	s_waitcnt lgkmcnt(0)
	s_barrier
	s_and_saveexec_b64 s[4:5], vcc
	s_cbranch_execz .LBB176_606
; %bb.603:
	v_lshlrev_b32_e32 v2, 3, v1
	ds_read_b64 v[2:3], v2 offset:256
	v_and_b32_e32 v6, 3, v1
	v_cmp_ne_u32_e32 vcc, 3, v6
	v_mov_b32_e32 v8, 0
	s_add_i32 s8, s8, 63
	v_addc_co_u32_e32 v1, vcc, 0, v1, vcc
	v_lshlrev_b32_e32 v1, 2, v1
	s_waitcnt lgkmcnt(0)
	ds_bpermute_b32 v4, v1, v2
	ds_bpermute_b32 v9, v1, v3
	v_mov_b32_e32 v5, v8
	s_lshr_b32 s8, s8, 6
	v_add_u32_e32 v1, 1, v6
	s_waitcnt lgkmcnt(1)
	v_lshl_add_u64 v[12:13], v[2:3], 0, v[4:5]
	s_waitcnt lgkmcnt(0)
	v_lshl_add_u64 v[4:5], v[8:9], 0, v[12:13]
	v_cmp_gt_u32_e32 vcc, s8, v1
	v_or_b32_e32 v8, 8, v10
	s_nop 0
	v_cndmask_b32_e32 v7, v3, v5, vcc
	v_cndmask_b32_e32 v1, v2, v12, vcc
	ds_bpermute_b32 v1, v8, v1
	ds_bpermute_b32 v7, v8, v7
	s_and_saveexec_b64 s[6:7], vcc
	s_cbranch_execz .LBB176_605
; %bb.604:
	v_add_u32_e32 v2, 2, v6
	v_cmp_gt_u32_e32 vcc, s8, v2
	s_waitcnt lgkmcnt(0)
	s_nop 0
	v_cndmask_b32_e32 v3, 0, v7, vcc
	v_cndmask_b32_e32 v2, 0, v1, vcc
	v_lshl_add_u64 v[2:3], v[2:3], 0, v[4:5]
.LBB176_605:
	s_or_b64 exec, exec, s[6:7]
.LBB176_606:
	s_or_b64 exec, exec, s[4:5]
.LBB176_607:
	v_cmp_eq_u32_e64 s[4:5], 0, v0
	v_mov_b64_e32 v[4:5], s[2:3]
	s_branch .LBB176_635
.LBB176_608:
	s_cmp_eq_u32 s33, 4
                                        ; implicit-def: $vgpr2_vgpr3
                                        ; implicit-def: $vgpr4_vgpr5
	s_cbranch_scc0 .LBB176_635
; %bb.609:
	s_mov_b32 s3, 0
	s_lshl_b32 s4, s2, 10
	s_mov_b32 s5, s3
	s_lshr_b64 s[6:7], s[36:37], 10
	s_lshl_b64 s[8:9], s[4:5], 2
	s_add_u32 s8, s40, s8
	s_addc_u32 s9, s41, s9
	s_cmp_lg_u64 s[6:7], s[2:3]
	s_cbranch_scc0 .LBB176_615
; %bb.610:
	s_waitcnt lgkmcnt(1)
	v_lshlrev_b32_e32 v1, 2, v0
	global_load_dword v2, v1, s[8:9] offset:3072
	global_load_dword v5, v1, s[8:9] offset:1024
	global_load_dword v11, v1, s[8:9]
	global_load_dword v13, v1, s[8:9] offset:2048
	v_mov_b32_e32 v3, 0
	s_waitcnt lgkmcnt(0)
	v_mov_b32_e32 v7, s3
	v_mov_b32_e32 v8, v3
	v_mov_b32_dpp v9, v3 quad_perm:[1,0,3,2] row_mask:0xf bank_mask:0xf bound_ctrl:1
	v_mov_b32_e32 v10, v3
	v_mov_b32_e32 v12, v3
	;; [unrolled: 1-line block ×3, first 2 shown]
	v_mbcnt_lo_u32_b32 v1, -1, 0
	v_mov_b32_e32 v16, v3
	v_mbcnt_hi_u32_b32 v1, -1, v1
	v_lshlrev_b32_e32 v4, 2, v1
	v_or_b32_e32 v18, 0xfc, v4
	s_waitcnt vmcnt(3)
	v_cmp_ne_u32_e32 vcc, 0, v2
	s_nop 1
	v_cndmask_b32_e64 v6, 0, 1, vcc
	s_waitcnt vmcnt(2)
	v_cmp_ne_u32_e32 vcc, 0, v5
	s_nop 1
	v_cndmask_b32_e64 v2, 0, 1, vcc
	;; [unrolled: 4-line block ×3, first 2 shown]
	s_waitcnt vmcnt(0)
	v_cmp_ne_u32_e32 vcc, 0, v13
	s_nop 1
	v_addc_co_u32_e32 v2, vcc, v2, v5, vcc
	v_lshl_add_u64 v[6:7], v[2:3], 0, v[6:7]
	v_cmp_eq_u32_e32 vcc, 0, v1
	s_nop 0
	v_mov_b32_dpp v2, v6 quad_perm:[1,0,3,2] row_mask:0xf bank_mask:0xf bound_ctrl:1
	v_lshl_add_u64 v[6:7], v[6:7], 0, v[2:3]
	v_lshl_add_u64 v[8:9], v[8:9], 0, v[6:7]
	s_nop 0
	v_mov_b32_dpp v2, v6 quad_perm:[2,3,0,1] row_mask:0xf bank_mask:0xf bound_ctrl:1
	v_mov_b32_dpp v11, v9 quad_perm:[2,3,0,1] row_mask:0xf bank_mask:0xf bound_ctrl:1
	v_lshl_add_u64 v[6:7], v[8:9], 0, v[2:3]
	v_lshl_add_u64 v[8:9], v[6:7], 0, v[10:11]
	s_nop 0
	v_mov_b32_dpp v2, v6 row_ror:4 row_mask:0xf bank_mask:0xf bound_ctrl:1
	v_mov_b32_dpp v13, v9 row_ror:4 row_mask:0xf bank_mask:0xf bound_ctrl:1
	v_lshl_add_u64 v[6:7], v[8:9], 0, v[2:3]
	v_lshl_add_u64 v[8:9], v[6:7], 0, v[12:13]
	s_nop 0
	v_mov_b32_dpp v2, v6 row_ror:8 row_mask:0xf bank_mask:0xf bound_ctrl:1
	v_mov_b32_dpp v15, v9 row_ror:8 row_mask:0xf bank_mask:0xf bound_ctrl:1
	v_lshl_add_u64 v[6:7], v[8:9], 0, v[2:3]
	v_lshl_add_u64 v[8:9], v[6:7], 0, v[14:15]
	s_nop 0
	v_mov_b32_dpp v2, v6 row_bcast:15 row_mask:0xf bank_mask:0xf bound_ctrl:1
	v_mov_b32_dpp v17, v9 row_bcast:15 row_mask:0xf bank_mask:0xf bound_ctrl:1
	v_lshl_add_u64 v[6:7], v[8:9], 0, v[2:3]
	v_lshl_add_u64 v[8:9], v[6:7], 0, v[16:17]
	s_nop 0
	v_mov_b32_dpp v2, v6 row_bcast:31 row_mask:0xf bank_mask:0xf bound_ctrl:1
	v_lshl_add_u64 v[2:3], v[8:9], 0, v[2:3]
	ds_bpermute_b32 v2, v18, v2
	s_nop 0
	v_add_u32_dpp v3, v9, v3 row_bcast:31 row_mask:0xf bank_mask:0xf bound_ctrl:1
	ds_bpermute_b32 v3, v18, v3
	s_and_saveexec_b64 s[6:7], vcc
	s_cbranch_execz .LBB176_612
; %bb.611:
	v_lshrrev_b32_e32 v5, 3, v0
	v_and_b32_e32 v5, 24, v5
	s_waitcnt lgkmcnt(0)
	ds_write_b64 v5, v[2:3] offset:160
.LBB176_612:
	s_or_b64 exec, exec, s[6:7]
	v_cmp_gt_u32_e32 vcc, 64, v0
	s_waitcnt lgkmcnt(0)
	s_barrier
	s_and_saveexec_b64 s[6:7], vcc
	s_cbranch_execz .LBB176_614
; %bb.613:
	v_and_b32_e32 v5, 3, v1
	v_lshlrev_b32_e32 v2, 3, v5
	ds_read_b64 v[2:3], v2 offset:160
	v_cmp_ne_u32_e32 vcc, 3, v5
	v_mov_b32_e32 v8, 0
	v_mov_b32_e32 v7, v8
	v_addc_co_u32_e32 v1, vcc, 0, v1, vcc
	v_lshlrev_b32_e32 v1, 2, v1
	s_waitcnt lgkmcnt(0)
	ds_bpermute_b32 v6, v1, v2
	ds_bpermute_b32 v9, v1, v3
	v_or_b32_e32 v1, 8, v4
	s_waitcnt lgkmcnt(1)
	v_lshl_add_u64 v[2:3], v[2:3], 0, v[6:7]
	s_waitcnt lgkmcnt(0)
	v_lshl_add_u64 v[4:5], v[8:9], 0, v[2:3]
	ds_bpermute_b32 v2, v1, v2
	ds_bpermute_b32 v9, v1, v5
	v_mov_b32_e32 v3, v8
	s_waitcnt lgkmcnt(1)
	v_lshl_add_u64 v[2:3], v[4:5], 0, v[2:3]
	s_waitcnt lgkmcnt(0)
	v_lshl_add_u64 v[2:3], v[2:3], 0, v[8:9]
.LBB176_614:
	s_or_b64 exec, exec, s[6:7]
	s_mov_b64 s[6:7], 0
	s_branch .LBB176_616
.LBB176_615:
	s_mov_b64 s[6:7], -1
                                        ; implicit-def: $vgpr2_vgpr3
.LBB176_616:
	s_and_b64 vcc, exec, s[6:7]
	s_cbranch_vccz .LBB176_634
; %bb.617:
	s_sub_i32 s12, s36, s4
	v_mov_b32_e32 v2, 0
	v_cmp_gt_u32_e32 vcc, s12, v0
	v_mov_b32_e32 v3, v2
	v_mov_b32_e32 v4, v2
	v_mov_b32_e32 v5, v2
	v_mov_b32_e32 v6, v2
	s_waitcnt lgkmcnt(0)
	v_mov_b32_e32 v7, v2
	v_mov_b32_e32 v8, v2
	;; [unrolled: 1-line block ×3, first 2 shown]
	s_and_saveexec_b64 s[4:5], vcc
	s_cbranch_execz .LBB176_619
; %bb.618:
	v_lshlrev_b32_e32 v1, 2, v0
	global_load_dword v1, v1, s[8:9]
	v_mov_b32_e32 v5, v2
	v_mov_b32_e32 v6, v2
	;; [unrolled: 1-line block ×7, first 2 shown]
	s_waitcnt vmcnt(0)
	v_cmp_ne_u32_e32 vcc, 0, v1
	s_nop 1
	v_cndmask_b32_e64 v1, 0, 1, vcc
	v_and_b32_e32 v4, 0xffff, v1
	v_mov_b64_e32 v[2:3], v[4:5]
	v_mov_b64_e32 v[4:5], v[6:7]
	;; [unrolled: 1-line block ×4, first 2 shown]
.LBB176_619:
	s_or_b64 exec, exec, s[4:5]
	v_or_b32_e32 v1, 0x100, v0
	v_cmp_gt_u32_e32 vcc, s12, v1
	s_and_saveexec_b64 s[6:7], vcc
	s_cbranch_execz .LBB176_621
; %bb.620:
	v_lshlrev_b32_e32 v1, 2, v0
	global_load_dword v1, v1, s[8:9] offset:1024
	s_mov_b32 s10, 0
	v_mov_b32_e32 v5, s10
	s_waitcnt vmcnt(0)
	v_cmp_ne_u32_e64 s[4:5], 0, v1
	s_nop 1
	v_cndmask_b32_e64 v4, 0, 1, s[4:5]
.LBB176_621:
	s_or_b64 exec, exec, s[6:7]
	v_or_b32_e32 v1, 0x200, v0
	v_cmp_gt_u32_e64 s[4:5], s12, v1
	s_and_saveexec_b64 s[10:11], s[4:5]
	s_cbranch_execz .LBB176_623
; %bb.622:
	v_lshlrev_b32_e32 v1, 2, v0
	global_load_dword v1, v1, s[8:9] offset:2048
	s_mov_b32 s13, 0
	v_mov_b32_e32 v7, s13
	s_waitcnt vmcnt(0)
	v_cmp_ne_u32_e64 s[6:7], 0, v1
	s_nop 1
	v_cndmask_b32_e64 v6, 0, 1, s[6:7]
.LBB176_623:
	s_or_b64 exec, exec, s[10:11]
	v_or_b32_e32 v1, 0x300, v0
	v_cmp_gt_u32_e64 s[6:7], s12, v1
	s_and_saveexec_b64 s[10:11], s[6:7]
	s_cbranch_execz .LBB176_625
; %bb.624:
	v_lshlrev_b32_e32 v1, 2, v0
	global_load_dword v1, v1, s[8:9] offset:3072
	s_mov_b32 s13, 0
	v_mov_b32_e32 v9, s13
	s_waitcnt vmcnt(0)
	v_cmp_ne_u32_e64 s[8:9], 0, v1
	s_nop 1
	v_cndmask_b32_e64 v8, 0, 1, s[8:9]
.LBB176_625:
	s_or_b64 exec, exec, s[10:11]
	v_cndmask_b32_e32 v5, 0, v5, vcc
	v_cndmask_b32_e32 v4, 0, v4, vcc
	v_mbcnt_lo_u32_b32 v1, -1, 0
	v_lshl_add_u64 v[2:3], v[4:5], 0, v[2:3]
	v_cndmask_b32_e64 v5, 0, v7, s[4:5]
	v_cndmask_b32_e64 v4, 0, v6, s[4:5]
	v_mbcnt_hi_u32_b32 v1, -1, v1
	v_lshl_add_u64 v[2:3], v[2:3], 0, v[4:5]
	v_cndmask_b32_e64 v5, 0, v9, s[6:7]
	v_cndmask_b32_e64 v4, 0, v8, s[6:7]
	v_and_b32_e32 v9, 63, v1
	v_lshl_add_u64 v[2:3], v[2:3], 0, v[4:5]
	s_min_u32 s8, s12, 0x100
	v_and_b32_e32 v4, 0xc0, v0
	v_cmp_ne_u32_e32 vcc, 63, v9
	v_sub_u32_e64 v8, s8, v4 clamp
	v_mov_b32_e32 v6, 0
	v_addc_co_u32_e32 v4, vcc, 0, v1, vcc
	v_lshlrev_b32_e32 v5, 2, v4
	ds_bpermute_b32 v4, v5, v2
	ds_bpermute_b32 v7, v5, v3
	v_add_u32_e32 v10, 1, v9
	v_mov_b32_e32 v5, v6
	v_cmp_lt_u32_e64 s[4:5], v10, v8
	s_waitcnt lgkmcnt(1)
	v_lshl_add_u64 v[4:5], v[2:3], 0, v[4:5]
	v_cmp_gt_u32_e32 vcc, 62, v9
	s_waitcnt lgkmcnt(0)
	v_lshl_add_u64 v[6:7], v[6:7], 0, v[4:5]
	v_cndmask_b32_e64 v12, v2, v4, s[4:5]
	v_cndmask_b32_e64 v4, 0, 2, vcc
	v_cndmask_b32_e64 v5, v3, v7, s[4:5]
	v_add_lshl_u32 v4, v4, v1, 2
	ds_bpermute_b32 v10, v4, v12
	ds_bpermute_b32 v11, v4, v5
	v_cndmask_b32_e64 v4, v2, v6, s[4:5]
	v_add_u32_e32 v13, 2, v9
	v_cmp_lt_u32_e32 vcc, v13, v8
	v_cmp_gt_u32_e64 s[6:7], 60, v9
	s_waitcnt lgkmcnt(0)
	v_lshl_add_u64 v[6:7], v[10:11], 0, v[4:5]
	v_cndmask_b32_e32 v5, v5, v7, vcc
	v_cndmask_b32_e64 v7, 0, 4, s[6:7]
	v_cndmask_b32_e32 v12, v12, v6, vcc
	v_add_lshl_u32 v7, v7, v1, 2
	ds_bpermute_b32 v10, v7, v12
	ds_bpermute_b32 v11, v7, v5
	v_cndmask_b32_e32 v4, v4, v6, vcc
	v_add_u32_e32 v13, 4, v9
	v_cmp_lt_u32_e32 vcc, v13, v8
	v_cmp_gt_u32_e64 s[6:7], 56, v9
	s_waitcnt lgkmcnt(0)
	v_lshl_add_u64 v[6:7], v[10:11], 0, v[4:5]
	v_cndmask_b32_e32 v5, v5, v7, vcc
	v_cndmask_b32_e64 v7, 0, 8, s[6:7]
	v_cndmask_b32_e32 v12, v12, v6, vcc
	v_add_lshl_u32 v7, v7, v1, 2
	ds_bpermute_b32 v10, v7, v12
	ds_bpermute_b32 v11, v7, v5
	v_cndmask_b32_e32 v4, v4, v6, vcc
	v_add_u32_e32 v13, 8, v9
	v_cmp_lt_u32_e32 vcc, v13, v8
	v_cmp_gt_u32_e64 s[6:7], 48, v9
	s_waitcnt lgkmcnt(0)
	v_lshl_add_u64 v[6:7], v[10:11], 0, v[4:5]
	v_cndmask_b32_e32 v5, v5, v7, vcc
	v_cndmask_b32_e64 v7, 0, 16, s[6:7]
	v_cndmask_b32_e32 v12, v12, v6, vcc
	v_add_lshl_u32 v7, v7, v1, 2
	ds_bpermute_b32 v10, v7, v12
	ds_bpermute_b32 v11, v7, v5
	v_cndmask_b32_e32 v4, v4, v6, vcc
	v_add_u32_e32 v13, 16, v9
	v_cmp_lt_u32_e32 vcc, v13, v8
	s_waitcnt lgkmcnt(0)
	v_lshl_add_u64 v[6:7], v[10:11], 0, v[4:5]
	v_lshlrev_b32_e32 v10, 2, v1
	v_cndmask_b32_e32 v13, v5, v7, vcc
	v_cndmask_b32_e32 v11, v12, v6, vcc
	v_or_b32_e32 v12, 0x80, v10
	ds_bpermute_b32 v11, v12, v11
	ds_bpermute_b32 v12, v12, v13
	s_and_saveexec_b64 s[6:7], s[4:5]
	s_cbranch_execz .LBB176_627
; %bb.626:
	v_add_u32_e32 v9, 32, v9
	v_cndmask_b32_e32 v3, v5, v7, vcc
	v_cndmask_b32_e32 v2, v4, v6, vcc
	v_cmp_lt_u32_e32 vcc, v9, v8
	s_waitcnt lgkmcnt(0)
	s_nop 0
	v_cndmask_b32_e32 v5, 0, v12, vcc
	v_cndmask_b32_e32 v4, 0, v11, vcc
	v_lshl_add_u64 v[2:3], v[4:5], 0, v[2:3]
.LBB176_627:
	s_or_b64 exec, exec, s[6:7]
	v_cmp_eq_u32_e32 vcc, 0, v1
	s_and_saveexec_b64 s[4:5], vcc
; %bb.628:
	v_lshrrev_b32_e32 v4, 3, v0
	v_and_b32_e32 v4, 24, v4
	ds_write_b64 v4, v[2:3] offset:256
; %bb.629:
	s_or_b64 exec, exec, s[4:5]
	v_cmp_gt_u32_e32 vcc, 4, v0
	s_waitcnt lgkmcnt(0)
	s_barrier
	s_and_saveexec_b64 s[4:5], vcc
	s_cbranch_execz .LBB176_633
; %bb.630:
	v_lshlrev_b32_e32 v2, 3, v1
	ds_read_b64 v[2:3], v2 offset:256
	v_and_b32_e32 v6, 3, v1
	v_cmp_ne_u32_e32 vcc, 3, v6
	v_mov_b32_e32 v8, 0
	s_add_i32 s8, s8, 63
	v_addc_co_u32_e32 v1, vcc, 0, v1, vcc
	v_lshlrev_b32_e32 v1, 2, v1
	s_waitcnt lgkmcnt(0)
	ds_bpermute_b32 v4, v1, v2
	ds_bpermute_b32 v9, v1, v3
	v_mov_b32_e32 v5, v8
	s_lshr_b32 s8, s8, 6
	v_add_u32_e32 v1, 1, v6
	s_waitcnt lgkmcnt(1)
	v_lshl_add_u64 v[12:13], v[2:3], 0, v[4:5]
	s_waitcnt lgkmcnt(0)
	v_lshl_add_u64 v[4:5], v[8:9], 0, v[12:13]
	v_cmp_gt_u32_e32 vcc, s8, v1
	v_or_b32_e32 v8, 8, v10
	s_nop 0
	v_cndmask_b32_e32 v7, v3, v5, vcc
	v_cndmask_b32_e32 v1, v2, v12, vcc
	ds_bpermute_b32 v1, v8, v1
	ds_bpermute_b32 v7, v8, v7
	s_and_saveexec_b64 s[6:7], vcc
	s_cbranch_execz .LBB176_632
; %bb.631:
	v_add_u32_e32 v2, 2, v6
	v_cmp_gt_u32_e32 vcc, s8, v2
	s_waitcnt lgkmcnt(0)
	s_nop 0
	v_cndmask_b32_e32 v3, 0, v7, vcc
	v_cndmask_b32_e32 v2, 0, v1, vcc
	v_lshl_add_u64 v[2:3], v[2:3], 0, v[4:5]
.LBB176_632:
	s_or_b64 exec, exec, s[6:7]
.LBB176_633:
	s_or_b64 exec, exec, s[4:5]
.LBB176_634:
	v_cmp_eq_u32_e64 s[4:5], 0, v0
	v_mov_b64_e32 v[4:5], s[2:3]
.LBB176_635:
	s_branch .LBB176_683
.LBB176_636:
	s_cmp_gt_i32 s33, 1
	s_cbranch_scc0 .LBB176_644
; %bb.637:
	s_cmp_eq_u32 s33, 2
                                        ; implicit-def: $vgpr2_vgpr3
                                        ; implicit-def: $vgpr4_vgpr5
	s_cbranch_scc0 .LBB176_645
; %bb.638:
	s_mov_b32 s3, 0
	s_lshl_b32 s6, s2, 9
	s_mov_b32 s7, s3
	s_lshr_b64 s[8:9], s[36:37], 9
	s_lshl_b64 s[4:5], s[6:7], 2
	s_add_u32 s4, s40, s4
	s_addc_u32 s5, s41, s5
	s_cmp_lg_u64 s[8:9], s[2:3]
	s_cbranch_scc0 .LBB176_646
; %bb.639:
	s_waitcnt lgkmcnt(1)
	v_lshlrev_b32_e32 v1, 2, v0
	global_load_dword v2, v1, s[4:5]
	global_load_dword v5, v1, s[4:5] offset:1024
	v_mov_b32_e32 v3, 0
	v_mov_b32_e32 v9, v3
	v_mov_b32_e32 v6, v3
	s_waitcnt lgkmcnt(0)
	v_mov_b32_dpp v7, v3 quad_perm:[1,0,3,2] row_mask:0xf bank_mask:0xf bound_ctrl:1
	v_mov_b32_e32 v10, v3
	v_mov_b32_e32 v12, v3
	;; [unrolled: 1-line block ×3, first 2 shown]
	v_mbcnt_lo_u32_b32 v1, -1, 0
	v_mov_b32_e32 v16, v3
	v_mbcnt_hi_u32_b32 v1, -1, v1
	v_lshlrev_b32_e32 v4, 2, v1
	v_or_b32_e32 v18, 0xfc, v4
	s_waitcnt vmcnt(1)
	v_cmp_ne_u32_e32 vcc, 0, v2
	s_nop 1
	v_cndmask_b32_e64 v2, 0, 1, vcc
	s_waitcnt vmcnt(0)
	v_cmp_ne_u32_e32 vcc, 0, v5
	s_nop 1
	v_addc_co_u32_e32 v2, vcc, 0, v2, vcc
	v_cmp_eq_u32_e32 vcc, 0, v1
	s_nop 0
	v_mov_b32_dpp v8, v2 quad_perm:[1,0,3,2] row_mask:0xf bank_mask:0xf bound_ctrl:1
	v_lshl_add_u64 v[8:9], v[2:3], 0, v[8:9]
	v_lshl_add_u64 v[6:7], v[6:7], 0, v[8:9]
	s_nop 0
	v_mov_b32_dpp v2, v8 quad_perm:[2,3,0,1] row_mask:0xf bank_mask:0xf bound_ctrl:1
	v_mov_b32_dpp v11, v7 quad_perm:[2,3,0,1] row_mask:0xf bank_mask:0xf bound_ctrl:1
	v_lshl_add_u64 v[6:7], v[6:7], 0, v[2:3]
	v_lshl_add_u64 v[8:9], v[6:7], 0, v[10:11]
	s_nop 0
	v_mov_b32_dpp v2, v6 row_ror:4 row_mask:0xf bank_mask:0xf bound_ctrl:1
	v_mov_b32_dpp v13, v9 row_ror:4 row_mask:0xf bank_mask:0xf bound_ctrl:1
	v_lshl_add_u64 v[6:7], v[8:9], 0, v[2:3]
	v_lshl_add_u64 v[8:9], v[6:7], 0, v[12:13]
	s_nop 0
	v_mov_b32_dpp v2, v6 row_ror:8 row_mask:0xf bank_mask:0xf bound_ctrl:1
	v_mov_b32_dpp v15, v9 row_ror:8 row_mask:0xf bank_mask:0xf bound_ctrl:1
	v_lshl_add_u64 v[6:7], v[8:9], 0, v[2:3]
	v_lshl_add_u64 v[8:9], v[6:7], 0, v[14:15]
	s_nop 0
	v_mov_b32_dpp v2, v6 row_bcast:15 row_mask:0xf bank_mask:0xf bound_ctrl:1
	v_mov_b32_dpp v17, v9 row_bcast:15 row_mask:0xf bank_mask:0xf bound_ctrl:1
	v_lshl_add_u64 v[6:7], v[8:9], 0, v[2:3]
	v_lshl_add_u64 v[8:9], v[6:7], 0, v[16:17]
	s_nop 0
	v_mov_b32_dpp v2, v6 row_bcast:31 row_mask:0xf bank_mask:0xf bound_ctrl:1
	v_lshl_add_u64 v[2:3], v[8:9], 0, v[2:3]
	ds_bpermute_b32 v2, v18, v2
	s_nop 0
	v_add_u32_dpp v3, v9, v3 row_bcast:31 row_mask:0xf bank_mask:0xf bound_ctrl:1
	ds_bpermute_b32 v3, v18, v3
	s_and_saveexec_b64 s[8:9], vcc
	s_cbranch_execz .LBB176_641
; %bb.640:
	v_lshrrev_b32_e32 v5, 3, v0
	v_and_b32_e32 v5, 24, v5
	s_waitcnt lgkmcnt(0)
	ds_write_b64 v5, v[2:3] offset:96
.LBB176_641:
	s_or_b64 exec, exec, s[8:9]
	v_cmp_gt_u32_e32 vcc, 64, v0
	s_waitcnt lgkmcnt(0)
	s_barrier
	s_and_saveexec_b64 s[8:9], vcc
	s_cbranch_execz .LBB176_643
; %bb.642:
	v_and_b32_e32 v5, 3, v1
	v_lshlrev_b32_e32 v2, 3, v5
	ds_read_b64 v[2:3], v2 offset:96
	v_cmp_ne_u32_e32 vcc, 3, v5
	v_mov_b32_e32 v8, 0
	v_mov_b32_e32 v7, v8
	v_addc_co_u32_e32 v1, vcc, 0, v1, vcc
	v_lshlrev_b32_e32 v1, 2, v1
	s_waitcnt lgkmcnt(0)
	ds_bpermute_b32 v6, v1, v2
	ds_bpermute_b32 v9, v1, v3
	v_or_b32_e32 v1, 8, v4
	s_waitcnt lgkmcnt(1)
	v_lshl_add_u64 v[2:3], v[2:3], 0, v[6:7]
	s_waitcnt lgkmcnt(0)
	v_lshl_add_u64 v[4:5], v[8:9], 0, v[2:3]
	ds_bpermute_b32 v2, v1, v2
	ds_bpermute_b32 v9, v1, v5
	v_mov_b32_e32 v3, v8
	s_waitcnt lgkmcnt(1)
	v_lshl_add_u64 v[2:3], v[4:5], 0, v[2:3]
	s_waitcnt lgkmcnt(0)
	v_lshl_add_u64 v[2:3], v[2:3], 0, v[8:9]
.LBB176_643:
	s_or_b64 exec, exec, s[8:9]
	s_mov_b64 s[8:9], 0
	s_branch .LBB176_647
.LBB176_644:
                                        ; implicit-def: $vgpr2_vgpr3
                                        ; implicit-def: $vgpr4_vgpr5
	s_cbranch_execnz .LBB176_662
	s_branch .LBB176_683
.LBB176_645:
	s_branch .LBB176_683
.LBB176_646:
	s_mov_b64 s[8:9], -1
                                        ; implicit-def: $vgpr2_vgpr3
.LBB176_647:
	s_and_b64 vcc, exec, s[8:9]
	s_cbranch_vccz .LBB176_661
; %bb.648:
	s_sub_i32 s8, s36, s6
	v_mov_b32_e32 v2, 0
	v_cmp_gt_u32_e32 vcc, s8, v0
	v_mov_b32_e32 v3, v2
	v_mov_b32_e32 v4, v2
	v_mov_b32_e32 v5, v2
	s_and_saveexec_b64 s[6:7], vcc
	s_cbranch_execz .LBB176_650
; %bb.649:
	s_waitcnt lgkmcnt(1)
	v_lshlrev_b32_e32 v1, 2, v0
	global_load_dword v1, v1, s[4:5]
	v_mov_b32_e32 v5, v2
	v_mov_b32_e32 v6, v2
	s_waitcnt lgkmcnt(0)
	v_mov_b32_e32 v7, v2
	s_waitcnt vmcnt(0)
	v_cmp_ne_u32_e32 vcc, 0, v1
	s_nop 1
	v_cndmask_b32_e64 v1, 0, 1, vcc
	v_and_b32_e32 v4, 0xffff, v1
	v_mov_b64_e32 v[2:3], v[4:5]
	v_mov_b64_e32 v[4:5], v[6:7]
.LBB176_650:
	s_or_b64 exec, exec, s[6:7]
	s_waitcnt lgkmcnt(1)
	v_or_b32_e32 v1, 0x100, v0
	v_cmp_gt_u32_e32 vcc, s8, v1
	s_and_saveexec_b64 s[6:7], vcc
	s_cbranch_execz .LBB176_652
; %bb.651:
	v_lshlrev_b32_e32 v1, 2, v0
	global_load_dword v1, v1, s[4:5] offset:1024
	s_mov_b32 s9, 0
	v_mov_b32_e32 v5, s9
	s_waitcnt vmcnt(0)
	v_cmp_ne_u32_e64 s[4:5], 0, v1
	s_nop 1
	v_cndmask_b32_e64 v4, 0, 1, s[4:5]
.LBB176_652:
	s_or_b64 exec, exec, s[6:7]
	v_mbcnt_lo_u32_b32 v1, -1, 0
	v_mbcnt_hi_u32_b32 v1, -1, v1
	v_cndmask_b32_e32 v5, 0, v5, vcc
	v_cndmask_b32_e32 v4, 0, v4, vcc
	v_and_b32_e32 v9, 63, v1
	v_lshl_add_u64 v[2:3], v[4:5], 0, v[2:3]
	s_min_u32 s8, s8, 0x100
	v_and_b32_e32 v4, 0xc0, v0
	v_cmp_ne_u32_e32 vcc, 63, v9
	v_sub_u32_e64 v8, s8, v4 clamp
	v_mov_b32_e32 v6, 0
	v_addc_co_u32_e32 v4, vcc, 0, v1, vcc
	v_lshlrev_b32_e32 v5, 2, v4
	ds_bpermute_b32 v4, v5, v2
	s_waitcnt lgkmcnt(1)
	ds_bpermute_b32 v7, v5, v3
	v_add_u32_e32 v10, 1, v9
	v_mov_b32_e32 v5, v6
	v_cmp_lt_u32_e64 s[4:5], v10, v8
	s_waitcnt lgkmcnt(1)
	v_lshl_add_u64 v[4:5], v[2:3], 0, v[4:5]
	v_cmp_gt_u32_e32 vcc, 62, v9
	s_waitcnt lgkmcnt(0)
	v_lshl_add_u64 v[6:7], v[6:7], 0, v[4:5]
	v_cndmask_b32_e64 v12, v2, v4, s[4:5]
	v_cndmask_b32_e64 v4, 0, 2, vcc
	v_cndmask_b32_e64 v5, v3, v7, s[4:5]
	v_add_lshl_u32 v4, v4, v1, 2
	ds_bpermute_b32 v10, v4, v12
	ds_bpermute_b32 v11, v4, v5
	v_cndmask_b32_e64 v4, v2, v6, s[4:5]
	v_add_u32_e32 v13, 2, v9
	v_cmp_lt_u32_e32 vcc, v13, v8
	v_cmp_gt_u32_e64 s[6:7], 60, v9
	s_waitcnt lgkmcnt(0)
	v_lshl_add_u64 v[6:7], v[10:11], 0, v[4:5]
	v_cndmask_b32_e32 v5, v5, v7, vcc
	v_cndmask_b32_e64 v7, 0, 4, s[6:7]
	v_cndmask_b32_e32 v12, v12, v6, vcc
	v_add_lshl_u32 v7, v7, v1, 2
	ds_bpermute_b32 v10, v7, v12
	ds_bpermute_b32 v11, v7, v5
	v_cndmask_b32_e32 v4, v4, v6, vcc
	v_add_u32_e32 v13, 4, v9
	v_cmp_lt_u32_e32 vcc, v13, v8
	v_cmp_gt_u32_e64 s[6:7], 56, v9
	s_waitcnt lgkmcnt(0)
	v_lshl_add_u64 v[6:7], v[10:11], 0, v[4:5]
	v_cndmask_b32_e32 v5, v5, v7, vcc
	v_cndmask_b32_e64 v7, 0, 8, s[6:7]
	v_cndmask_b32_e32 v12, v12, v6, vcc
	v_add_lshl_u32 v7, v7, v1, 2
	ds_bpermute_b32 v10, v7, v12
	ds_bpermute_b32 v11, v7, v5
	v_cndmask_b32_e32 v4, v4, v6, vcc
	v_add_u32_e32 v13, 8, v9
	v_cmp_lt_u32_e32 vcc, v13, v8
	v_cmp_gt_u32_e64 s[6:7], 48, v9
	s_waitcnt lgkmcnt(0)
	v_lshl_add_u64 v[6:7], v[10:11], 0, v[4:5]
	v_cndmask_b32_e32 v5, v5, v7, vcc
	v_cndmask_b32_e64 v7, 0, 16, s[6:7]
	v_cndmask_b32_e32 v12, v12, v6, vcc
	v_add_lshl_u32 v7, v7, v1, 2
	ds_bpermute_b32 v10, v7, v12
	ds_bpermute_b32 v11, v7, v5
	v_cndmask_b32_e32 v4, v4, v6, vcc
	v_add_u32_e32 v13, 16, v9
	v_cmp_lt_u32_e32 vcc, v13, v8
	s_waitcnt lgkmcnt(0)
	v_lshl_add_u64 v[6:7], v[10:11], 0, v[4:5]
	v_lshlrev_b32_e32 v10, 2, v1
	v_cndmask_b32_e32 v13, v5, v7, vcc
	v_cndmask_b32_e32 v11, v12, v6, vcc
	v_or_b32_e32 v12, 0x80, v10
	ds_bpermute_b32 v11, v12, v11
	ds_bpermute_b32 v12, v12, v13
	s_and_saveexec_b64 s[6:7], s[4:5]
	s_cbranch_execz .LBB176_654
; %bb.653:
	v_add_u32_e32 v9, 32, v9
	v_cndmask_b32_e32 v3, v5, v7, vcc
	v_cndmask_b32_e32 v2, v4, v6, vcc
	v_cmp_lt_u32_e32 vcc, v9, v8
	s_waitcnt lgkmcnt(0)
	s_nop 0
	v_cndmask_b32_e32 v5, 0, v12, vcc
	v_cndmask_b32_e32 v4, 0, v11, vcc
	v_lshl_add_u64 v[2:3], v[4:5], 0, v[2:3]
.LBB176_654:
	s_or_b64 exec, exec, s[6:7]
	v_cmp_eq_u32_e32 vcc, 0, v1
	s_and_saveexec_b64 s[4:5], vcc
; %bb.655:
	v_lshrrev_b32_e32 v4, 3, v0
	v_and_b32_e32 v4, 24, v4
	ds_write_b64 v4, v[2:3] offset:256
; %bb.656:
	s_or_b64 exec, exec, s[4:5]
	v_cmp_gt_u32_e32 vcc, 4, v0
	s_waitcnt lgkmcnt(0)
	s_barrier
	s_and_saveexec_b64 s[4:5], vcc
	s_cbranch_execz .LBB176_660
; %bb.657:
	v_lshlrev_b32_e32 v2, 3, v1
	ds_read_b64 v[2:3], v2 offset:256
	v_and_b32_e32 v6, 3, v1
	v_cmp_ne_u32_e32 vcc, 3, v6
	v_mov_b32_e32 v8, 0
	s_add_i32 s8, s8, 63
	v_addc_co_u32_e32 v1, vcc, 0, v1, vcc
	v_lshlrev_b32_e32 v1, 2, v1
	s_waitcnt lgkmcnt(0)
	ds_bpermute_b32 v4, v1, v2
	ds_bpermute_b32 v9, v1, v3
	v_mov_b32_e32 v5, v8
	s_lshr_b32 s8, s8, 6
	v_add_u32_e32 v1, 1, v6
	s_waitcnt lgkmcnt(1)
	v_lshl_add_u64 v[12:13], v[2:3], 0, v[4:5]
	s_waitcnt lgkmcnt(0)
	v_lshl_add_u64 v[4:5], v[8:9], 0, v[12:13]
	v_cmp_gt_u32_e32 vcc, s8, v1
	v_or_b32_e32 v8, 8, v10
	s_nop 0
	v_cndmask_b32_e32 v7, v3, v5, vcc
	v_cndmask_b32_e32 v1, v2, v12, vcc
	ds_bpermute_b32 v1, v8, v1
	ds_bpermute_b32 v7, v8, v7
	s_and_saveexec_b64 s[6:7], vcc
	s_cbranch_execz .LBB176_659
; %bb.658:
	v_add_u32_e32 v2, 2, v6
	v_cmp_gt_u32_e32 vcc, s8, v2
	s_waitcnt lgkmcnt(0)
	s_nop 0
	v_cndmask_b32_e32 v3, 0, v7, vcc
	v_cndmask_b32_e32 v2, 0, v1, vcc
	v_lshl_add_u64 v[2:3], v[2:3], 0, v[4:5]
.LBB176_659:
	s_or_b64 exec, exec, s[6:7]
.LBB176_660:
	s_or_b64 exec, exec, s[4:5]
.LBB176_661:
	v_cmp_eq_u32_e64 s[4:5], 0, v0
	v_mov_b64_e32 v[4:5], s[2:3]
	s_branch .LBB176_683
.LBB176_662:
	s_cmp_eq_u32 s33, 1
                                        ; implicit-def: $vgpr2_vgpr3
                                        ; implicit-def: $vgpr4_vgpr5
	s_cbranch_scc0 .LBB176_683
; %bb.663:
	s_mov_b32 s5, 0
	s_lshl_b32 s4, s2, 8
	s_mov_b32 s3, s5
	s_lshr_b64 s[6:7], s[36:37], 8
	s_cmp_lg_u64 s[6:7], s[2:3]
	s_waitcnt lgkmcnt(1)
	v_mbcnt_lo_u32_b32 v1, -1, 0
	s_cbranch_scc0 .LBB176_669
; %bb.664:
	s_lshl_b64 s[6:7], s[4:5], 2
	s_add_u32 s6, s40, s6
	s_addc_u32 s7, s41, s7
	v_lshlrev_b32_e32 v2, 2, v0
	global_load_dword v6, v2, s[6:7]
	v_mov_b32_e32 v2, 0
	s_waitcnt lgkmcnt(0)
	v_mov_b32_e32 v7, s5
	v_mov_b32_e32 v9, v2
	v_mov_b32_dpp v3, v2 quad_perm:[1,0,3,2] row_mask:0xf bank_mask:0xf bound_ctrl:1
	v_mov_b32_e32 v11, v2
	v_mov_b32_e32 v13, v2
	;; [unrolled: 1-line block ×4, first 2 shown]
	v_mbcnt_hi_u32_b32 v4, -1, v1
	v_mov_b32_e32 v19, v2
	v_lshlrev_b32_e32 v5, 2, v4
	v_or_b32_e32 v20, 0xfc, v5
	s_waitcnt vmcnt(0)
	v_cmp_ne_u32_e32 vcc, 0, v6
	s_nop 1
	v_cndmask_b32_e64 v6, 0, 1, vcc
	v_cmp_eq_u32_e32 vcc, 0, v4
	s_nop 0
	v_mov_b32_dpp v8, v6 quad_perm:[1,0,3,2] row_mask:0xf bank_mask:0xf bound_ctrl:1
	v_lshl_add_u64 v[6:7], v[8:9], 0, v[6:7]
	v_lshl_add_u64 v[8:9], v[2:3], 0, v[6:7]
	s_nop 0
	v_mov_b32_dpp v10, v6 quad_perm:[2,3,0,1] row_mask:0xf bank_mask:0xf bound_ctrl:1
	v_mov_b32_dpp v3, v9 quad_perm:[2,3,0,1] row_mask:0xf bank_mask:0xf bound_ctrl:1
	v_lshl_add_u64 v[6:7], v[8:9], 0, v[10:11]
	v_lshl_add_u64 v[8:9], v[6:7], 0, v[2:3]
	s_nop 0
	v_mov_b32_dpp v12, v6 row_ror:4 row_mask:0xf bank_mask:0xf bound_ctrl:1
	v_mov_b32_dpp v3, v9 row_ror:4 row_mask:0xf bank_mask:0xf bound_ctrl:1
	v_lshl_add_u64 v[6:7], v[8:9], 0, v[12:13]
	v_lshl_add_u64 v[8:9], v[6:7], 0, v[2:3]
	s_nop 0
	v_mov_b32_dpp v14, v6 row_ror:8 row_mask:0xf bank_mask:0xf bound_ctrl:1
	v_mov_b32_dpp v3, v9 row_ror:8 row_mask:0xf bank_mask:0xf bound_ctrl:1
	v_lshl_add_u64 v[6:7], v[8:9], 0, v[14:15]
	v_lshl_add_u64 v[8:9], v[6:7], 0, v[2:3]
	s_nop 0
	v_mov_b32_dpp v16, v6 row_bcast:15 row_mask:0xf bank_mask:0xf bound_ctrl:1
	v_mov_b32_dpp v3, v9 row_bcast:15 row_mask:0xf bank_mask:0xf bound_ctrl:1
	v_lshl_add_u64 v[6:7], v[8:9], 0, v[16:17]
	v_lshl_add_u64 v[2:3], v[6:7], 0, v[2:3]
	s_nop 0
	v_mov_b32_dpp v18, v6 row_bcast:31 row_mask:0xf bank_mask:0xf bound_ctrl:1
	v_lshl_add_u64 v[6:7], v[2:3], 0, v[18:19]
	ds_bpermute_b32 v2, v20, v6
	s_nop 0
	v_add_u32_dpp v3, v3, v7 row_bcast:31 row_mask:0xf bank_mask:0xf bound_ctrl:1
	ds_bpermute_b32 v3, v20, v3
	s_and_saveexec_b64 s[6:7], vcc
	s_cbranch_execz .LBB176_666
; %bb.665:
	v_lshrrev_b32_e32 v6, 3, v0
	v_and_b32_e32 v6, 24, v6
	s_waitcnt lgkmcnt(0)
	ds_write_b64 v6, v[2:3] offset:64
.LBB176_666:
	s_or_b64 exec, exec, s[6:7]
	v_cmp_gt_u32_e32 vcc, 64, v0
	s_waitcnt lgkmcnt(0)
	s_barrier
	s_and_saveexec_b64 s[6:7], vcc
	s_cbranch_execz .LBB176_668
; %bb.667:
	v_and_b32_e32 v6, 3, v4
	v_lshlrev_b32_e32 v2, 3, v6
	ds_read_b64 v[2:3], v2 offset:64
	v_cmp_ne_u32_e32 vcc, 3, v6
	v_or_b32_e32 v8, 8, v5
	s_nop 0
	v_addc_co_u32_e32 v4, vcc, 0, v4, vcc
	v_lshlrev_b32_e32 v6, 2, v4
	s_waitcnt lgkmcnt(0)
	ds_bpermute_b32 v4, v6, v2
	ds_bpermute_b32 v7, v6, v3
	v_mov_b32_e32 v6, 0
	v_mov_b32_e32 v5, v6
	s_waitcnt lgkmcnt(1)
	v_lshl_add_u64 v[2:3], v[2:3], 0, v[4:5]
	s_waitcnt lgkmcnt(0)
	v_lshl_add_u64 v[4:5], v[6:7], 0, v[2:3]
	ds_bpermute_b32 v2, v8, v2
	ds_bpermute_b32 v7, v8, v5
	v_mov_b32_e32 v3, v6
	s_waitcnt lgkmcnt(1)
	v_lshl_add_u64 v[2:3], v[4:5], 0, v[2:3]
	s_waitcnt lgkmcnt(0)
	v_lshl_add_u64 v[2:3], v[2:3], 0, v[6:7]
.LBB176_668:
	s_or_b64 exec, exec, s[6:7]
	s_mov_b64 s[6:7], 0
	s_branch .LBB176_670
.LBB176_669:
	s_mov_b64 s[6:7], -1
                                        ; implicit-def: $vgpr2_vgpr3
.LBB176_670:
	s_and_b64 vcc, exec, s[6:7]
	s_cbranch_vccz .LBB176_682
; %bb.671:
	s_sub_i32 s8, s36, s4
	v_cmp_gt_u32_e32 vcc, s8, v0
                                        ; implicit-def: $vgpr2_vgpr3
	s_and_saveexec_b64 s[6:7], vcc
	s_cbranch_execz .LBB176_673
; %bb.672:
	s_lshl_b64 s[4:5], s[4:5], 2
	s_add_u32 s4, s40, s4
	s_addc_u32 s5, s41, s5
	v_lshlrev_b32_e32 v2, 2, v0
	global_load_dword v2, v2, s[4:5]
	s_mov_b32 s4, 0
	v_mov_b32_e32 v3, s4
	s_waitcnt vmcnt(0)
	v_cmp_ne_u32_e32 vcc, 0, v2
	s_nop 1
	v_cndmask_b32_e64 v2, 0, 1, vcc
.LBB176_673:
	s_or_b64 exec, exec, s[6:7]
	v_mbcnt_hi_u32_b32 v1, -1, v1
	v_and_b32_e32 v9, 63, v1
	s_min_u32 s8, s8, 0x100
	v_and_b32_e32 v4, 0xc0, v0
	v_cmp_ne_u32_e32 vcc, 63, v9
	v_sub_u32_e64 v8, s8, v4 clamp
	v_mov_b32_e32 v6, 0
	v_addc_co_u32_e32 v4, vcc, 0, v1, vcc
	v_lshlrev_b32_e32 v5, 2, v4
	ds_bpermute_b32 v4, v5, v2
	s_waitcnt lgkmcnt(1)
	ds_bpermute_b32 v7, v5, v3
	v_add_u32_e32 v10, 1, v9
	v_mov_b32_e32 v5, v6
	v_cmp_lt_u32_e64 s[4:5], v10, v8
	s_waitcnt lgkmcnt(1)
	v_lshl_add_u64 v[4:5], v[2:3], 0, v[4:5]
	v_cmp_gt_u32_e32 vcc, 62, v9
	s_waitcnt lgkmcnt(0)
	v_lshl_add_u64 v[6:7], v[6:7], 0, v[4:5]
	v_cndmask_b32_e64 v12, v2, v4, s[4:5]
	v_cndmask_b32_e64 v4, 0, 2, vcc
	v_cndmask_b32_e64 v5, v3, v7, s[4:5]
	v_add_lshl_u32 v4, v4, v1, 2
	ds_bpermute_b32 v10, v4, v12
	ds_bpermute_b32 v11, v4, v5
	v_cndmask_b32_e64 v4, v2, v6, s[4:5]
	v_add_u32_e32 v13, 2, v9
	v_cmp_lt_u32_e32 vcc, v13, v8
	v_cmp_gt_u32_e64 s[6:7], 60, v9
	s_waitcnt lgkmcnt(0)
	v_lshl_add_u64 v[6:7], v[10:11], 0, v[4:5]
	v_cndmask_b32_e32 v5, v5, v7, vcc
	v_cndmask_b32_e64 v7, 0, 4, s[6:7]
	v_cndmask_b32_e32 v12, v12, v6, vcc
	v_add_lshl_u32 v7, v7, v1, 2
	ds_bpermute_b32 v10, v7, v12
	ds_bpermute_b32 v11, v7, v5
	v_cndmask_b32_e32 v4, v4, v6, vcc
	v_add_u32_e32 v13, 4, v9
	v_cmp_lt_u32_e32 vcc, v13, v8
	v_cmp_gt_u32_e64 s[6:7], 56, v9
	s_waitcnt lgkmcnt(0)
	v_lshl_add_u64 v[6:7], v[10:11], 0, v[4:5]
	v_cndmask_b32_e32 v5, v5, v7, vcc
	v_cndmask_b32_e64 v7, 0, 8, s[6:7]
	v_cndmask_b32_e32 v12, v12, v6, vcc
	v_add_lshl_u32 v7, v7, v1, 2
	ds_bpermute_b32 v10, v7, v12
	ds_bpermute_b32 v11, v7, v5
	v_cndmask_b32_e32 v4, v4, v6, vcc
	;; [unrolled: 12-line block ×3, first 2 shown]
	v_add_u32_e32 v13, 16, v9
	v_cmp_lt_u32_e32 vcc, v13, v8
	s_waitcnt lgkmcnt(0)
	v_lshl_add_u64 v[6:7], v[10:11], 0, v[4:5]
	v_lshlrev_b32_e32 v10, 2, v1
	v_cndmask_b32_e32 v13, v5, v7, vcc
	v_cndmask_b32_e32 v11, v12, v6, vcc
	v_or_b32_e32 v12, 0x80, v10
	ds_bpermute_b32 v11, v12, v11
	ds_bpermute_b32 v12, v12, v13
	s_and_saveexec_b64 s[6:7], s[4:5]
	s_cbranch_execz .LBB176_675
; %bb.674:
	v_add_u32_e32 v9, 32, v9
	v_cndmask_b32_e32 v3, v5, v7, vcc
	v_cndmask_b32_e32 v2, v4, v6, vcc
	v_cmp_lt_u32_e32 vcc, v9, v8
	s_waitcnt lgkmcnt(0)
	s_nop 0
	v_cndmask_b32_e32 v5, 0, v12, vcc
	v_cndmask_b32_e32 v4, 0, v11, vcc
	v_lshl_add_u64 v[2:3], v[4:5], 0, v[2:3]
.LBB176_675:
	s_or_b64 exec, exec, s[6:7]
	v_cmp_eq_u32_e32 vcc, 0, v1
	s_and_saveexec_b64 s[4:5], vcc
; %bb.676:
	v_lshrrev_b32_e32 v4, 3, v0
	v_and_b32_e32 v4, 24, v4
	ds_write_b64 v4, v[2:3] offset:256
; %bb.677:
	s_or_b64 exec, exec, s[4:5]
	v_cmp_gt_u32_e32 vcc, 4, v0
	s_waitcnt lgkmcnt(0)
	s_barrier
	s_and_saveexec_b64 s[4:5], vcc
	s_cbranch_execz .LBB176_681
; %bb.678:
	v_lshlrev_b32_e32 v2, 3, v1
	ds_read_b64 v[2:3], v2 offset:256
	v_and_b32_e32 v6, 3, v1
	v_cmp_ne_u32_e32 vcc, 3, v6
	v_mov_b32_e32 v8, 0
	s_add_i32 s8, s8, 63
	v_addc_co_u32_e32 v1, vcc, 0, v1, vcc
	v_lshlrev_b32_e32 v1, 2, v1
	s_waitcnt lgkmcnt(0)
	ds_bpermute_b32 v4, v1, v2
	ds_bpermute_b32 v9, v1, v3
	v_mov_b32_e32 v5, v8
	s_lshr_b32 s8, s8, 6
	v_add_u32_e32 v1, 1, v6
	s_waitcnt lgkmcnt(1)
	v_lshl_add_u64 v[12:13], v[2:3], 0, v[4:5]
	s_waitcnt lgkmcnt(0)
	v_lshl_add_u64 v[4:5], v[8:9], 0, v[12:13]
	v_cmp_gt_u32_e32 vcc, s8, v1
	v_or_b32_e32 v8, 8, v10
	s_nop 0
	v_cndmask_b32_e32 v7, v3, v5, vcc
	v_cndmask_b32_e32 v1, v2, v12, vcc
	ds_bpermute_b32 v1, v8, v1
	ds_bpermute_b32 v7, v8, v7
	s_and_saveexec_b64 s[6:7], vcc
	s_cbranch_execz .LBB176_680
; %bb.679:
	v_add_u32_e32 v2, 2, v6
	v_cmp_gt_u32_e32 vcc, s8, v2
	s_waitcnt lgkmcnt(0)
	s_nop 0
	v_cndmask_b32_e32 v3, 0, v7, vcc
	v_cndmask_b32_e32 v2, 0, v1, vcc
	v_lshl_add_u64 v[2:3], v[2:3], 0, v[4:5]
.LBB176_680:
	s_or_b64 exec, exec, s[6:7]
.LBB176_681:
	s_or_b64 exec, exec, s[4:5]
.LBB176_682:
	v_cmp_eq_u32_e64 s[4:5], 0, v0
	v_mov_b64_e32 v[4:5], s[2:3]
.LBB176_683:
	s_and_saveexec_b64 s[2:3], s[4:5]
	s_cbranch_execz .LBB176_685
; %bb.684:
	s_load_dwordx2 s[0:1], s[0:1], 0x28
	s_cmp_lg_u64 s[36:37], 0
	s_cselect_b64 vcc, -1, 0
	s_waitcnt lgkmcnt(0)
	v_lshlrev_b64 v[0:1], 3, v[4:5]
	v_cndmask_b32_e32 v3, 0, v3, vcc
	v_cndmask_b32_e32 v2, 0, v2, vcc
	v_lshl_add_u64 v[0:1], s[38:39], 0, v[0:1]
	v_lshl_add_u64 v[2:3], v[2:3], 0, s[0:1]
	global_store_dwordx2 v[0:1], v[2:3], off
.LBB176_685:
	s_endpgm
	.section	.rodata,"a",@progbits
	.p2align	6, 0x0
	.amdhsa_kernel _ZN7rocprim17ROCPRIM_400000_NS6detail17trampoline_kernelINS0_14default_configENS1_22reduce_config_selectorIbEEZNS1_11reduce_implILb1ES3_N6hipcub16HIPCUB_304000_NS22TransformInputIteratorIb7NonZeroIiEPilEEPllNS8_6detail34convert_binary_result_type_wrapperINS8_3SumESD_lEEEE10hipError_tPvRmT1_T2_T3_mT4_P12ihipStream_tbEUlT_E1_NS1_11comp_targetILNS1_3genE0ELNS1_11target_archE4294967295ELNS1_3gpuE0ELNS1_3repE0EEENS1_30default_config_static_selectorELNS0_4arch9wavefront6targetE1EEEvSM_
		.amdhsa_group_segment_fixed_size 288
		.amdhsa_private_segment_fixed_size 0
		.amdhsa_kernarg_size 56
		.amdhsa_user_sgpr_count 2
		.amdhsa_user_sgpr_dispatch_ptr 0
		.amdhsa_user_sgpr_queue_ptr 0
		.amdhsa_user_sgpr_kernarg_segment_ptr 1
		.amdhsa_user_sgpr_dispatch_id 0
		.amdhsa_user_sgpr_kernarg_preload_length 0
		.amdhsa_user_sgpr_kernarg_preload_offset 0
		.amdhsa_user_sgpr_private_segment_size 0
		.amdhsa_uses_dynamic_stack 0
		.amdhsa_enable_private_segment 0
		.amdhsa_system_sgpr_workgroup_id_x 1
		.amdhsa_system_sgpr_workgroup_id_y 0
		.amdhsa_system_sgpr_workgroup_id_z 0
		.amdhsa_system_sgpr_workgroup_info 0
		.amdhsa_system_vgpr_workitem_id 0
		.amdhsa_next_free_vgpr 260
		.amdhsa_next_free_sgpr 46
		.amdhsa_accum_offset 256
		.amdhsa_reserve_vcc 1
		.amdhsa_float_round_mode_32 0
		.amdhsa_float_round_mode_16_64 0
		.amdhsa_float_denorm_mode_32 3
		.amdhsa_float_denorm_mode_16_64 3
		.amdhsa_dx10_clamp 1
		.amdhsa_ieee_mode 1
		.amdhsa_fp16_overflow 0
		.amdhsa_tg_split 0
		.amdhsa_exception_fp_ieee_invalid_op 0
		.amdhsa_exception_fp_denorm_src 0
		.amdhsa_exception_fp_ieee_div_zero 0
		.amdhsa_exception_fp_ieee_overflow 0
		.amdhsa_exception_fp_ieee_underflow 0
		.amdhsa_exception_fp_ieee_inexact 0
		.amdhsa_exception_int_div_zero 0
	.end_amdhsa_kernel
	.section	.text._ZN7rocprim17ROCPRIM_400000_NS6detail17trampoline_kernelINS0_14default_configENS1_22reduce_config_selectorIbEEZNS1_11reduce_implILb1ES3_N6hipcub16HIPCUB_304000_NS22TransformInputIteratorIb7NonZeroIiEPilEEPllNS8_6detail34convert_binary_result_type_wrapperINS8_3SumESD_lEEEE10hipError_tPvRmT1_T2_T3_mT4_P12ihipStream_tbEUlT_E1_NS1_11comp_targetILNS1_3genE0ELNS1_11target_archE4294967295ELNS1_3gpuE0ELNS1_3repE0EEENS1_30default_config_static_selectorELNS0_4arch9wavefront6targetE1EEEvSM_,"axG",@progbits,_ZN7rocprim17ROCPRIM_400000_NS6detail17trampoline_kernelINS0_14default_configENS1_22reduce_config_selectorIbEEZNS1_11reduce_implILb1ES3_N6hipcub16HIPCUB_304000_NS22TransformInputIteratorIb7NonZeroIiEPilEEPllNS8_6detail34convert_binary_result_type_wrapperINS8_3SumESD_lEEEE10hipError_tPvRmT1_T2_T3_mT4_P12ihipStream_tbEUlT_E1_NS1_11comp_targetILNS1_3genE0ELNS1_11target_archE4294967295ELNS1_3gpuE0ELNS1_3repE0EEENS1_30default_config_static_selectorELNS0_4arch9wavefront6targetE1EEEvSM_,comdat
.Lfunc_end176:
	.size	_ZN7rocprim17ROCPRIM_400000_NS6detail17trampoline_kernelINS0_14default_configENS1_22reduce_config_selectorIbEEZNS1_11reduce_implILb1ES3_N6hipcub16HIPCUB_304000_NS22TransformInputIteratorIb7NonZeroIiEPilEEPllNS8_6detail34convert_binary_result_type_wrapperINS8_3SumESD_lEEEE10hipError_tPvRmT1_T2_T3_mT4_P12ihipStream_tbEUlT_E1_NS1_11comp_targetILNS1_3genE0ELNS1_11target_archE4294967295ELNS1_3gpuE0ELNS1_3repE0EEENS1_30default_config_static_selectorELNS0_4arch9wavefront6targetE1EEEvSM_, .Lfunc_end176-_ZN7rocprim17ROCPRIM_400000_NS6detail17trampoline_kernelINS0_14default_configENS1_22reduce_config_selectorIbEEZNS1_11reduce_implILb1ES3_N6hipcub16HIPCUB_304000_NS22TransformInputIteratorIb7NonZeroIiEPilEEPllNS8_6detail34convert_binary_result_type_wrapperINS8_3SumESD_lEEEE10hipError_tPvRmT1_T2_T3_mT4_P12ihipStream_tbEUlT_E1_NS1_11comp_targetILNS1_3genE0ELNS1_11target_archE4294967295ELNS1_3gpuE0ELNS1_3repE0EEENS1_30default_config_static_selectorELNS0_4arch9wavefront6targetE1EEEvSM_
                                        ; -- End function
	.set _ZN7rocprim17ROCPRIM_400000_NS6detail17trampoline_kernelINS0_14default_configENS1_22reduce_config_selectorIbEEZNS1_11reduce_implILb1ES3_N6hipcub16HIPCUB_304000_NS22TransformInputIteratorIb7NonZeroIiEPilEEPllNS8_6detail34convert_binary_result_type_wrapperINS8_3SumESD_lEEEE10hipError_tPvRmT1_T2_T3_mT4_P12ihipStream_tbEUlT_E1_NS1_11comp_targetILNS1_3genE0ELNS1_11target_archE4294967295ELNS1_3gpuE0ELNS1_3repE0EEENS1_30default_config_static_selectorELNS0_4arch9wavefront6targetE1EEEvSM_.num_vgpr, 256
	.set _ZN7rocprim17ROCPRIM_400000_NS6detail17trampoline_kernelINS0_14default_configENS1_22reduce_config_selectorIbEEZNS1_11reduce_implILb1ES3_N6hipcub16HIPCUB_304000_NS22TransformInputIteratorIb7NonZeroIiEPilEEPllNS8_6detail34convert_binary_result_type_wrapperINS8_3SumESD_lEEEE10hipError_tPvRmT1_T2_T3_mT4_P12ihipStream_tbEUlT_E1_NS1_11comp_targetILNS1_3genE0ELNS1_11target_archE4294967295ELNS1_3gpuE0ELNS1_3repE0EEENS1_30default_config_static_selectorELNS0_4arch9wavefront6targetE1EEEvSM_.num_agpr, 4
	.set _ZN7rocprim17ROCPRIM_400000_NS6detail17trampoline_kernelINS0_14default_configENS1_22reduce_config_selectorIbEEZNS1_11reduce_implILb1ES3_N6hipcub16HIPCUB_304000_NS22TransformInputIteratorIb7NonZeroIiEPilEEPllNS8_6detail34convert_binary_result_type_wrapperINS8_3SumESD_lEEEE10hipError_tPvRmT1_T2_T3_mT4_P12ihipStream_tbEUlT_E1_NS1_11comp_targetILNS1_3genE0ELNS1_11target_archE4294967295ELNS1_3gpuE0ELNS1_3repE0EEENS1_30default_config_static_selectorELNS0_4arch9wavefront6targetE1EEEvSM_.numbered_sgpr, 46
	.set _ZN7rocprim17ROCPRIM_400000_NS6detail17trampoline_kernelINS0_14default_configENS1_22reduce_config_selectorIbEEZNS1_11reduce_implILb1ES3_N6hipcub16HIPCUB_304000_NS22TransformInputIteratorIb7NonZeroIiEPilEEPllNS8_6detail34convert_binary_result_type_wrapperINS8_3SumESD_lEEEE10hipError_tPvRmT1_T2_T3_mT4_P12ihipStream_tbEUlT_E1_NS1_11comp_targetILNS1_3genE0ELNS1_11target_archE4294967295ELNS1_3gpuE0ELNS1_3repE0EEENS1_30default_config_static_selectorELNS0_4arch9wavefront6targetE1EEEvSM_.num_named_barrier, 0
	.set _ZN7rocprim17ROCPRIM_400000_NS6detail17trampoline_kernelINS0_14default_configENS1_22reduce_config_selectorIbEEZNS1_11reduce_implILb1ES3_N6hipcub16HIPCUB_304000_NS22TransformInputIteratorIb7NonZeroIiEPilEEPllNS8_6detail34convert_binary_result_type_wrapperINS8_3SumESD_lEEEE10hipError_tPvRmT1_T2_T3_mT4_P12ihipStream_tbEUlT_E1_NS1_11comp_targetILNS1_3genE0ELNS1_11target_archE4294967295ELNS1_3gpuE0ELNS1_3repE0EEENS1_30default_config_static_selectorELNS0_4arch9wavefront6targetE1EEEvSM_.private_seg_size, 0
	.set _ZN7rocprim17ROCPRIM_400000_NS6detail17trampoline_kernelINS0_14default_configENS1_22reduce_config_selectorIbEEZNS1_11reduce_implILb1ES3_N6hipcub16HIPCUB_304000_NS22TransformInputIteratorIb7NonZeroIiEPilEEPllNS8_6detail34convert_binary_result_type_wrapperINS8_3SumESD_lEEEE10hipError_tPvRmT1_T2_T3_mT4_P12ihipStream_tbEUlT_E1_NS1_11comp_targetILNS1_3genE0ELNS1_11target_archE4294967295ELNS1_3gpuE0ELNS1_3repE0EEENS1_30default_config_static_selectorELNS0_4arch9wavefront6targetE1EEEvSM_.uses_vcc, 1
	.set _ZN7rocprim17ROCPRIM_400000_NS6detail17trampoline_kernelINS0_14default_configENS1_22reduce_config_selectorIbEEZNS1_11reduce_implILb1ES3_N6hipcub16HIPCUB_304000_NS22TransformInputIteratorIb7NonZeroIiEPilEEPllNS8_6detail34convert_binary_result_type_wrapperINS8_3SumESD_lEEEE10hipError_tPvRmT1_T2_T3_mT4_P12ihipStream_tbEUlT_E1_NS1_11comp_targetILNS1_3genE0ELNS1_11target_archE4294967295ELNS1_3gpuE0ELNS1_3repE0EEENS1_30default_config_static_selectorELNS0_4arch9wavefront6targetE1EEEvSM_.uses_flat_scratch, 0
	.set _ZN7rocprim17ROCPRIM_400000_NS6detail17trampoline_kernelINS0_14default_configENS1_22reduce_config_selectorIbEEZNS1_11reduce_implILb1ES3_N6hipcub16HIPCUB_304000_NS22TransformInputIteratorIb7NonZeroIiEPilEEPllNS8_6detail34convert_binary_result_type_wrapperINS8_3SumESD_lEEEE10hipError_tPvRmT1_T2_T3_mT4_P12ihipStream_tbEUlT_E1_NS1_11comp_targetILNS1_3genE0ELNS1_11target_archE4294967295ELNS1_3gpuE0ELNS1_3repE0EEENS1_30default_config_static_selectorELNS0_4arch9wavefront6targetE1EEEvSM_.has_dyn_sized_stack, 0
	.set _ZN7rocprim17ROCPRIM_400000_NS6detail17trampoline_kernelINS0_14default_configENS1_22reduce_config_selectorIbEEZNS1_11reduce_implILb1ES3_N6hipcub16HIPCUB_304000_NS22TransformInputIteratorIb7NonZeroIiEPilEEPllNS8_6detail34convert_binary_result_type_wrapperINS8_3SumESD_lEEEE10hipError_tPvRmT1_T2_T3_mT4_P12ihipStream_tbEUlT_E1_NS1_11comp_targetILNS1_3genE0ELNS1_11target_archE4294967295ELNS1_3gpuE0ELNS1_3repE0EEENS1_30default_config_static_selectorELNS0_4arch9wavefront6targetE1EEEvSM_.has_recursion, 0
	.set _ZN7rocprim17ROCPRIM_400000_NS6detail17trampoline_kernelINS0_14default_configENS1_22reduce_config_selectorIbEEZNS1_11reduce_implILb1ES3_N6hipcub16HIPCUB_304000_NS22TransformInputIteratorIb7NonZeroIiEPilEEPllNS8_6detail34convert_binary_result_type_wrapperINS8_3SumESD_lEEEE10hipError_tPvRmT1_T2_T3_mT4_P12ihipStream_tbEUlT_E1_NS1_11comp_targetILNS1_3genE0ELNS1_11target_archE4294967295ELNS1_3gpuE0ELNS1_3repE0EEENS1_30default_config_static_selectorELNS0_4arch9wavefront6targetE1EEEvSM_.has_indirect_call, 0
	.section	.AMDGPU.csdata,"",@progbits
; Kernel info:
; codeLenInByte = 41968
; TotalNumSgprs: 52
; NumVgprs: 256
; NumAgprs: 4
; TotalNumVgprs: 260
; ScratchSize: 0
; MemoryBound: 0
; FloatMode: 240
; IeeeMode: 1
; LDSByteSize: 288 bytes/workgroup (compile time only)
; SGPRBlocks: 6
; VGPRBlocks: 32
; NumSGPRsForWavesPerEU: 52
; NumVGPRsForWavesPerEU: 260
; AccumOffset: 256
; Occupancy: 1
; WaveLimiterHint : 1
; COMPUTE_PGM_RSRC2:SCRATCH_EN: 0
; COMPUTE_PGM_RSRC2:USER_SGPR: 2
; COMPUTE_PGM_RSRC2:TRAP_HANDLER: 0
; COMPUTE_PGM_RSRC2:TGID_X_EN: 1
; COMPUTE_PGM_RSRC2:TGID_Y_EN: 0
; COMPUTE_PGM_RSRC2:TGID_Z_EN: 0
; COMPUTE_PGM_RSRC2:TIDIG_COMP_CNT: 0
; COMPUTE_PGM_RSRC3_GFX90A:ACCUM_OFFSET: 63
; COMPUTE_PGM_RSRC3_GFX90A:TG_SPLIT: 0
	.section	.text._ZN7rocprim17ROCPRIM_400000_NS6detail17trampoline_kernelINS0_14default_configENS1_22reduce_config_selectorIbEEZNS1_11reduce_implILb1ES3_N6hipcub16HIPCUB_304000_NS22TransformInputIteratorIb7NonZeroIiEPilEEPllNS8_6detail34convert_binary_result_type_wrapperINS8_3SumESD_lEEEE10hipError_tPvRmT1_T2_T3_mT4_P12ihipStream_tbEUlT_E1_NS1_11comp_targetILNS1_3genE5ELNS1_11target_archE942ELNS1_3gpuE9ELNS1_3repE0EEENS1_30default_config_static_selectorELNS0_4arch9wavefront6targetE1EEEvSM_,"axG",@progbits,_ZN7rocprim17ROCPRIM_400000_NS6detail17trampoline_kernelINS0_14default_configENS1_22reduce_config_selectorIbEEZNS1_11reduce_implILb1ES3_N6hipcub16HIPCUB_304000_NS22TransformInputIteratorIb7NonZeroIiEPilEEPllNS8_6detail34convert_binary_result_type_wrapperINS8_3SumESD_lEEEE10hipError_tPvRmT1_T2_T3_mT4_P12ihipStream_tbEUlT_E1_NS1_11comp_targetILNS1_3genE5ELNS1_11target_archE942ELNS1_3gpuE9ELNS1_3repE0EEENS1_30default_config_static_selectorELNS0_4arch9wavefront6targetE1EEEvSM_,comdat
	.protected	_ZN7rocprim17ROCPRIM_400000_NS6detail17trampoline_kernelINS0_14default_configENS1_22reduce_config_selectorIbEEZNS1_11reduce_implILb1ES3_N6hipcub16HIPCUB_304000_NS22TransformInputIteratorIb7NonZeroIiEPilEEPllNS8_6detail34convert_binary_result_type_wrapperINS8_3SumESD_lEEEE10hipError_tPvRmT1_T2_T3_mT4_P12ihipStream_tbEUlT_E1_NS1_11comp_targetILNS1_3genE5ELNS1_11target_archE942ELNS1_3gpuE9ELNS1_3repE0EEENS1_30default_config_static_selectorELNS0_4arch9wavefront6targetE1EEEvSM_ ; -- Begin function _ZN7rocprim17ROCPRIM_400000_NS6detail17trampoline_kernelINS0_14default_configENS1_22reduce_config_selectorIbEEZNS1_11reduce_implILb1ES3_N6hipcub16HIPCUB_304000_NS22TransformInputIteratorIb7NonZeroIiEPilEEPllNS8_6detail34convert_binary_result_type_wrapperINS8_3SumESD_lEEEE10hipError_tPvRmT1_T2_T3_mT4_P12ihipStream_tbEUlT_E1_NS1_11comp_targetILNS1_3genE5ELNS1_11target_archE942ELNS1_3gpuE9ELNS1_3repE0EEENS1_30default_config_static_selectorELNS0_4arch9wavefront6targetE1EEEvSM_
	.globl	_ZN7rocprim17ROCPRIM_400000_NS6detail17trampoline_kernelINS0_14default_configENS1_22reduce_config_selectorIbEEZNS1_11reduce_implILb1ES3_N6hipcub16HIPCUB_304000_NS22TransformInputIteratorIb7NonZeroIiEPilEEPllNS8_6detail34convert_binary_result_type_wrapperINS8_3SumESD_lEEEE10hipError_tPvRmT1_T2_T3_mT4_P12ihipStream_tbEUlT_E1_NS1_11comp_targetILNS1_3genE5ELNS1_11target_archE942ELNS1_3gpuE9ELNS1_3repE0EEENS1_30default_config_static_selectorELNS0_4arch9wavefront6targetE1EEEvSM_
	.p2align	8
	.type	_ZN7rocprim17ROCPRIM_400000_NS6detail17trampoline_kernelINS0_14default_configENS1_22reduce_config_selectorIbEEZNS1_11reduce_implILb1ES3_N6hipcub16HIPCUB_304000_NS22TransformInputIteratorIb7NonZeroIiEPilEEPllNS8_6detail34convert_binary_result_type_wrapperINS8_3SumESD_lEEEE10hipError_tPvRmT1_T2_T3_mT4_P12ihipStream_tbEUlT_E1_NS1_11comp_targetILNS1_3genE5ELNS1_11target_archE942ELNS1_3gpuE9ELNS1_3repE0EEENS1_30default_config_static_selectorELNS0_4arch9wavefront6targetE1EEEvSM_,@function
_ZN7rocprim17ROCPRIM_400000_NS6detail17trampoline_kernelINS0_14default_configENS1_22reduce_config_selectorIbEEZNS1_11reduce_implILb1ES3_N6hipcub16HIPCUB_304000_NS22TransformInputIteratorIb7NonZeroIiEPilEEPllNS8_6detail34convert_binary_result_type_wrapperINS8_3SumESD_lEEEE10hipError_tPvRmT1_T2_T3_mT4_P12ihipStream_tbEUlT_E1_NS1_11comp_targetILNS1_3genE5ELNS1_11target_archE942ELNS1_3gpuE9ELNS1_3repE0EEENS1_30default_config_static_selectorELNS0_4arch9wavefront6targetE1EEEvSM_: ; @_ZN7rocprim17ROCPRIM_400000_NS6detail17trampoline_kernelINS0_14default_configENS1_22reduce_config_selectorIbEEZNS1_11reduce_implILb1ES3_N6hipcub16HIPCUB_304000_NS22TransformInputIteratorIb7NonZeroIiEPilEEPllNS8_6detail34convert_binary_result_type_wrapperINS8_3SumESD_lEEEE10hipError_tPvRmT1_T2_T3_mT4_P12ihipStream_tbEUlT_E1_NS1_11comp_targetILNS1_3genE5ELNS1_11target_archE942ELNS1_3gpuE9ELNS1_3repE0EEENS1_30default_config_static_selectorELNS0_4arch9wavefront6targetE1EEEvSM_
; %bb.0:
	.section	.rodata,"a",@progbits
	.p2align	6, 0x0
	.amdhsa_kernel _ZN7rocprim17ROCPRIM_400000_NS6detail17trampoline_kernelINS0_14default_configENS1_22reduce_config_selectorIbEEZNS1_11reduce_implILb1ES3_N6hipcub16HIPCUB_304000_NS22TransformInputIteratorIb7NonZeroIiEPilEEPllNS8_6detail34convert_binary_result_type_wrapperINS8_3SumESD_lEEEE10hipError_tPvRmT1_T2_T3_mT4_P12ihipStream_tbEUlT_E1_NS1_11comp_targetILNS1_3genE5ELNS1_11target_archE942ELNS1_3gpuE9ELNS1_3repE0EEENS1_30default_config_static_selectorELNS0_4arch9wavefront6targetE1EEEvSM_
		.amdhsa_group_segment_fixed_size 0
		.amdhsa_private_segment_fixed_size 0
		.amdhsa_kernarg_size 56
		.amdhsa_user_sgpr_count 2
		.amdhsa_user_sgpr_dispatch_ptr 0
		.amdhsa_user_sgpr_queue_ptr 0
		.amdhsa_user_sgpr_kernarg_segment_ptr 1
		.amdhsa_user_sgpr_dispatch_id 0
		.amdhsa_user_sgpr_kernarg_preload_length 0
		.amdhsa_user_sgpr_kernarg_preload_offset 0
		.amdhsa_user_sgpr_private_segment_size 0
		.amdhsa_uses_dynamic_stack 0
		.amdhsa_enable_private_segment 0
		.amdhsa_system_sgpr_workgroup_id_x 1
		.amdhsa_system_sgpr_workgroup_id_y 0
		.amdhsa_system_sgpr_workgroup_id_z 0
		.amdhsa_system_sgpr_workgroup_info 0
		.amdhsa_system_vgpr_workitem_id 0
		.amdhsa_next_free_vgpr 1
		.amdhsa_next_free_sgpr 0
		.amdhsa_accum_offset 4
		.amdhsa_reserve_vcc 0
		.amdhsa_float_round_mode_32 0
		.amdhsa_float_round_mode_16_64 0
		.amdhsa_float_denorm_mode_32 3
		.amdhsa_float_denorm_mode_16_64 3
		.amdhsa_dx10_clamp 1
		.amdhsa_ieee_mode 1
		.amdhsa_fp16_overflow 0
		.amdhsa_tg_split 0
		.amdhsa_exception_fp_ieee_invalid_op 0
		.amdhsa_exception_fp_denorm_src 0
		.amdhsa_exception_fp_ieee_div_zero 0
		.amdhsa_exception_fp_ieee_overflow 0
		.amdhsa_exception_fp_ieee_underflow 0
		.amdhsa_exception_fp_ieee_inexact 0
		.amdhsa_exception_int_div_zero 0
	.end_amdhsa_kernel
	.section	.text._ZN7rocprim17ROCPRIM_400000_NS6detail17trampoline_kernelINS0_14default_configENS1_22reduce_config_selectorIbEEZNS1_11reduce_implILb1ES3_N6hipcub16HIPCUB_304000_NS22TransformInputIteratorIb7NonZeroIiEPilEEPllNS8_6detail34convert_binary_result_type_wrapperINS8_3SumESD_lEEEE10hipError_tPvRmT1_T2_T3_mT4_P12ihipStream_tbEUlT_E1_NS1_11comp_targetILNS1_3genE5ELNS1_11target_archE942ELNS1_3gpuE9ELNS1_3repE0EEENS1_30default_config_static_selectorELNS0_4arch9wavefront6targetE1EEEvSM_,"axG",@progbits,_ZN7rocprim17ROCPRIM_400000_NS6detail17trampoline_kernelINS0_14default_configENS1_22reduce_config_selectorIbEEZNS1_11reduce_implILb1ES3_N6hipcub16HIPCUB_304000_NS22TransformInputIteratorIb7NonZeroIiEPilEEPllNS8_6detail34convert_binary_result_type_wrapperINS8_3SumESD_lEEEE10hipError_tPvRmT1_T2_T3_mT4_P12ihipStream_tbEUlT_E1_NS1_11comp_targetILNS1_3genE5ELNS1_11target_archE942ELNS1_3gpuE9ELNS1_3repE0EEENS1_30default_config_static_selectorELNS0_4arch9wavefront6targetE1EEEvSM_,comdat
.Lfunc_end177:
	.size	_ZN7rocprim17ROCPRIM_400000_NS6detail17trampoline_kernelINS0_14default_configENS1_22reduce_config_selectorIbEEZNS1_11reduce_implILb1ES3_N6hipcub16HIPCUB_304000_NS22TransformInputIteratorIb7NonZeroIiEPilEEPllNS8_6detail34convert_binary_result_type_wrapperINS8_3SumESD_lEEEE10hipError_tPvRmT1_T2_T3_mT4_P12ihipStream_tbEUlT_E1_NS1_11comp_targetILNS1_3genE5ELNS1_11target_archE942ELNS1_3gpuE9ELNS1_3repE0EEENS1_30default_config_static_selectorELNS0_4arch9wavefront6targetE1EEEvSM_, .Lfunc_end177-_ZN7rocprim17ROCPRIM_400000_NS6detail17trampoline_kernelINS0_14default_configENS1_22reduce_config_selectorIbEEZNS1_11reduce_implILb1ES3_N6hipcub16HIPCUB_304000_NS22TransformInputIteratorIb7NonZeroIiEPilEEPllNS8_6detail34convert_binary_result_type_wrapperINS8_3SumESD_lEEEE10hipError_tPvRmT1_T2_T3_mT4_P12ihipStream_tbEUlT_E1_NS1_11comp_targetILNS1_3genE5ELNS1_11target_archE942ELNS1_3gpuE9ELNS1_3repE0EEENS1_30default_config_static_selectorELNS0_4arch9wavefront6targetE1EEEvSM_
                                        ; -- End function
	.set _ZN7rocprim17ROCPRIM_400000_NS6detail17trampoline_kernelINS0_14default_configENS1_22reduce_config_selectorIbEEZNS1_11reduce_implILb1ES3_N6hipcub16HIPCUB_304000_NS22TransformInputIteratorIb7NonZeroIiEPilEEPllNS8_6detail34convert_binary_result_type_wrapperINS8_3SumESD_lEEEE10hipError_tPvRmT1_T2_T3_mT4_P12ihipStream_tbEUlT_E1_NS1_11comp_targetILNS1_3genE5ELNS1_11target_archE942ELNS1_3gpuE9ELNS1_3repE0EEENS1_30default_config_static_selectorELNS0_4arch9wavefront6targetE1EEEvSM_.num_vgpr, 0
	.set _ZN7rocprim17ROCPRIM_400000_NS6detail17trampoline_kernelINS0_14default_configENS1_22reduce_config_selectorIbEEZNS1_11reduce_implILb1ES3_N6hipcub16HIPCUB_304000_NS22TransformInputIteratorIb7NonZeroIiEPilEEPllNS8_6detail34convert_binary_result_type_wrapperINS8_3SumESD_lEEEE10hipError_tPvRmT1_T2_T3_mT4_P12ihipStream_tbEUlT_E1_NS1_11comp_targetILNS1_3genE5ELNS1_11target_archE942ELNS1_3gpuE9ELNS1_3repE0EEENS1_30default_config_static_selectorELNS0_4arch9wavefront6targetE1EEEvSM_.num_agpr, 0
	.set _ZN7rocprim17ROCPRIM_400000_NS6detail17trampoline_kernelINS0_14default_configENS1_22reduce_config_selectorIbEEZNS1_11reduce_implILb1ES3_N6hipcub16HIPCUB_304000_NS22TransformInputIteratorIb7NonZeroIiEPilEEPllNS8_6detail34convert_binary_result_type_wrapperINS8_3SumESD_lEEEE10hipError_tPvRmT1_T2_T3_mT4_P12ihipStream_tbEUlT_E1_NS1_11comp_targetILNS1_3genE5ELNS1_11target_archE942ELNS1_3gpuE9ELNS1_3repE0EEENS1_30default_config_static_selectorELNS0_4arch9wavefront6targetE1EEEvSM_.numbered_sgpr, 0
	.set _ZN7rocprim17ROCPRIM_400000_NS6detail17trampoline_kernelINS0_14default_configENS1_22reduce_config_selectorIbEEZNS1_11reduce_implILb1ES3_N6hipcub16HIPCUB_304000_NS22TransformInputIteratorIb7NonZeroIiEPilEEPllNS8_6detail34convert_binary_result_type_wrapperINS8_3SumESD_lEEEE10hipError_tPvRmT1_T2_T3_mT4_P12ihipStream_tbEUlT_E1_NS1_11comp_targetILNS1_3genE5ELNS1_11target_archE942ELNS1_3gpuE9ELNS1_3repE0EEENS1_30default_config_static_selectorELNS0_4arch9wavefront6targetE1EEEvSM_.num_named_barrier, 0
	.set _ZN7rocprim17ROCPRIM_400000_NS6detail17trampoline_kernelINS0_14default_configENS1_22reduce_config_selectorIbEEZNS1_11reduce_implILb1ES3_N6hipcub16HIPCUB_304000_NS22TransformInputIteratorIb7NonZeroIiEPilEEPllNS8_6detail34convert_binary_result_type_wrapperINS8_3SumESD_lEEEE10hipError_tPvRmT1_T2_T3_mT4_P12ihipStream_tbEUlT_E1_NS1_11comp_targetILNS1_3genE5ELNS1_11target_archE942ELNS1_3gpuE9ELNS1_3repE0EEENS1_30default_config_static_selectorELNS0_4arch9wavefront6targetE1EEEvSM_.private_seg_size, 0
	.set _ZN7rocprim17ROCPRIM_400000_NS6detail17trampoline_kernelINS0_14default_configENS1_22reduce_config_selectorIbEEZNS1_11reduce_implILb1ES3_N6hipcub16HIPCUB_304000_NS22TransformInputIteratorIb7NonZeroIiEPilEEPllNS8_6detail34convert_binary_result_type_wrapperINS8_3SumESD_lEEEE10hipError_tPvRmT1_T2_T3_mT4_P12ihipStream_tbEUlT_E1_NS1_11comp_targetILNS1_3genE5ELNS1_11target_archE942ELNS1_3gpuE9ELNS1_3repE0EEENS1_30default_config_static_selectorELNS0_4arch9wavefront6targetE1EEEvSM_.uses_vcc, 0
	.set _ZN7rocprim17ROCPRIM_400000_NS6detail17trampoline_kernelINS0_14default_configENS1_22reduce_config_selectorIbEEZNS1_11reduce_implILb1ES3_N6hipcub16HIPCUB_304000_NS22TransformInputIteratorIb7NonZeroIiEPilEEPllNS8_6detail34convert_binary_result_type_wrapperINS8_3SumESD_lEEEE10hipError_tPvRmT1_T2_T3_mT4_P12ihipStream_tbEUlT_E1_NS1_11comp_targetILNS1_3genE5ELNS1_11target_archE942ELNS1_3gpuE9ELNS1_3repE0EEENS1_30default_config_static_selectorELNS0_4arch9wavefront6targetE1EEEvSM_.uses_flat_scratch, 0
	.set _ZN7rocprim17ROCPRIM_400000_NS6detail17trampoline_kernelINS0_14default_configENS1_22reduce_config_selectorIbEEZNS1_11reduce_implILb1ES3_N6hipcub16HIPCUB_304000_NS22TransformInputIteratorIb7NonZeroIiEPilEEPllNS8_6detail34convert_binary_result_type_wrapperINS8_3SumESD_lEEEE10hipError_tPvRmT1_T2_T3_mT4_P12ihipStream_tbEUlT_E1_NS1_11comp_targetILNS1_3genE5ELNS1_11target_archE942ELNS1_3gpuE9ELNS1_3repE0EEENS1_30default_config_static_selectorELNS0_4arch9wavefront6targetE1EEEvSM_.has_dyn_sized_stack, 0
	.set _ZN7rocprim17ROCPRIM_400000_NS6detail17trampoline_kernelINS0_14default_configENS1_22reduce_config_selectorIbEEZNS1_11reduce_implILb1ES3_N6hipcub16HIPCUB_304000_NS22TransformInputIteratorIb7NonZeroIiEPilEEPllNS8_6detail34convert_binary_result_type_wrapperINS8_3SumESD_lEEEE10hipError_tPvRmT1_T2_T3_mT4_P12ihipStream_tbEUlT_E1_NS1_11comp_targetILNS1_3genE5ELNS1_11target_archE942ELNS1_3gpuE9ELNS1_3repE0EEENS1_30default_config_static_selectorELNS0_4arch9wavefront6targetE1EEEvSM_.has_recursion, 0
	.set _ZN7rocprim17ROCPRIM_400000_NS6detail17trampoline_kernelINS0_14default_configENS1_22reduce_config_selectorIbEEZNS1_11reduce_implILb1ES3_N6hipcub16HIPCUB_304000_NS22TransformInputIteratorIb7NonZeroIiEPilEEPllNS8_6detail34convert_binary_result_type_wrapperINS8_3SumESD_lEEEE10hipError_tPvRmT1_T2_T3_mT4_P12ihipStream_tbEUlT_E1_NS1_11comp_targetILNS1_3genE5ELNS1_11target_archE942ELNS1_3gpuE9ELNS1_3repE0EEENS1_30default_config_static_selectorELNS0_4arch9wavefront6targetE1EEEvSM_.has_indirect_call, 0
	.section	.AMDGPU.csdata,"",@progbits
; Kernel info:
; codeLenInByte = 0
; TotalNumSgprs: 6
; NumVgprs: 0
; NumAgprs: 0
; TotalNumVgprs: 0
; ScratchSize: 0
; MemoryBound: 0
; FloatMode: 240
; IeeeMode: 1
; LDSByteSize: 0 bytes/workgroup (compile time only)
; SGPRBlocks: 0
; VGPRBlocks: 0
; NumSGPRsForWavesPerEU: 6
; NumVGPRsForWavesPerEU: 1
; AccumOffset: 4
; Occupancy: 8
; WaveLimiterHint : 0
; COMPUTE_PGM_RSRC2:SCRATCH_EN: 0
; COMPUTE_PGM_RSRC2:USER_SGPR: 2
; COMPUTE_PGM_RSRC2:TRAP_HANDLER: 0
; COMPUTE_PGM_RSRC2:TGID_X_EN: 1
; COMPUTE_PGM_RSRC2:TGID_Y_EN: 0
; COMPUTE_PGM_RSRC2:TGID_Z_EN: 0
; COMPUTE_PGM_RSRC2:TIDIG_COMP_CNT: 0
; COMPUTE_PGM_RSRC3_GFX90A:ACCUM_OFFSET: 0
; COMPUTE_PGM_RSRC3_GFX90A:TG_SPLIT: 0
	.section	.text._ZN7rocprim17ROCPRIM_400000_NS6detail17trampoline_kernelINS0_14default_configENS1_22reduce_config_selectorIbEEZNS1_11reduce_implILb1ES3_N6hipcub16HIPCUB_304000_NS22TransformInputIteratorIb7NonZeroIiEPilEEPllNS8_6detail34convert_binary_result_type_wrapperINS8_3SumESD_lEEEE10hipError_tPvRmT1_T2_T3_mT4_P12ihipStream_tbEUlT_E1_NS1_11comp_targetILNS1_3genE4ELNS1_11target_archE910ELNS1_3gpuE8ELNS1_3repE0EEENS1_30default_config_static_selectorELNS0_4arch9wavefront6targetE1EEEvSM_,"axG",@progbits,_ZN7rocprim17ROCPRIM_400000_NS6detail17trampoline_kernelINS0_14default_configENS1_22reduce_config_selectorIbEEZNS1_11reduce_implILb1ES3_N6hipcub16HIPCUB_304000_NS22TransformInputIteratorIb7NonZeroIiEPilEEPllNS8_6detail34convert_binary_result_type_wrapperINS8_3SumESD_lEEEE10hipError_tPvRmT1_T2_T3_mT4_P12ihipStream_tbEUlT_E1_NS1_11comp_targetILNS1_3genE4ELNS1_11target_archE910ELNS1_3gpuE8ELNS1_3repE0EEENS1_30default_config_static_selectorELNS0_4arch9wavefront6targetE1EEEvSM_,comdat
	.protected	_ZN7rocprim17ROCPRIM_400000_NS6detail17trampoline_kernelINS0_14default_configENS1_22reduce_config_selectorIbEEZNS1_11reduce_implILb1ES3_N6hipcub16HIPCUB_304000_NS22TransformInputIteratorIb7NonZeroIiEPilEEPllNS8_6detail34convert_binary_result_type_wrapperINS8_3SumESD_lEEEE10hipError_tPvRmT1_T2_T3_mT4_P12ihipStream_tbEUlT_E1_NS1_11comp_targetILNS1_3genE4ELNS1_11target_archE910ELNS1_3gpuE8ELNS1_3repE0EEENS1_30default_config_static_selectorELNS0_4arch9wavefront6targetE1EEEvSM_ ; -- Begin function _ZN7rocprim17ROCPRIM_400000_NS6detail17trampoline_kernelINS0_14default_configENS1_22reduce_config_selectorIbEEZNS1_11reduce_implILb1ES3_N6hipcub16HIPCUB_304000_NS22TransformInputIteratorIb7NonZeroIiEPilEEPllNS8_6detail34convert_binary_result_type_wrapperINS8_3SumESD_lEEEE10hipError_tPvRmT1_T2_T3_mT4_P12ihipStream_tbEUlT_E1_NS1_11comp_targetILNS1_3genE4ELNS1_11target_archE910ELNS1_3gpuE8ELNS1_3repE0EEENS1_30default_config_static_selectorELNS0_4arch9wavefront6targetE1EEEvSM_
	.globl	_ZN7rocprim17ROCPRIM_400000_NS6detail17trampoline_kernelINS0_14default_configENS1_22reduce_config_selectorIbEEZNS1_11reduce_implILb1ES3_N6hipcub16HIPCUB_304000_NS22TransformInputIteratorIb7NonZeroIiEPilEEPllNS8_6detail34convert_binary_result_type_wrapperINS8_3SumESD_lEEEE10hipError_tPvRmT1_T2_T3_mT4_P12ihipStream_tbEUlT_E1_NS1_11comp_targetILNS1_3genE4ELNS1_11target_archE910ELNS1_3gpuE8ELNS1_3repE0EEENS1_30default_config_static_selectorELNS0_4arch9wavefront6targetE1EEEvSM_
	.p2align	8
	.type	_ZN7rocprim17ROCPRIM_400000_NS6detail17trampoline_kernelINS0_14default_configENS1_22reduce_config_selectorIbEEZNS1_11reduce_implILb1ES3_N6hipcub16HIPCUB_304000_NS22TransformInputIteratorIb7NonZeroIiEPilEEPllNS8_6detail34convert_binary_result_type_wrapperINS8_3SumESD_lEEEE10hipError_tPvRmT1_T2_T3_mT4_P12ihipStream_tbEUlT_E1_NS1_11comp_targetILNS1_3genE4ELNS1_11target_archE910ELNS1_3gpuE8ELNS1_3repE0EEENS1_30default_config_static_selectorELNS0_4arch9wavefront6targetE1EEEvSM_,@function
_ZN7rocprim17ROCPRIM_400000_NS6detail17trampoline_kernelINS0_14default_configENS1_22reduce_config_selectorIbEEZNS1_11reduce_implILb1ES3_N6hipcub16HIPCUB_304000_NS22TransformInputIteratorIb7NonZeroIiEPilEEPllNS8_6detail34convert_binary_result_type_wrapperINS8_3SumESD_lEEEE10hipError_tPvRmT1_T2_T3_mT4_P12ihipStream_tbEUlT_E1_NS1_11comp_targetILNS1_3genE4ELNS1_11target_archE910ELNS1_3gpuE8ELNS1_3repE0EEENS1_30default_config_static_selectorELNS0_4arch9wavefront6targetE1EEEvSM_: ; @_ZN7rocprim17ROCPRIM_400000_NS6detail17trampoline_kernelINS0_14default_configENS1_22reduce_config_selectorIbEEZNS1_11reduce_implILb1ES3_N6hipcub16HIPCUB_304000_NS22TransformInputIteratorIb7NonZeroIiEPilEEPllNS8_6detail34convert_binary_result_type_wrapperINS8_3SumESD_lEEEE10hipError_tPvRmT1_T2_T3_mT4_P12ihipStream_tbEUlT_E1_NS1_11comp_targetILNS1_3genE4ELNS1_11target_archE910ELNS1_3gpuE8ELNS1_3repE0EEENS1_30default_config_static_selectorELNS0_4arch9wavefront6targetE1EEEvSM_
; %bb.0:
	.section	.rodata,"a",@progbits
	.p2align	6, 0x0
	.amdhsa_kernel _ZN7rocprim17ROCPRIM_400000_NS6detail17trampoline_kernelINS0_14default_configENS1_22reduce_config_selectorIbEEZNS1_11reduce_implILb1ES3_N6hipcub16HIPCUB_304000_NS22TransformInputIteratorIb7NonZeroIiEPilEEPllNS8_6detail34convert_binary_result_type_wrapperINS8_3SumESD_lEEEE10hipError_tPvRmT1_T2_T3_mT4_P12ihipStream_tbEUlT_E1_NS1_11comp_targetILNS1_3genE4ELNS1_11target_archE910ELNS1_3gpuE8ELNS1_3repE0EEENS1_30default_config_static_selectorELNS0_4arch9wavefront6targetE1EEEvSM_
		.amdhsa_group_segment_fixed_size 0
		.amdhsa_private_segment_fixed_size 0
		.amdhsa_kernarg_size 56
		.amdhsa_user_sgpr_count 2
		.amdhsa_user_sgpr_dispatch_ptr 0
		.amdhsa_user_sgpr_queue_ptr 0
		.amdhsa_user_sgpr_kernarg_segment_ptr 1
		.amdhsa_user_sgpr_dispatch_id 0
		.amdhsa_user_sgpr_kernarg_preload_length 0
		.amdhsa_user_sgpr_kernarg_preload_offset 0
		.amdhsa_user_sgpr_private_segment_size 0
		.amdhsa_uses_dynamic_stack 0
		.amdhsa_enable_private_segment 0
		.amdhsa_system_sgpr_workgroup_id_x 1
		.amdhsa_system_sgpr_workgroup_id_y 0
		.amdhsa_system_sgpr_workgroup_id_z 0
		.amdhsa_system_sgpr_workgroup_info 0
		.amdhsa_system_vgpr_workitem_id 0
		.amdhsa_next_free_vgpr 1
		.amdhsa_next_free_sgpr 0
		.amdhsa_accum_offset 4
		.amdhsa_reserve_vcc 0
		.amdhsa_float_round_mode_32 0
		.amdhsa_float_round_mode_16_64 0
		.amdhsa_float_denorm_mode_32 3
		.amdhsa_float_denorm_mode_16_64 3
		.amdhsa_dx10_clamp 1
		.amdhsa_ieee_mode 1
		.amdhsa_fp16_overflow 0
		.amdhsa_tg_split 0
		.amdhsa_exception_fp_ieee_invalid_op 0
		.amdhsa_exception_fp_denorm_src 0
		.amdhsa_exception_fp_ieee_div_zero 0
		.amdhsa_exception_fp_ieee_overflow 0
		.amdhsa_exception_fp_ieee_underflow 0
		.amdhsa_exception_fp_ieee_inexact 0
		.amdhsa_exception_int_div_zero 0
	.end_amdhsa_kernel
	.section	.text._ZN7rocprim17ROCPRIM_400000_NS6detail17trampoline_kernelINS0_14default_configENS1_22reduce_config_selectorIbEEZNS1_11reduce_implILb1ES3_N6hipcub16HIPCUB_304000_NS22TransformInputIteratorIb7NonZeroIiEPilEEPllNS8_6detail34convert_binary_result_type_wrapperINS8_3SumESD_lEEEE10hipError_tPvRmT1_T2_T3_mT4_P12ihipStream_tbEUlT_E1_NS1_11comp_targetILNS1_3genE4ELNS1_11target_archE910ELNS1_3gpuE8ELNS1_3repE0EEENS1_30default_config_static_selectorELNS0_4arch9wavefront6targetE1EEEvSM_,"axG",@progbits,_ZN7rocprim17ROCPRIM_400000_NS6detail17trampoline_kernelINS0_14default_configENS1_22reduce_config_selectorIbEEZNS1_11reduce_implILb1ES3_N6hipcub16HIPCUB_304000_NS22TransformInputIteratorIb7NonZeroIiEPilEEPllNS8_6detail34convert_binary_result_type_wrapperINS8_3SumESD_lEEEE10hipError_tPvRmT1_T2_T3_mT4_P12ihipStream_tbEUlT_E1_NS1_11comp_targetILNS1_3genE4ELNS1_11target_archE910ELNS1_3gpuE8ELNS1_3repE0EEENS1_30default_config_static_selectorELNS0_4arch9wavefront6targetE1EEEvSM_,comdat
.Lfunc_end178:
	.size	_ZN7rocprim17ROCPRIM_400000_NS6detail17trampoline_kernelINS0_14default_configENS1_22reduce_config_selectorIbEEZNS1_11reduce_implILb1ES3_N6hipcub16HIPCUB_304000_NS22TransformInputIteratorIb7NonZeroIiEPilEEPllNS8_6detail34convert_binary_result_type_wrapperINS8_3SumESD_lEEEE10hipError_tPvRmT1_T2_T3_mT4_P12ihipStream_tbEUlT_E1_NS1_11comp_targetILNS1_3genE4ELNS1_11target_archE910ELNS1_3gpuE8ELNS1_3repE0EEENS1_30default_config_static_selectorELNS0_4arch9wavefront6targetE1EEEvSM_, .Lfunc_end178-_ZN7rocprim17ROCPRIM_400000_NS6detail17trampoline_kernelINS0_14default_configENS1_22reduce_config_selectorIbEEZNS1_11reduce_implILb1ES3_N6hipcub16HIPCUB_304000_NS22TransformInputIteratorIb7NonZeroIiEPilEEPllNS8_6detail34convert_binary_result_type_wrapperINS8_3SumESD_lEEEE10hipError_tPvRmT1_T2_T3_mT4_P12ihipStream_tbEUlT_E1_NS1_11comp_targetILNS1_3genE4ELNS1_11target_archE910ELNS1_3gpuE8ELNS1_3repE0EEENS1_30default_config_static_selectorELNS0_4arch9wavefront6targetE1EEEvSM_
                                        ; -- End function
	.set _ZN7rocprim17ROCPRIM_400000_NS6detail17trampoline_kernelINS0_14default_configENS1_22reduce_config_selectorIbEEZNS1_11reduce_implILb1ES3_N6hipcub16HIPCUB_304000_NS22TransformInputIteratorIb7NonZeroIiEPilEEPllNS8_6detail34convert_binary_result_type_wrapperINS8_3SumESD_lEEEE10hipError_tPvRmT1_T2_T3_mT4_P12ihipStream_tbEUlT_E1_NS1_11comp_targetILNS1_3genE4ELNS1_11target_archE910ELNS1_3gpuE8ELNS1_3repE0EEENS1_30default_config_static_selectorELNS0_4arch9wavefront6targetE1EEEvSM_.num_vgpr, 0
	.set _ZN7rocprim17ROCPRIM_400000_NS6detail17trampoline_kernelINS0_14default_configENS1_22reduce_config_selectorIbEEZNS1_11reduce_implILb1ES3_N6hipcub16HIPCUB_304000_NS22TransformInputIteratorIb7NonZeroIiEPilEEPllNS8_6detail34convert_binary_result_type_wrapperINS8_3SumESD_lEEEE10hipError_tPvRmT1_T2_T3_mT4_P12ihipStream_tbEUlT_E1_NS1_11comp_targetILNS1_3genE4ELNS1_11target_archE910ELNS1_3gpuE8ELNS1_3repE0EEENS1_30default_config_static_selectorELNS0_4arch9wavefront6targetE1EEEvSM_.num_agpr, 0
	.set _ZN7rocprim17ROCPRIM_400000_NS6detail17trampoline_kernelINS0_14default_configENS1_22reduce_config_selectorIbEEZNS1_11reduce_implILb1ES3_N6hipcub16HIPCUB_304000_NS22TransformInputIteratorIb7NonZeroIiEPilEEPllNS8_6detail34convert_binary_result_type_wrapperINS8_3SumESD_lEEEE10hipError_tPvRmT1_T2_T3_mT4_P12ihipStream_tbEUlT_E1_NS1_11comp_targetILNS1_3genE4ELNS1_11target_archE910ELNS1_3gpuE8ELNS1_3repE0EEENS1_30default_config_static_selectorELNS0_4arch9wavefront6targetE1EEEvSM_.numbered_sgpr, 0
	.set _ZN7rocprim17ROCPRIM_400000_NS6detail17trampoline_kernelINS0_14default_configENS1_22reduce_config_selectorIbEEZNS1_11reduce_implILb1ES3_N6hipcub16HIPCUB_304000_NS22TransformInputIteratorIb7NonZeroIiEPilEEPllNS8_6detail34convert_binary_result_type_wrapperINS8_3SumESD_lEEEE10hipError_tPvRmT1_T2_T3_mT4_P12ihipStream_tbEUlT_E1_NS1_11comp_targetILNS1_3genE4ELNS1_11target_archE910ELNS1_3gpuE8ELNS1_3repE0EEENS1_30default_config_static_selectorELNS0_4arch9wavefront6targetE1EEEvSM_.num_named_barrier, 0
	.set _ZN7rocprim17ROCPRIM_400000_NS6detail17trampoline_kernelINS0_14default_configENS1_22reduce_config_selectorIbEEZNS1_11reduce_implILb1ES3_N6hipcub16HIPCUB_304000_NS22TransformInputIteratorIb7NonZeroIiEPilEEPllNS8_6detail34convert_binary_result_type_wrapperINS8_3SumESD_lEEEE10hipError_tPvRmT1_T2_T3_mT4_P12ihipStream_tbEUlT_E1_NS1_11comp_targetILNS1_3genE4ELNS1_11target_archE910ELNS1_3gpuE8ELNS1_3repE0EEENS1_30default_config_static_selectorELNS0_4arch9wavefront6targetE1EEEvSM_.private_seg_size, 0
	.set _ZN7rocprim17ROCPRIM_400000_NS6detail17trampoline_kernelINS0_14default_configENS1_22reduce_config_selectorIbEEZNS1_11reduce_implILb1ES3_N6hipcub16HIPCUB_304000_NS22TransformInputIteratorIb7NonZeroIiEPilEEPllNS8_6detail34convert_binary_result_type_wrapperINS8_3SumESD_lEEEE10hipError_tPvRmT1_T2_T3_mT4_P12ihipStream_tbEUlT_E1_NS1_11comp_targetILNS1_3genE4ELNS1_11target_archE910ELNS1_3gpuE8ELNS1_3repE0EEENS1_30default_config_static_selectorELNS0_4arch9wavefront6targetE1EEEvSM_.uses_vcc, 0
	.set _ZN7rocprim17ROCPRIM_400000_NS6detail17trampoline_kernelINS0_14default_configENS1_22reduce_config_selectorIbEEZNS1_11reduce_implILb1ES3_N6hipcub16HIPCUB_304000_NS22TransformInputIteratorIb7NonZeroIiEPilEEPllNS8_6detail34convert_binary_result_type_wrapperINS8_3SumESD_lEEEE10hipError_tPvRmT1_T2_T3_mT4_P12ihipStream_tbEUlT_E1_NS1_11comp_targetILNS1_3genE4ELNS1_11target_archE910ELNS1_3gpuE8ELNS1_3repE0EEENS1_30default_config_static_selectorELNS0_4arch9wavefront6targetE1EEEvSM_.uses_flat_scratch, 0
	.set _ZN7rocprim17ROCPRIM_400000_NS6detail17trampoline_kernelINS0_14default_configENS1_22reduce_config_selectorIbEEZNS1_11reduce_implILb1ES3_N6hipcub16HIPCUB_304000_NS22TransformInputIteratorIb7NonZeroIiEPilEEPllNS8_6detail34convert_binary_result_type_wrapperINS8_3SumESD_lEEEE10hipError_tPvRmT1_T2_T3_mT4_P12ihipStream_tbEUlT_E1_NS1_11comp_targetILNS1_3genE4ELNS1_11target_archE910ELNS1_3gpuE8ELNS1_3repE0EEENS1_30default_config_static_selectorELNS0_4arch9wavefront6targetE1EEEvSM_.has_dyn_sized_stack, 0
	.set _ZN7rocprim17ROCPRIM_400000_NS6detail17trampoline_kernelINS0_14default_configENS1_22reduce_config_selectorIbEEZNS1_11reduce_implILb1ES3_N6hipcub16HIPCUB_304000_NS22TransformInputIteratorIb7NonZeroIiEPilEEPllNS8_6detail34convert_binary_result_type_wrapperINS8_3SumESD_lEEEE10hipError_tPvRmT1_T2_T3_mT4_P12ihipStream_tbEUlT_E1_NS1_11comp_targetILNS1_3genE4ELNS1_11target_archE910ELNS1_3gpuE8ELNS1_3repE0EEENS1_30default_config_static_selectorELNS0_4arch9wavefront6targetE1EEEvSM_.has_recursion, 0
	.set _ZN7rocprim17ROCPRIM_400000_NS6detail17trampoline_kernelINS0_14default_configENS1_22reduce_config_selectorIbEEZNS1_11reduce_implILb1ES3_N6hipcub16HIPCUB_304000_NS22TransformInputIteratorIb7NonZeroIiEPilEEPllNS8_6detail34convert_binary_result_type_wrapperINS8_3SumESD_lEEEE10hipError_tPvRmT1_T2_T3_mT4_P12ihipStream_tbEUlT_E1_NS1_11comp_targetILNS1_3genE4ELNS1_11target_archE910ELNS1_3gpuE8ELNS1_3repE0EEENS1_30default_config_static_selectorELNS0_4arch9wavefront6targetE1EEEvSM_.has_indirect_call, 0
	.section	.AMDGPU.csdata,"",@progbits
; Kernel info:
; codeLenInByte = 0
; TotalNumSgprs: 6
; NumVgprs: 0
; NumAgprs: 0
; TotalNumVgprs: 0
; ScratchSize: 0
; MemoryBound: 0
; FloatMode: 240
; IeeeMode: 1
; LDSByteSize: 0 bytes/workgroup (compile time only)
; SGPRBlocks: 0
; VGPRBlocks: 0
; NumSGPRsForWavesPerEU: 6
; NumVGPRsForWavesPerEU: 1
; AccumOffset: 4
; Occupancy: 8
; WaveLimiterHint : 0
; COMPUTE_PGM_RSRC2:SCRATCH_EN: 0
; COMPUTE_PGM_RSRC2:USER_SGPR: 2
; COMPUTE_PGM_RSRC2:TRAP_HANDLER: 0
; COMPUTE_PGM_RSRC2:TGID_X_EN: 1
; COMPUTE_PGM_RSRC2:TGID_Y_EN: 0
; COMPUTE_PGM_RSRC2:TGID_Z_EN: 0
; COMPUTE_PGM_RSRC2:TIDIG_COMP_CNT: 0
; COMPUTE_PGM_RSRC3_GFX90A:ACCUM_OFFSET: 0
; COMPUTE_PGM_RSRC3_GFX90A:TG_SPLIT: 0
	.section	.text._ZN7rocprim17ROCPRIM_400000_NS6detail17trampoline_kernelINS0_14default_configENS1_22reduce_config_selectorIbEEZNS1_11reduce_implILb1ES3_N6hipcub16HIPCUB_304000_NS22TransformInputIteratorIb7NonZeroIiEPilEEPllNS8_6detail34convert_binary_result_type_wrapperINS8_3SumESD_lEEEE10hipError_tPvRmT1_T2_T3_mT4_P12ihipStream_tbEUlT_E1_NS1_11comp_targetILNS1_3genE3ELNS1_11target_archE908ELNS1_3gpuE7ELNS1_3repE0EEENS1_30default_config_static_selectorELNS0_4arch9wavefront6targetE1EEEvSM_,"axG",@progbits,_ZN7rocprim17ROCPRIM_400000_NS6detail17trampoline_kernelINS0_14default_configENS1_22reduce_config_selectorIbEEZNS1_11reduce_implILb1ES3_N6hipcub16HIPCUB_304000_NS22TransformInputIteratorIb7NonZeroIiEPilEEPllNS8_6detail34convert_binary_result_type_wrapperINS8_3SumESD_lEEEE10hipError_tPvRmT1_T2_T3_mT4_P12ihipStream_tbEUlT_E1_NS1_11comp_targetILNS1_3genE3ELNS1_11target_archE908ELNS1_3gpuE7ELNS1_3repE0EEENS1_30default_config_static_selectorELNS0_4arch9wavefront6targetE1EEEvSM_,comdat
	.protected	_ZN7rocprim17ROCPRIM_400000_NS6detail17trampoline_kernelINS0_14default_configENS1_22reduce_config_selectorIbEEZNS1_11reduce_implILb1ES3_N6hipcub16HIPCUB_304000_NS22TransformInputIteratorIb7NonZeroIiEPilEEPllNS8_6detail34convert_binary_result_type_wrapperINS8_3SumESD_lEEEE10hipError_tPvRmT1_T2_T3_mT4_P12ihipStream_tbEUlT_E1_NS1_11comp_targetILNS1_3genE3ELNS1_11target_archE908ELNS1_3gpuE7ELNS1_3repE0EEENS1_30default_config_static_selectorELNS0_4arch9wavefront6targetE1EEEvSM_ ; -- Begin function _ZN7rocprim17ROCPRIM_400000_NS6detail17trampoline_kernelINS0_14default_configENS1_22reduce_config_selectorIbEEZNS1_11reduce_implILb1ES3_N6hipcub16HIPCUB_304000_NS22TransformInputIteratorIb7NonZeroIiEPilEEPllNS8_6detail34convert_binary_result_type_wrapperINS8_3SumESD_lEEEE10hipError_tPvRmT1_T2_T3_mT4_P12ihipStream_tbEUlT_E1_NS1_11comp_targetILNS1_3genE3ELNS1_11target_archE908ELNS1_3gpuE7ELNS1_3repE0EEENS1_30default_config_static_selectorELNS0_4arch9wavefront6targetE1EEEvSM_
	.globl	_ZN7rocprim17ROCPRIM_400000_NS6detail17trampoline_kernelINS0_14default_configENS1_22reduce_config_selectorIbEEZNS1_11reduce_implILb1ES3_N6hipcub16HIPCUB_304000_NS22TransformInputIteratorIb7NonZeroIiEPilEEPllNS8_6detail34convert_binary_result_type_wrapperINS8_3SumESD_lEEEE10hipError_tPvRmT1_T2_T3_mT4_P12ihipStream_tbEUlT_E1_NS1_11comp_targetILNS1_3genE3ELNS1_11target_archE908ELNS1_3gpuE7ELNS1_3repE0EEENS1_30default_config_static_selectorELNS0_4arch9wavefront6targetE1EEEvSM_
	.p2align	8
	.type	_ZN7rocprim17ROCPRIM_400000_NS6detail17trampoline_kernelINS0_14default_configENS1_22reduce_config_selectorIbEEZNS1_11reduce_implILb1ES3_N6hipcub16HIPCUB_304000_NS22TransformInputIteratorIb7NonZeroIiEPilEEPllNS8_6detail34convert_binary_result_type_wrapperINS8_3SumESD_lEEEE10hipError_tPvRmT1_T2_T3_mT4_P12ihipStream_tbEUlT_E1_NS1_11comp_targetILNS1_3genE3ELNS1_11target_archE908ELNS1_3gpuE7ELNS1_3repE0EEENS1_30default_config_static_selectorELNS0_4arch9wavefront6targetE1EEEvSM_,@function
_ZN7rocprim17ROCPRIM_400000_NS6detail17trampoline_kernelINS0_14default_configENS1_22reduce_config_selectorIbEEZNS1_11reduce_implILb1ES3_N6hipcub16HIPCUB_304000_NS22TransformInputIteratorIb7NonZeroIiEPilEEPllNS8_6detail34convert_binary_result_type_wrapperINS8_3SumESD_lEEEE10hipError_tPvRmT1_T2_T3_mT4_P12ihipStream_tbEUlT_E1_NS1_11comp_targetILNS1_3genE3ELNS1_11target_archE908ELNS1_3gpuE7ELNS1_3repE0EEENS1_30default_config_static_selectorELNS0_4arch9wavefront6targetE1EEEvSM_: ; @_ZN7rocprim17ROCPRIM_400000_NS6detail17trampoline_kernelINS0_14default_configENS1_22reduce_config_selectorIbEEZNS1_11reduce_implILb1ES3_N6hipcub16HIPCUB_304000_NS22TransformInputIteratorIb7NonZeroIiEPilEEPllNS8_6detail34convert_binary_result_type_wrapperINS8_3SumESD_lEEEE10hipError_tPvRmT1_T2_T3_mT4_P12ihipStream_tbEUlT_E1_NS1_11comp_targetILNS1_3genE3ELNS1_11target_archE908ELNS1_3gpuE7ELNS1_3repE0EEENS1_30default_config_static_selectorELNS0_4arch9wavefront6targetE1EEEvSM_
; %bb.0:
	.section	.rodata,"a",@progbits
	.p2align	6, 0x0
	.amdhsa_kernel _ZN7rocprim17ROCPRIM_400000_NS6detail17trampoline_kernelINS0_14default_configENS1_22reduce_config_selectorIbEEZNS1_11reduce_implILb1ES3_N6hipcub16HIPCUB_304000_NS22TransformInputIteratorIb7NonZeroIiEPilEEPllNS8_6detail34convert_binary_result_type_wrapperINS8_3SumESD_lEEEE10hipError_tPvRmT1_T2_T3_mT4_P12ihipStream_tbEUlT_E1_NS1_11comp_targetILNS1_3genE3ELNS1_11target_archE908ELNS1_3gpuE7ELNS1_3repE0EEENS1_30default_config_static_selectorELNS0_4arch9wavefront6targetE1EEEvSM_
		.amdhsa_group_segment_fixed_size 0
		.amdhsa_private_segment_fixed_size 0
		.amdhsa_kernarg_size 56
		.amdhsa_user_sgpr_count 2
		.amdhsa_user_sgpr_dispatch_ptr 0
		.amdhsa_user_sgpr_queue_ptr 0
		.amdhsa_user_sgpr_kernarg_segment_ptr 1
		.amdhsa_user_sgpr_dispatch_id 0
		.amdhsa_user_sgpr_kernarg_preload_length 0
		.amdhsa_user_sgpr_kernarg_preload_offset 0
		.amdhsa_user_sgpr_private_segment_size 0
		.amdhsa_uses_dynamic_stack 0
		.amdhsa_enable_private_segment 0
		.amdhsa_system_sgpr_workgroup_id_x 1
		.amdhsa_system_sgpr_workgroup_id_y 0
		.amdhsa_system_sgpr_workgroup_id_z 0
		.amdhsa_system_sgpr_workgroup_info 0
		.amdhsa_system_vgpr_workitem_id 0
		.amdhsa_next_free_vgpr 1
		.amdhsa_next_free_sgpr 0
		.amdhsa_accum_offset 4
		.amdhsa_reserve_vcc 0
		.amdhsa_float_round_mode_32 0
		.amdhsa_float_round_mode_16_64 0
		.amdhsa_float_denorm_mode_32 3
		.amdhsa_float_denorm_mode_16_64 3
		.amdhsa_dx10_clamp 1
		.amdhsa_ieee_mode 1
		.amdhsa_fp16_overflow 0
		.amdhsa_tg_split 0
		.amdhsa_exception_fp_ieee_invalid_op 0
		.amdhsa_exception_fp_denorm_src 0
		.amdhsa_exception_fp_ieee_div_zero 0
		.amdhsa_exception_fp_ieee_overflow 0
		.amdhsa_exception_fp_ieee_underflow 0
		.amdhsa_exception_fp_ieee_inexact 0
		.amdhsa_exception_int_div_zero 0
	.end_amdhsa_kernel
	.section	.text._ZN7rocprim17ROCPRIM_400000_NS6detail17trampoline_kernelINS0_14default_configENS1_22reduce_config_selectorIbEEZNS1_11reduce_implILb1ES3_N6hipcub16HIPCUB_304000_NS22TransformInputIteratorIb7NonZeroIiEPilEEPllNS8_6detail34convert_binary_result_type_wrapperINS8_3SumESD_lEEEE10hipError_tPvRmT1_T2_T3_mT4_P12ihipStream_tbEUlT_E1_NS1_11comp_targetILNS1_3genE3ELNS1_11target_archE908ELNS1_3gpuE7ELNS1_3repE0EEENS1_30default_config_static_selectorELNS0_4arch9wavefront6targetE1EEEvSM_,"axG",@progbits,_ZN7rocprim17ROCPRIM_400000_NS6detail17trampoline_kernelINS0_14default_configENS1_22reduce_config_selectorIbEEZNS1_11reduce_implILb1ES3_N6hipcub16HIPCUB_304000_NS22TransformInputIteratorIb7NonZeroIiEPilEEPllNS8_6detail34convert_binary_result_type_wrapperINS8_3SumESD_lEEEE10hipError_tPvRmT1_T2_T3_mT4_P12ihipStream_tbEUlT_E1_NS1_11comp_targetILNS1_3genE3ELNS1_11target_archE908ELNS1_3gpuE7ELNS1_3repE0EEENS1_30default_config_static_selectorELNS0_4arch9wavefront6targetE1EEEvSM_,comdat
.Lfunc_end179:
	.size	_ZN7rocprim17ROCPRIM_400000_NS6detail17trampoline_kernelINS0_14default_configENS1_22reduce_config_selectorIbEEZNS1_11reduce_implILb1ES3_N6hipcub16HIPCUB_304000_NS22TransformInputIteratorIb7NonZeroIiEPilEEPllNS8_6detail34convert_binary_result_type_wrapperINS8_3SumESD_lEEEE10hipError_tPvRmT1_T2_T3_mT4_P12ihipStream_tbEUlT_E1_NS1_11comp_targetILNS1_3genE3ELNS1_11target_archE908ELNS1_3gpuE7ELNS1_3repE0EEENS1_30default_config_static_selectorELNS0_4arch9wavefront6targetE1EEEvSM_, .Lfunc_end179-_ZN7rocprim17ROCPRIM_400000_NS6detail17trampoline_kernelINS0_14default_configENS1_22reduce_config_selectorIbEEZNS1_11reduce_implILb1ES3_N6hipcub16HIPCUB_304000_NS22TransformInputIteratorIb7NonZeroIiEPilEEPllNS8_6detail34convert_binary_result_type_wrapperINS8_3SumESD_lEEEE10hipError_tPvRmT1_T2_T3_mT4_P12ihipStream_tbEUlT_E1_NS1_11comp_targetILNS1_3genE3ELNS1_11target_archE908ELNS1_3gpuE7ELNS1_3repE0EEENS1_30default_config_static_selectorELNS0_4arch9wavefront6targetE1EEEvSM_
                                        ; -- End function
	.set _ZN7rocprim17ROCPRIM_400000_NS6detail17trampoline_kernelINS0_14default_configENS1_22reduce_config_selectorIbEEZNS1_11reduce_implILb1ES3_N6hipcub16HIPCUB_304000_NS22TransformInputIteratorIb7NonZeroIiEPilEEPllNS8_6detail34convert_binary_result_type_wrapperINS8_3SumESD_lEEEE10hipError_tPvRmT1_T2_T3_mT4_P12ihipStream_tbEUlT_E1_NS1_11comp_targetILNS1_3genE3ELNS1_11target_archE908ELNS1_3gpuE7ELNS1_3repE0EEENS1_30default_config_static_selectorELNS0_4arch9wavefront6targetE1EEEvSM_.num_vgpr, 0
	.set _ZN7rocprim17ROCPRIM_400000_NS6detail17trampoline_kernelINS0_14default_configENS1_22reduce_config_selectorIbEEZNS1_11reduce_implILb1ES3_N6hipcub16HIPCUB_304000_NS22TransformInputIteratorIb7NonZeroIiEPilEEPllNS8_6detail34convert_binary_result_type_wrapperINS8_3SumESD_lEEEE10hipError_tPvRmT1_T2_T3_mT4_P12ihipStream_tbEUlT_E1_NS1_11comp_targetILNS1_3genE3ELNS1_11target_archE908ELNS1_3gpuE7ELNS1_3repE0EEENS1_30default_config_static_selectorELNS0_4arch9wavefront6targetE1EEEvSM_.num_agpr, 0
	.set _ZN7rocprim17ROCPRIM_400000_NS6detail17trampoline_kernelINS0_14default_configENS1_22reduce_config_selectorIbEEZNS1_11reduce_implILb1ES3_N6hipcub16HIPCUB_304000_NS22TransformInputIteratorIb7NonZeroIiEPilEEPllNS8_6detail34convert_binary_result_type_wrapperINS8_3SumESD_lEEEE10hipError_tPvRmT1_T2_T3_mT4_P12ihipStream_tbEUlT_E1_NS1_11comp_targetILNS1_3genE3ELNS1_11target_archE908ELNS1_3gpuE7ELNS1_3repE0EEENS1_30default_config_static_selectorELNS0_4arch9wavefront6targetE1EEEvSM_.numbered_sgpr, 0
	.set _ZN7rocprim17ROCPRIM_400000_NS6detail17trampoline_kernelINS0_14default_configENS1_22reduce_config_selectorIbEEZNS1_11reduce_implILb1ES3_N6hipcub16HIPCUB_304000_NS22TransformInputIteratorIb7NonZeroIiEPilEEPllNS8_6detail34convert_binary_result_type_wrapperINS8_3SumESD_lEEEE10hipError_tPvRmT1_T2_T3_mT4_P12ihipStream_tbEUlT_E1_NS1_11comp_targetILNS1_3genE3ELNS1_11target_archE908ELNS1_3gpuE7ELNS1_3repE0EEENS1_30default_config_static_selectorELNS0_4arch9wavefront6targetE1EEEvSM_.num_named_barrier, 0
	.set _ZN7rocprim17ROCPRIM_400000_NS6detail17trampoline_kernelINS0_14default_configENS1_22reduce_config_selectorIbEEZNS1_11reduce_implILb1ES3_N6hipcub16HIPCUB_304000_NS22TransformInputIteratorIb7NonZeroIiEPilEEPllNS8_6detail34convert_binary_result_type_wrapperINS8_3SumESD_lEEEE10hipError_tPvRmT1_T2_T3_mT4_P12ihipStream_tbEUlT_E1_NS1_11comp_targetILNS1_3genE3ELNS1_11target_archE908ELNS1_3gpuE7ELNS1_3repE0EEENS1_30default_config_static_selectorELNS0_4arch9wavefront6targetE1EEEvSM_.private_seg_size, 0
	.set _ZN7rocprim17ROCPRIM_400000_NS6detail17trampoline_kernelINS0_14default_configENS1_22reduce_config_selectorIbEEZNS1_11reduce_implILb1ES3_N6hipcub16HIPCUB_304000_NS22TransformInputIteratorIb7NonZeroIiEPilEEPllNS8_6detail34convert_binary_result_type_wrapperINS8_3SumESD_lEEEE10hipError_tPvRmT1_T2_T3_mT4_P12ihipStream_tbEUlT_E1_NS1_11comp_targetILNS1_3genE3ELNS1_11target_archE908ELNS1_3gpuE7ELNS1_3repE0EEENS1_30default_config_static_selectorELNS0_4arch9wavefront6targetE1EEEvSM_.uses_vcc, 0
	.set _ZN7rocprim17ROCPRIM_400000_NS6detail17trampoline_kernelINS0_14default_configENS1_22reduce_config_selectorIbEEZNS1_11reduce_implILb1ES3_N6hipcub16HIPCUB_304000_NS22TransformInputIteratorIb7NonZeroIiEPilEEPllNS8_6detail34convert_binary_result_type_wrapperINS8_3SumESD_lEEEE10hipError_tPvRmT1_T2_T3_mT4_P12ihipStream_tbEUlT_E1_NS1_11comp_targetILNS1_3genE3ELNS1_11target_archE908ELNS1_3gpuE7ELNS1_3repE0EEENS1_30default_config_static_selectorELNS0_4arch9wavefront6targetE1EEEvSM_.uses_flat_scratch, 0
	.set _ZN7rocprim17ROCPRIM_400000_NS6detail17trampoline_kernelINS0_14default_configENS1_22reduce_config_selectorIbEEZNS1_11reduce_implILb1ES3_N6hipcub16HIPCUB_304000_NS22TransformInputIteratorIb7NonZeroIiEPilEEPllNS8_6detail34convert_binary_result_type_wrapperINS8_3SumESD_lEEEE10hipError_tPvRmT1_T2_T3_mT4_P12ihipStream_tbEUlT_E1_NS1_11comp_targetILNS1_3genE3ELNS1_11target_archE908ELNS1_3gpuE7ELNS1_3repE0EEENS1_30default_config_static_selectorELNS0_4arch9wavefront6targetE1EEEvSM_.has_dyn_sized_stack, 0
	.set _ZN7rocprim17ROCPRIM_400000_NS6detail17trampoline_kernelINS0_14default_configENS1_22reduce_config_selectorIbEEZNS1_11reduce_implILb1ES3_N6hipcub16HIPCUB_304000_NS22TransformInputIteratorIb7NonZeroIiEPilEEPllNS8_6detail34convert_binary_result_type_wrapperINS8_3SumESD_lEEEE10hipError_tPvRmT1_T2_T3_mT4_P12ihipStream_tbEUlT_E1_NS1_11comp_targetILNS1_3genE3ELNS1_11target_archE908ELNS1_3gpuE7ELNS1_3repE0EEENS1_30default_config_static_selectorELNS0_4arch9wavefront6targetE1EEEvSM_.has_recursion, 0
	.set _ZN7rocprim17ROCPRIM_400000_NS6detail17trampoline_kernelINS0_14default_configENS1_22reduce_config_selectorIbEEZNS1_11reduce_implILb1ES3_N6hipcub16HIPCUB_304000_NS22TransformInputIteratorIb7NonZeroIiEPilEEPllNS8_6detail34convert_binary_result_type_wrapperINS8_3SumESD_lEEEE10hipError_tPvRmT1_T2_T3_mT4_P12ihipStream_tbEUlT_E1_NS1_11comp_targetILNS1_3genE3ELNS1_11target_archE908ELNS1_3gpuE7ELNS1_3repE0EEENS1_30default_config_static_selectorELNS0_4arch9wavefront6targetE1EEEvSM_.has_indirect_call, 0
	.section	.AMDGPU.csdata,"",@progbits
; Kernel info:
; codeLenInByte = 0
; TotalNumSgprs: 6
; NumVgprs: 0
; NumAgprs: 0
; TotalNumVgprs: 0
; ScratchSize: 0
; MemoryBound: 0
; FloatMode: 240
; IeeeMode: 1
; LDSByteSize: 0 bytes/workgroup (compile time only)
; SGPRBlocks: 0
; VGPRBlocks: 0
; NumSGPRsForWavesPerEU: 6
; NumVGPRsForWavesPerEU: 1
; AccumOffset: 4
; Occupancy: 8
; WaveLimiterHint : 0
; COMPUTE_PGM_RSRC2:SCRATCH_EN: 0
; COMPUTE_PGM_RSRC2:USER_SGPR: 2
; COMPUTE_PGM_RSRC2:TRAP_HANDLER: 0
; COMPUTE_PGM_RSRC2:TGID_X_EN: 1
; COMPUTE_PGM_RSRC2:TGID_Y_EN: 0
; COMPUTE_PGM_RSRC2:TGID_Z_EN: 0
; COMPUTE_PGM_RSRC2:TIDIG_COMP_CNT: 0
; COMPUTE_PGM_RSRC3_GFX90A:ACCUM_OFFSET: 0
; COMPUTE_PGM_RSRC3_GFX90A:TG_SPLIT: 0
	.section	.text._ZN7rocprim17ROCPRIM_400000_NS6detail17trampoline_kernelINS0_14default_configENS1_22reduce_config_selectorIbEEZNS1_11reduce_implILb1ES3_N6hipcub16HIPCUB_304000_NS22TransformInputIteratorIb7NonZeroIiEPilEEPllNS8_6detail34convert_binary_result_type_wrapperINS8_3SumESD_lEEEE10hipError_tPvRmT1_T2_T3_mT4_P12ihipStream_tbEUlT_E1_NS1_11comp_targetILNS1_3genE2ELNS1_11target_archE906ELNS1_3gpuE6ELNS1_3repE0EEENS1_30default_config_static_selectorELNS0_4arch9wavefront6targetE1EEEvSM_,"axG",@progbits,_ZN7rocprim17ROCPRIM_400000_NS6detail17trampoline_kernelINS0_14default_configENS1_22reduce_config_selectorIbEEZNS1_11reduce_implILb1ES3_N6hipcub16HIPCUB_304000_NS22TransformInputIteratorIb7NonZeroIiEPilEEPllNS8_6detail34convert_binary_result_type_wrapperINS8_3SumESD_lEEEE10hipError_tPvRmT1_T2_T3_mT4_P12ihipStream_tbEUlT_E1_NS1_11comp_targetILNS1_3genE2ELNS1_11target_archE906ELNS1_3gpuE6ELNS1_3repE0EEENS1_30default_config_static_selectorELNS0_4arch9wavefront6targetE1EEEvSM_,comdat
	.protected	_ZN7rocprim17ROCPRIM_400000_NS6detail17trampoline_kernelINS0_14default_configENS1_22reduce_config_selectorIbEEZNS1_11reduce_implILb1ES3_N6hipcub16HIPCUB_304000_NS22TransformInputIteratorIb7NonZeroIiEPilEEPllNS8_6detail34convert_binary_result_type_wrapperINS8_3SumESD_lEEEE10hipError_tPvRmT1_T2_T3_mT4_P12ihipStream_tbEUlT_E1_NS1_11comp_targetILNS1_3genE2ELNS1_11target_archE906ELNS1_3gpuE6ELNS1_3repE0EEENS1_30default_config_static_selectorELNS0_4arch9wavefront6targetE1EEEvSM_ ; -- Begin function _ZN7rocprim17ROCPRIM_400000_NS6detail17trampoline_kernelINS0_14default_configENS1_22reduce_config_selectorIbEEZNS1_11reduce_implILb1ES3_N6hipcub16HIPCUB_304000_NS22TransformInputIteratorIb7NonZeroIiEPilEEPllNS8_6detail34convert_binary_result_type_wrapperINS8_3SumESD_lEEEE10hipError_tPvRmT1_T2_T3_mT4_P12ihipStream_tbEUlT_E1_NS1_11comp_targetILNS1_3genE2ELNS1_11target_archE906ELNS1_3gpuE6ELNS1_3repE0EEENS1_30default_config_static_selectorELNS0_4arch9wavefront6targetE1EEEvSM_
	.globl	_ZN7rocprim17ROCPRIM_400000_NS6detail17trampoline_kernelINS0_14default_configENS1_22reduce_config_selectorIbEEZNS1_11reduce_implILb1ES3_N6hipcub16HIPCUB_304000_NS22TransformInputIteratorIb7NonZeroIiEPilEEPllNS8_6detail34convert_binary_result_type_wrapperINS8_3SumESD_lEEEE10hipError_tPvRmT1_T2_T3_mT4_P12ihipStream_tbEUlT_E1_NS1_11comp_targetILNS1_3genE2ELNS1_11target_archE906ELNS1_3gpuE6ELNS1_3repE0EEENS1_30default_config_static_selectorELNS0_4arch9wavefront6targetE1EEEvSM_
	.p2align	8
	.type	_ZN7rocprim17ROCPRIM_400000_NS6detail17trampoline_kernelINS0_14default_configENS1_22reduce_config_selectorIbEEZNS1_11reduce_implILb1ES3_N6hipcub16HIPCUB_304000_NS22TransformInputIteratorIb7NonZeroIiEPilEEPllNS8_6detail34convert_binary_result_type_wrapperINS8_3SumESD_lEEEE10hipError_tPvRmT1_T2_T3_mT4_P12ihipStream_tbEUlT_E1_NS1_11comp_targetILNS1_3genE2ELNS1_11target_archE906ELNS1_3gpuE6ELNS1_3repE0EEENS1_30default_config_static_selectorELNS0_4arch9wavefront6targetE1EEEvSM_,@function
_ZN7rocprim17ROCPRIM_400000_NS6detail17trampoline_kernelINS0_14default_configENS1_22reduce_config_selectorIbEEZNS1_11reduce_implILb1ES3_N6hipcub16HIPCUB_304000_NS22TransformInputIteratorIb7NonZeroIiEPilEEPllNS8_6detail34convert_binary_result_type_wrapperINS8_3SumESD_lEEEE10hipError_tPvRmT1_T2_T3_mT4_P12ihipStream_tbEUlT_E1_NS1_11comp_targetILNS1_3genE2ELNS1_11target_archE906ELNS1_3gpuE6ELNS1_3repE0EEENS1_30default_config_static_selectorELNS0_4arch9wavefront6targetE1EEEvSM_: ; @_ZN7rocprim17ROCPRIM_400000_NS6detail17trampoline_kernelINS0_14default_configENS1_22reduce_config_selectorIbEEZNS1_11reduce_implILb1ES3_N6hipcub16HIPCUB_304000_NS22TransformInputIteratorIb7NonZeroIiEPilEEPllNS8_6detail34convert_binary_result_type_wrapperINS8_3SumESD_lEEEE10hipError_tPvRmT1_T2_T3_mT4_P12ihipStream_tbEUlT_E1_NS1_11comp_targetILNS1_3genE2ELNS1_11target_archE906ELNS1_3gpuE6ELNS1_3repE0EEENS1_30default_config_static_selectorELNS0_4arch9wavefront6targetE1EEEvSM_
; %bb.0:
	.section	.rodata,"a",@progbits
	.p2align	6, 0x0
	.amdhsa_kernel _ZN7rocprim17ROCPRIM_400000_NS6detail17trampoline_kernelINS0_14default_configENS1_22reduce_config_selectorIbEEZNS1_11reduce_implILb1ES3_N6hipcub16HIPCUB_304000_NS22TransformInputIteratorIb7NonZeroIiEPilEEPllNS8_6detail34convert_binary_result_type_wrapperINS8_3SumESD_lEEEE10hipError_tPvRmT1_T2_T3_mT4_P12ihipStream_tbEUlT_E1_NS1_11comp_targetILNS1_3genE2ELNS1_11target_archE906ELNS1_3gpuE6ELNS1_3repE0EEENS1_30default_config_static_selectorELNS0_4arch9wavefront6targetE1EEEvSM_
		.amdhsa_group_segment_fixed_size 0
		.amdhsa_private_segment_fixed_size 0
		.amdhsa_kernarg_size 56
		.amdhsa_user_sgpr_count 2
		.amdhsa_user_sgpr_dispatch_ptr 0
		.amdhsa_user_sgpr_queue_ptr 0
		.amdhsa_user_sgpr_kernarg_segment_ptr 1
		.amdhsa_user_sgpr_dispatch_id 0
		.amdhsa_user_sgpr_kernarg_preload_length 0
		.amdhsa_user_sgpr_kernarg_preload_offset 0
		.amdhsa_user_sgpr_private_segment_size 0
		.amdhsa_uses_dynamic_stack 0
		.amdhsa_enable_private_segment 0
		.amdhsa_system_sgpr_workgroup_id_x 1
		.amdhsa_system_sgpr_workgroup_id_y 0
		.amdhsa_system_sgpr_workgroup_id_z 0
		.amdhsa_system_sgpr_workgroup_info 0
		.amdhsa_system_vgpr_workitem_id 0
		.amdhsa_next_free_vgpr 1
		.amdhsa_next_free_sgpr 0
		.amdhsa_accum_offset 4
		.amdhsa_reserve_vcc 0
		.amdhsa_float_round_mode_32 0
		.amdhsa_float_round_mode_16_64 0
		.amdhsa_float_denorm_mode_32 3
		.amdhsa_float_denorm_mode_16_64 3
		.amdhsa_dx10_clamp 1
		.amdhsa_ieee_mode 1
		.amdhsa_fp16_overflow 0
		.amdhsa_tg_split 0
		.amdhsa_exception_fp_ieee_invalid_op 0
		.amdhsa_exception_fp_denorm_src 0
		.amdhsa_exception_fp_ieee_div_zero 0
		.amdhsa_exception_fp_ieee_overflow 0
		.amdhsa_exception_fp_ieee_underflow 0
		.amdhsa_exception_fp_ieee_inexact 0
		.amdhsa_exception_int_div_zero 0
	.end_amdhsa_kernel
	.section	.text._ZN7rocprim17ROCPRIM_400000_NS6detail17trampoline_kernelINS0_14default_configENS1_22reduce_config_selectorIbEEZNS1_11reduce_implILb1ES3_N6hipcub16HIPCUB_304000_NS22TransformInputIteratorIb7NonZeroIiEPilEEPllNS8_6detail34convert_binary_result_type_wrapperINS8_3SumESD_lEEEE10hipError_tPvRmT1_T2_T3_mT4_P12ihipStream_tbEUlT_E1_NS1_11comp_targetILNS1_3genE2ELNS1_11target_archE906ELNS1_3gpuE6ELNS1_3repE0EEENS1_30default_config_static_selectorELNS0_4arch9wavefront6targetE1EEEvSM_,"axG",@progbits,_ZN7rocprim17ROCPRIM_400000_NS6detail17trampoline_kernelINS0_14default_configENS1_22reduce_config_selectorIbEEZNS1_11reduce_implILb1ES3_N6hipcub16HIPCUB_304000_NS22TransformInputIteratorIb7NonZeroIiEPilEEPllNS8_6detail34convert_binary_result_type_wrapperINS8_3SumESD_lEEEE10hipError_tPvRmT1_T2_T3_mT4_P12ihipStream_tbEUlT_E1_NS1_11comp_targetILNS1_3genE2ELNS1_11target_archE906ELNS1_3gpuE6ELNS1_3repE0EEENS1_30default_config_static_selectorELNS0_4arch9wavefront6targetE1EEEvSM_,comdat
.Lfunc_end180:
	.size	_ZN7rocprim17ROCPRIM_400000_NS6detail17trampoline_kernelINS0_14default_configENS1_22reduce_config_selectorIbEEZNS1_11reduce_implILb1ES3_N6hipcub16HIPCUB_304000_NS22TransformInputIteratorIb7NonZeroIiEPilEEPllNS8_6detail34convert_binary_result_type_wrapperINS8_3SumESD_lEEEE10hipError_tPvRmT1_T2_T3_mT4_P12ihipStream_tbEUlT_E1_NS1_11comp_targetILNS1_3genE2ELNS1_11target_archE906ELNS1_3gpuE6ELNS1_3repE0EEENS1_30default_config_static_selectorELNS0_4arch9wavefront6targetE1EEEvSM_, .Lfunc_end180-_ZN7rocprim17ROCPRIM_400000_NS6detail17trampoline_kernelINS0_14default_configENS1_22reduce_config_selectorIbEEZNS1_11reduce_implILb1ES3_N6hipcub16HIPCUB_304000_NS22TransformInputIteratorIb7NonZeroIiEPilEEPllNS8_6detail34convert_binary_result_type_wrapperINS8_3SumESD_lEEEE10hipError_tPvRmT1_T2_T3_mT4_P12ihipStream_tbEUlT_E1_NS1_11comp_targetILNS1_3genE2ELNS1_11target_archE906ELNS1_3gpuE6ELNS1_3repE0EEENS1_30default_config_static_selectorELNS0_4arch9wavefront6targetE1EEEvSM_
                                        ; -- End function
	.set _ZN7rocprim17ROCPRIM_400000_NS6detail17trampoline_kernelINS0_14default_configENS1_22reduce_config_selectorIbEEZNS1_11reduce_implILb1ES3_N6hipcub16HIPCUB_304000_NS22TransformInputIteratorIb7NonZeroIiEPilEEPllNS8_6detail34convert_binary_result_type_wrapperINS8_3SumESD_lEEEE10hipError_tPvRmT1_T2_T3_mT4_P12ihipStream_tbEUlT_E1_NS1_11comp_targetILNS1_3genE2ELNS1_11target_archE906ELNS1_3gpuE6ELNS1_3repE0EEENS1_30default_config_static_selectorELNS0_4arch9wavefront6targetE1EEEvSM_.num_vgpr, 0
	.set _ZN7rocprim17ROCPRIM_400000_NS6detail17trampoline_kernelINS0_14default_configENS1_22reduce_config_selectorIbEEZNS1_11reduce_implILb1ES3_N6hipcub16HIPCUB_304000_NS22TransformInputIteratorIb7NonZeroIiEPilEEPllNS8_6detail34convert_binary_result_type_wrapperINS8_3SumESD_lEEEE10hipError_tPvRmT1_T2_T3_mT4_P12ihipStream_tbEUlT_E1_NS1_11comp_targetILNS1_3genE2ELNS1_11target_archE906ELNS1_3gpuE6ELNS1_3repE0EEENS1_30default_config_static_selectorELNS0_4arch9wavefront6targetE1EEEvSM_.num_agpr, 0
	.set _ZN7rocprim17ROCPRIM_400000_NS6detail17trampoline_kernelINS0_14default_configENS1_22reduce_config_selectorIbEEZNS1_11reduce_implILb1ES3_N6hipcub16HIPCUB_304000_NS22TransformInputIteratorIb7NonZeroIiEPilEEPllNS8_6detail34convert_binary_result_type_wrapperINS8_3SumESD_lEEEE10hipError_tPvRmT1_T2_T3_mT4_P12ihipStream_tbEUlT_E1_NS1_11comp_targetILNS1_3genE2ELNS1_11target_archE906ELNS1_3gpuE6ELNS1_3repE0EEENS1_30default_config_static_selectorELNS0_4arch9wavefront6targetE1EEEvSM_.numbered_sgpr, 0
	.set _ZN7rocprim17ROCPRIM_400000_NS6detail17trampoline_kernelINS0_14default_configENS1_22reduce_config_selectorIbEEZNS1_11reduce_implILb1ES3_N6hipcub16HIPCUB_304000_NS22TransformInputIteratorIb7NonZeroIiEPilEEPllNS8_6detail34convert_binary_result_type_wrapperINS8_3SumESD_lEEEE10hipError_tPvRmT1_T2_T3_mT4_P12ihipStream_tbEUlT_E1_NS1_11comp_targetILNS1_3genE2ELNS1_11target_archE906ELNS1_3gpuE6ELNS1_3repE0EEENS1_30default_config_static_selectorELNS0_4arch9wavefront6targetE1EEEvSM_.num_named_barrier, 0
	.set _ZN7rocprim17ROCPRIM_400000_NS6detail17trampoline_kernelINS0_14default_configENS1_22reduce_config_selectorIbEEZNS1_11reduce_implILb1ES3_N6hipcub16HIPCUB_304000_NS22TransformInputIteratorIb7NonZeroIiEPilEEPllNS8_6detail34convert_binary_result_type_wrapperINS8_3SumESD_lEEEE10hipError_tPvRmT1_T2_T3_mT4_P12ihipStream_tbEUlT_E1_NS1_11comp_targetILNS1_3genE2ELNS1_11target_archE906ELNS1_3gpuE6ELNS1_3repE0EEENS1_30default_config_static_selectorELNS0_4arch9wavefront6targetE1EEEvSM_.private_seg_size, 0
	.set _ZN7rocprim17ROCPRIM_400000_NS6detail17trampoline_kernelINS0_14default_configENS1_22reduce_config_selectorIbEEZNS1_11reduce_implILb1ES3_N6hipcub16HIPCUB_304000_NS22TransformInputIteratorIb7NonZeroIiEPilEEPllNS8_6detail34convert_binary_result_type_wrapperINS8_3SumESD_lEEEE10hipError_tPvRmT1_T2_T3_mT4_P12ihipStream_tbEUlT_E1_NS1_11comp_targetILNS1_3genE2ELNS1_11target_archE906ELNS1_3gpuE6ELNS1_3repE0EEENS1_30default_config_static_selectorELNS0_4arch9wavefront6targetE1EEEvSM_.uses_vcc, 0
	.set _ZN7rocprim17ROCPRIM_400000_NS6detail17trampoline_kernelINS0_14default_configENS1_22reduce_config_selectorIbEEZNS1_11reduce_implILb1ES3_N6hipcub16HIPCUB_304000_NS22TransformInputIteratorIb7NonZeroIiEPilEEPllNS8_6detail34convert_binary_result_type_wrapperINS8_3SumESD_lEEEE10hipError_tPvRmT1_T2_T3_mT4_P12ihipStream_tbEUlT_E1_NS1_11comp_targetILNS1_3genE2ELNS1_11target_archE906ELNS1_3gpuE6ELNS1_3repE0EEENS1_30default_config_static_selectorELNS0_4arch9wavefront6targetE1EEEvSM_.uses_flat_scratch, 0
	.set _ZN7rocprim17ROCPRIM_400000_NS6detail17trampoline_kernelINS0_14default_configENS1_22reduce_config_selectorIbEEZNS1_11reduce_implILb1ES3_N6hipcub16HIPCUB_304000_NS22TransformInputIteratorIb7NonZeroIiEPilEEPllNS8_6detail34convert_binary_result_type_wrapperINS8_3SumESD_lEEEE10hipError_tPvRmT1_T2_T3_mT4_P12ihipStream_tbEUlT_E1_NS1_11comp_targetILNS1_3genE2ELNS1_11target_archE906ELNS1_3gpuE6ELNS1_3repE0EEENS1_30default_config_static_selectorELNS0_4arch9wavefront6targetE1EEEvSM_.has_dyn_sized_stack, 0
	.set _ZN7rocprim17ROCPRIM_400000_NS6detail17trampoline_kernelINS0_14default_configENS1_22reduce_config_selectorIbEEZNS1_11reduce_implILb1ES3_N6hipcub16HIPCUB_304000_NS22TransformInputIteratorIb7NonZeroIiEPilEEPllNS8_6detail34convert_binary_result_type_wrapperINS8_3SumESD_lEEEE10hipError_tPvRmT1_T2_T3_mT4_P12ihipStream_tbEUlT_E1_NS1_11comp_targetILNS1_3genE2ELNS1_11target_archE906ELNS1_3gpuE6ELNS1_3repE0EEENS1_30default_config_static_selectorELNS0_4arch9wavefront6targetE1EEEvSM_.has_recursion, 0
	.set _ZN7rocprim17ROCPRIM_400000_NS6detail17trampoline_kernelINS0_14default_configENS1_22reduce_config_selectorIbEEZNS1_11reduce_implILb1ES3_N6hipcub16HIPCUB_304000_NS22TransformInputIteratorIb7NonZeroIiEPilEEPllNS8_6detail34convert_binary_result_type_wrapperINS8_3SumESD_lEEEE10hipError_tPvRmT1_T2_T3_mT4_P12ihipStream_tbEUlT_E1_NS1_11comp_targetILNS1_3genE2ELNS1_11target_archE906ELNS1_3gpuE6ELNS1_3repE0EEENS1_30default_config_static_selectorELNS0_4arch9wavefront6targetE1EEEvSM_.has_indirect_call, 0
	.section	.AMDGPU.csdata,"",@progbits
; Kernel info:
; codeLenInByte = 0
; TotalNumSgprs: 6
; NumVgprs: 0
; NumAgprs: 0
; TotalNumVgprs: 0
; ScratchSize: 0
; MemoryBound: 0
; FloatMode: 240
; IeeeMode: 1
; LDSByteSize: 0 bytes/workgroup (compile time only)
; SGPRBlocks: 0
; VGPRBlocks: 0
; NumSGPRsForWavesPerEU: 6
; NumVGPRsForWavesPerEU: 1
; AccumOffset: 4
; Occupancy: 8
; WaveLimiterHint : 0
; COMPUTE_PGM_RSRC2:SCRATCH_EN: 0
; COMPUTE_PGM_RSRC2:USER_SGPR: 2
; COMPUTE_PGM_RSRC2:TRAP_HANDLER: 0
; COMPUTE_PGM_RSRC2:TGID_X_EN: 1
; COMPUTE_PGM_RSRC2:TGID_Y_EN: 0
; COMPUTE_PGM_RSRC2:TGID_Z_EN: 0
; COMPUTE_PGM_RSRC2:TIDIG_COMP_CNT: 0
; COMPUTE_PGM_RSRC3_GFX90A:ACCUM_OFFSET: 0
; COMPUTE_PGM_RSRC3_GFX90A:TG_SPLIT: 0
	.section	.text._ZN7rocprim17ROCPRIM_400000_NS6detail17trampoline_kernelINS0_14default_configENS1_22reduce_config_selectorIbEEZNS1_11reduce_implILb1ES3_N6hipcub16HIPCUB_304000_NS22TransformInputIteratorIb7NonZeroIiEPilEEPllNS8_6detail34convert_binary_result_type_wrapperINS8_3SumESD_lEEEE10hipError_tPvRmT1_T2_T3_mT4_P12ihipStream_tbEUlT_E1_NS1_11comp_targetILNS1_3genE10ELNS1_11target_archE1201ELNS1_3gpuE5ELNS1_3repE0EEENS1_30default_config_static_selectorELNS0_4arch9wavefront6targetE1EEEvSM_,"axG",@progbits,_ZN7rocprim17ROCPRIM_400000_NS6detail17trampoline_kernelINS0_14default_configENS1_22reduce_config_selectorIbEEZNS1_11reduce_implILb1ES3_N6hipcub16HIPCUB_304000_NS22TransformInputIteratorIb7NonZeroIiEPilEEPllNS8_6detail34convert_binary_result_type_wrapperINS8_3SumESD_lEEEE10hipError_tPvRmT1_T2_T3_mT4_P12ihipStream_tbEUlT_E1_NS1_11comp_targetILNS1_3genE10ELNS1_11target_archE1201ELNS1_3gpuE5ELNS1_3repE0EEENS1_30default_config_static_selectorELNS0_4arch9wavefront6targetE1EEEvSM_,comdat
	.protected	_ZN7rocprim17ROCPRIM_400000_NS6detail17trampoline_kernelINS0_14default_configENS1_22reduce_config_selectorIbEEZNS1_11reduce_implILb1ES3_N6hipcub16HIPCUB_304000_NS22TransformInputIteratorIb7NonZeroIiEPilEEPllNS8_6detail34convert_binary_result_type_wrapperINS8_3SumESD_lEEEE10hipError_tPvRmT1_T2_T3_mT4_P12ihipStream_tbEUlT_E1_NS1_11comp_targetILNS1_3genE10ELNS1_11target_archE1201ELNS1_3gpuE5ELNS1_3repE0EEENS1_30default_config_static_selectorELNS0_4arch9wavefront6targetE1EEEvSM_ ; -- Begin function _ZN7rocprim17ROCPRIM_400000_NS6detail17trampoline_kernelINS0_14default_configENS1_22reduce_config_selectorIbEEZNS1_11reduce_implILb1ES3_N6hipcub16HIPCUB_304000_NS22TransformInputIteratorIb7NonZeroIiEPilEEPllNS8_6detail34convert_binary_result_type_wrapperINS8_3SumESD_lEEEE10hipError_tPvRmT1_T2_T3_mT4_P12ihipStream_tbEUlT_E1_NS1_11comp_targetILNS1_3genE10ELNS1_11target_archE1201ELNS1_3gpuE5ELNS1_3repE0EEENS1_30default_config_static_selectorELNS0_4arch9wavefront6targetE1EEEvSM_
	.globl	_ZN7rocprim17ROCPRIM_400000_NS6detail17trampoline_kernelINS0_14default_configENS1_22reduce_config_selectorIbEEZNS1_11reduce_implILb1ES3_N6hipcub16HIPCUB_304000_NS22TransformInputIteratorIb7NonZeroIiEPilEEPllNS8_6detail34convert_binary_result_type_wrapperINS8_3SumESD_lEEEE10hipError_tPvRmT1_T2_T3_mT4_P12ihipStream_tbEUlT_E1_NS1_11comp_targetILNS1_3genE10ELNS1_11target_archE1201ELNS1_3gpuE5ELNS1_3repE0EEENS1_30default_config_static_selectorELNS0_4arch9wavefront6targetE1EEEvSM_
	.p2align	8
	.type	_ZN7rocprim17ROCPRIM_400000_NS6detail17trampoline_kernelINS0_14default_configENS1_22reduce_config_selectorIbEEZNS1_11reduce_implILb1ES3_N6hipcub16HIPCUB_304000_NS22TransformInputIteratorIb7NonZeroIiEPilEEPllNS8_6detail34convert_binary_result_type_wrapperINS8_3SumESD_lEEEE10hipError_tPvRmT1_T2_T3_mT4_P12ihipStream_tbEUlT_E1_NS1_11comp_targetILNS1_3genE10ELNS1_11target_archE1201ELNS1_3gpuE5ELNS1_3repE0EEENS1_30default_config_static_selectorELNS0_4arch9wavefront6targetE1EEEvSM_,@function
_ZN7rocprim17ROCPRIM_400000_NS6detail17trampoline_kernelINS0_14default_configENS1_22reduce_config_selectorIbEEZNS1_11reduce_implILb1ES3_N6hipcub16HIPCUB_304000_NS22TransformInputIteratorIb7NonZeroIiEPilEEPllNS8_6detail34convert_binary_result_type_wrapperINS8_3SumESD_lEEEE10hipError_tPvRmT1_T2_T3_mT4_P12ihipStream_tbEUlT_E1_NS1_11comp_targetILNS1_3genE10ELNS1_11target_archE1201ELNS1_3gpuE5ELNS1_3repE0EEENS1_30default_config_static_selectorELNS0_4arch9wavefront6targetE1EEEvSM_: ; @_ZN7rocprim17ROCPRIM_400000_NS6detail17trampoline_kernelINS0_14default_configENS1_22reduce_config_selectorIbEEZNS1_11reduce_implILb1ES3_N6hipcub16HIPCUB_304000_NS22TransformInputIteratorIb7NonZeroIiEPilEEPllNS8_6detail34convert_binary_result_type_wrapperINS8_3SumESD_lEEEE10hipError_tPvRmT1_T2_T3_mT4_P12ihipStream_tbEUlT_E1_NS1_11comp_targetILNS1_3genE10ELNS1_11target_archE1201ELNS1_3gpuE5ELNS1_3repE0EEENS1_30default_config_static_selectorELNS0_4arch9wavefront6targetE1EEEvSM_
; %bb.0:
	.section	.rodata,"a",@progbits
	.p2align	6, 0x0
	.amdhsa_kernel _ZN7rocprim17ROCPRIM_400000_NS6detail17trampoline_kernelINS0_14default_configENS1_22reduce_config_selectorIbEEZNS1_11reduce_implILb1ES3_N6hipcub16HIPCUB_304000_NS22TransformInputIteratorIb7NonZeroIiEPilEEPllNS8_6detail34convert_binary_result_type_wrapperINS8_3SumESD_lEEEE10hipError_tPvRmT1_T2_T3_mT4_P12ihipStream_tbEUlT_E1_NS1_11comp_targetILNS1_3genE10ELNS1_11target_archE1201ELNS1_3gpuE5ELNS1_3repE0EEENS1_30default_config_static_selectorELNS0_4arch9wavefront6targetE1EEEvSM_
		.amdhsa_group_segment_fixed_size 0
		.amdhsa_private_segment_fixed_size 0
		.amdhsa_kernarg_size 56
		.amdhsa_user_sgpr_count 2
		.amdhsa_user_sgpr_dispatch_ptr 0
		.amdhsa_user_sgpr_queue_ptr 0
		.amdhsa_user_sgpr_kernarg_segment_ptr 1
		.amdhsa_user_sgpr_dispatch_id 0
		.amdhsa_user_sgpr_kernarg_preload_length 0
		.amdhsa_user_sgpr_kernarg_preload_offset 0
		.amdhsa_user_sgpr_private_segment_size 0
		.amdhsa_uses_dynamic_stack 0
		.amdhsa_enable_private_segment 0
		.amdhsa_system_sgpr_workgroup_id_x 1
		.amdhsa_system_sgpr_workgroup_id_y 0
		.amdhsa_system_sgpr_workgroup_id_z 0
		.amdhsa_system_sgpr_workgroup_info 0
		.amdhsa_system_vgpr_workitem_id 0
		.amdhsa_next_free_vgpr 1
		.amdhsa_next_free_sgpr 0
		.amdhsa_accum_offset 4
		.amdhsa_reserve_vcc 0
		.amdhsa_float_round_mode_32 0
		.amdhsa_float_round_mode_16_64 0
		.amdhsa_float_denorm_mode_32 3
		.amdhsa_float_denorm_mode_16_64 3
		.amdhsa_dx10_clamp 1
		.amdhsa_ieee_mode 1
		.amdhsa_fp16_overflow 0
		.amdhsa_tg_split 0
		.amdhsa_exception_fp_ieee_invalid_op 0
		.amdhsa_exception_fp_denorm_src 0
		.amdhsa_exception_fp_ieee_div_zero 0
		.amdhsa_exception_fp_ieee_overflow 0
		.amdhsa_exception_fp_ieee_underflow 0
		.amdhsa_exception_fp_ieee_inexact 0
		.amdhsa_exception_int_div_zero 0
	.end_amdhsa_kernel
	.section	.text._ZN7rocprim17ROCPRIM_400000_NS6detail17trampoline_kernelINS0_14default_configENS1_22reduce_config_selectorIbEEZNS1_11reduce_implILb1ES3_N6hipcub16HIPCUB_304000_NS22TransformInputIteratorIb7NonZeroIiEPilEEPllNS8_6detail34convert_binary_result_type_wrapperINS8_3SumESD_lEEEE10hipError_tPvRmT1_T2_T3_mT4_P12ihipStream_tbEUlT_E1_NS1_11comp_targetILNS1_3genE10ELNS1_11target_archE1201ELNS1_3gpuE5ELNS1_3repE0EEENS1_30default_config_static_selectorELNS0_4arch9wavefront6targetE1EEEvSM_,"axG",@progbits,_ZN7rocprim17ROCPRIM_400000_NS6detail17trampoline_kernelINS0_14default_configENS1_22reduce_config_selectorIbEEZNS1_11reduce_implILb1ES3_N6hipcub16HIPCUB_304000_NS22TransformInputIteratorIb7NonZeroIiEPilEEPllNS8_6detail34convert_binary_result_type_wrapperINS8_3SumESD_lEEEE10hipError_tPvRmT1_T2_T3_mT4_P12ihipStream_tbEUlT_E1_NS1_11comp_targetILNS1_3genE10ELNS1_11target_archE1201ELNS1_3gpuE5ELNS1_3repE0EEENS1_30default_config_static_selectorELNS0_4arch9wavefront6targetE1EEEvSM_,comdat
.Lfunc_end181:
	.size	_ZN7rocprim17ROCPRIM_400000_NS6detail17trampoline_kernelINS0_14default_configENS1_22reduce_config_selectorIbEEZNS1_11reduce_implILb1ES3_N6hipcub16HIPCUB_304000_NS22TransformInputIteratorIb7NonZeroIiEPilEEPllNS8_6detail34convert_binary_result_type_wrapperINS8_3SumESD_lEEEE10hipError_tPvRmT1_T2_T3_mT4_P12ihipStream_tbEUlT_E1_NS1_11comp_targetILNS1_3genE10ELNS1_11target_archE1201ELNS1_3gpuE5ELNS1_3repE0EEENS1_30default_config_static_selectorELNS0_4arch9wavefront6targetE1EEEvSM_, .Lfunc_end181-_ZN7rocprim17ROCPRIM_400000_NS6detail17trampoline_kernelINS0_14default_configENS1_22reduce_config_selectorIbEEZNS1_11reduce_implILb1ES3_N6hipcub16HIPCUB_304000_NS22TransformInputIteratorIb7NonZeroIiEPilEEPllNS8_6detail34convert_binary_result_type_wrapperINS8_3SumESD_lEEEE10hipError_tPvRmT1_T2_T3_mT4_P12ihipStream_tbEUlT_E1_NS1_11comp_targetILNS1_3genE10ELNS1_11target_archE1201ELNS1_3gpuE5ELNS1_3repE0EEENS1_30default_config_static_selectorELNS0_4arch9wavefront6targetE1EEEvSM_
                                        ; -- End function
	.set _ZN7rocprim17ROCPRIM_400000_NS6detail17trampoline_kernelINS0_14default_configENS1_22reduce_config_selectorIbEEZNS1_11reduce_implILb1ES3_N6hipcub16HIPCUB_304000_NS22TransformInputIteratorIb7NonZeroIiEPilEEPllNS8_6detail34convert_binary_result_type_wrapperINS8_3SumESD_lEEEE10hipError_tPvRmT1_T2_T3_mT4_P12ihipStream_tbEUlT_E1_NS1_11comp_targetILNS1_3genE10ELNS1_11target_archE1201ELNS1_3gpuE5ELNS1_3repE0EEENS1_30default_config_static_selectorELNS0_4arch9wavefront6targetE1EEEvSM_.num_vgpr, 0
	.set _ZN7rocprim17ROCPRIM_400000_NS6detail17trampoline_kernelINS0_14default_configENS1_22reduce_config_selectorIbEEZNS1_11reduce_implILb1ES3_N6hipcub16HIPCUB_304000_NS22TransformInputIteratorIb7NonZeroIiEPilEEPllNS8_6detail34convert_binary_result_type_wrapperINS8_3SumESD_lEEEE10hipError_tPvRmT1_T2_T3_mT4_P12ihipStream_tbEUlT_E1_NS1_11comp_targetILNS1_3genE10ELNS1_11target_archE1201ELNS1_3gpuE5ELNS1_3repE0EEENS1_30default_config_static_selectorELNS0_4arch9wavefront6targetE1EEEvSM_.num_agpr, 0
	.set _ZN7rocprim17ROCPRIM_400000_NS6detail17trampoline_kernelINS0_14default_configENS1_22reduce_config_selectorIbEEZNS1_11reduce_implILb1ES3_N6hipcub16HIPCUB_304000_NS22TransformInputIteratorIb7NonZeroIiEPilEEPllNS8_6detail34convert_binary_result_type_wrapperINS8_3SumESD_lEEEE10hipError_tPvRmT1_T2_T3_mT4_P12ihipStream_tbEUlT_E1_NS1_11comp_targetILNS1_3genE10ELNS1_11target_archE1201ELNS1_3gpuE5ELNS1_3repE0EEENS1_30default_config_static_selectorELNS0_4arch9wavefront6targetE1EEEvSM_.numbered_sgpr, 0
	.set _ZN7rocprim17ROCPRIM_400000_NS6detail17trampoline_kernelINS0_14default_configENS1_22reduce_config_selectorIbEEZNS1_11reduce_implILb1ES3_N6hipcub16HIPCUB_304000_NS22TransformInputIteratorIb7NonZeroIiEPilEEPllNS8_6detail34convert_binary_result_type_wrapperINS8_3SumESD_lEEEE10hipError_tPvRmT1_T2_T3_mT4_P12ihipStream_tbEUlT_E1_NS1_11comp_targetILNS1_3genE10ELNS1_11target_archE1201ELNS1_3gpuE5ELNS1_3repE0EEENS1_30default_config_static_selectorELNS0_4arch9wavefront6targetE1EEEvSM_.num_named_barrier, 0
	.set _ZN7rocprim17ROCPRIM_400000_NS6detail17trampoline_kernelINS0_14default_configENS1_22reduce_config_selectorIbEEZNS1_11reduce_implILb1ES3_N6hipcub16HIPCUB_304000_NS22TransformInputIteratorIb7NonZeroIiEPilEEPllNS8_6detail34convert_binary_result_type_wrapperINS8_3SumESD_lEEEE10hipError_tPvRmT1_T2_T3_mT4_P12ihipStream_tbEUlT_E1_NS1_11comp_targetILNS1_3genE10ELNS1_11target_archE1201ELNS1_3gpuE5ELNS1_3repE0EEENS1_30default_config_static_selectorELNS0_4arch9wavefront6targetE1EEEvSM_.private_seg_size, 0
	.set _ZN7rocprim17ROCPRIM_400000_NS6detail17trampoline_kernelINS0_14default_configENS1_22reduce_config_selectorIbEEZNS1_11reduce_implILb1ES3_N6hipcub16HIPCUB_304000_NS22TransformInputIteratorIb7NonZeroIiEPilEEPllNS8_6detail34convert_binary_result_type_wrapperINS8_3SumESD_lEEEE10hipError_tPvRmT1_T2_T3_mT4_P12ihipStream_tbEUlT_E1_NS1_11comp_targetILNS1_3genE10ELNS1_11target_archE1201ELNS1_3gpuE5ELNS1_3repE0EEENS1_30default_config_static_selectorELNS0_4arch9wavefront6targetE1EEEvSM_.uses_vcc, 0
	.set _ZN7rocprim17ROCPRIM_400000_NS6detail17trampoline_kernelINS0_14default_configENS1_22reduce_config_selectorIbEEZNS1_11reduce_implILb1ES3_N6hipcub16HIPCUB_304000_NS22TransformInputIteratorIb7NonZeroIiEPilEEPllNS8_6detail34convert_binary_result_type_wrapperINS8_3SumESD_lEEEE10hipError_tPvRmT1_T2_T3_mT4_P12ihipStream_tbEUlT_E1_NS1_11comp_targetILNS1_3genE10ELNS1_11target_archE1201ELNS1_3gpuE5ELNS1_3repE0EEENS1_30default_config_static_selectorELNS0_4arch9wavefront6targetE1EEEvSM_.uses_flat_scratch, 0
	.set _ZN7rocprim17ROCPRIM_400000_NS6detail17trampoline_kernelINS0_14default_configENS1_22reduce_config_selectorIbEEZNS1_11reduce_implILb1ES3_N6hipcub16HIPCUB_304000_NS22TransformInputIteratorIb7NonZeroIiEPilEEPllNS8_6detail34convert_binary_result_type_wrapperINS8_3SumESD_lEEEE10hipError_tPvRmT1_T2_T3_mT4_P12ihipStream_tbEUlT_E1_NS1_11comp_targetILNS1_3genE10ELNS1_11target_archE1201ELNS1_3gpuE5ELNS1_3repE0EEENS1_30default_config_static_selectorELNS0_4arch9wavefront6targetE1EEEvSM_.has_dyn_sized_stack, 0
	.set _ZN7rocprim17ROCPRIM_400000_NS6detail17trampoline_kernelINS0_14default_configENS1_22reduce_config_selectorIbEEZNS1_11reduce_implILb1ES3_N6hipcub16HIPCUB_304000_NS22TransformInputIteratorIb7NonZeroIiEPilEEPllNS8_6detail34convert_binary_result_type_wrapperINS8_3SumESD_lEEEE10hipError_tPvRmT1_T2_T3_mT4_P12ihipStream_tbEUlT_E1_NS1_11comp_targetILNS1_3genE10ELNS1_11target_archE1201ELNS1_3gpuE5ELNS1_3repE0EEENS1_30default_config_static_selectorELNS0_4arch9wavefront6targetE1EEEvSM_.has_recursion, 0
	.set _ZN7rocprim17ROCPRIM_400000_NS6detail17trampoline_kernelINS0_14default_configENS1_22reduce_config_selectorIbEEZNS1_11reduce_implILb1ES3_N6hipcub16HIPCUB_304000_NS22TransformInputIteratorIb7NonZeroIiEPilEEPllNS8_6detail34convert_binary_result_type_wrapperINS8_3SumESD_lEEEE10hipError_tPvRmT1_T2_T3_mT4_P12ihipStream_tbEUlT_E1_NS1_11comp_targetILNS1_3genE10ELNS1_11target_archE1201ELNS1_3gpuE5ELNS1_3repE0EEENS1_30default_config_static_selectorELNS0_4arch9wavefront6targetE1EEEvSM_.has_indirect_call, 0
	.section	.AMDGPU.csdata,"",@progbits
; Kernel info:
; codeLenInByte = 0
; TotalNumSgprs: 6
; NumVgprs: 0
; NumAgprs: 0
; TotalNumVgprs: 0
; ScratchSize: 0
; MemoryBound: 0
; FloatMode: 240
; IeeeMode: 1
; LDSByteSize: 0 bytes/workgroup (compile time only)
; SGPRBlocks: 0
; VGPRBlocks: 0
; NumSGPRsForWavesPerEU: 6
; NumVGPRsForWavesPerEU: 1
; AccumOffset: 4
; Occupancy: 8
; WaveLimiterHint : 0
; COMPUTE_PGM_RSRC2:SCRATCH_EN: 0
; COMPUTE_PGM_RSRC2:USER_SGPR: 2
; COMPUTE_PGM_RSRC2:TRAP_HANDLER: 0
; COMPUTE_PGM_RSRC2:TGID_X_EN: 1
; COMPUTE_PGM_RSRC2:TGID_Y_EN: 0
; COMPUTE_PGM_RSRC2:TGID_Z_EN: 0
; COMPUTE_PGM_RSRC2:TIDIG_COMP_CNT: 0
; COMPUTE_PGM_RSRC3_GFX90A:ACCUM_OFFSET: 0
; COMPUTE_PGM_RSRC3_GFX90A:TG_SPLIT: 0
	.section	.text._ZN7rocprim17ROCPRIM_400000_NS6detail17trampoline_kernelINS0_14default_configENS1_22reduce_config_selectorIbEEZNS1_11reduce_implILb1ES3_N6hipcub16HIPCUB_304000_NS22TransformInputIteratorIb7NonZeroIiEPilEEPllNS8_6detail34convert_binary_result_type_wrapperINS8_3SumESD_lEEEE10hipError_tPvRmT1_T2_T3_mT4_P12ihipStream_tbEUlT_E1_NS1_11comp_targetILNS1_3genE10ELNS1_11target_archE1200ELNS1_3gpuE4ELNS1_3repE0EEENS1_30default_config_static_selectorELNS0_4arch9wavefront6targetE1EEEvSM_,"axG",@progbits,_ZN7rocprim17ROCPRIM_400000_NS6detail17trampoline_kernelINS0_14default_configENS1_22reduce_config_selectorIbEEZNS1_11reduce_implILb1ES3_N6hipcub16HIPCUB_304000_NS22TransformInputIteratorIb7NonZeroIiEPilEEPllNS8_6detail34convert_binary_result_type_wrapperINS8_3SumESD_lEEEE10hipError_tPvRmT1_T2_T3_mT4_P12ihipStream_tbEUlT_E1_NS1_11comp_targetILNS1_3genE10ELNS1_11target_archE1200ELNS1_3gpuE4ELNS1_3repE0EEENS1_30default_config_static_selectorELNS0_4arch9wavefront6targetE1EEEvSM_,comdat
	.protected	_ZN7rocprim17ROCPRIM_400000_NS6detail17trampoline_kernelINS0_14default_configENS1_22reduce_config_selectorIbEEZNS1_11reduce_implILb1ES3_N6hipcub16HIPCUB_304000_NS22TransformInputIteratorIb7NonZeroIiEPilEEPllNS8_6detail34convert_binary_result_type_wrapperINS8_3SumESD_lEEEE10hipError_tPvRmT1_T2_T3_mT4_P12ihipStream_tbEUlT_E1_NS1_11comp_targetILNS1_3genE10ELNS1_11target_archE1200ELNS1_3gpuE4ELNS1_3repE0EEENS1_30default_config_static_selectorELNS0_4arch9wavefront6targetE1EEEvSM_ ; -- Begin function _ZN7rocprim17ROCPRIM_400000_NS6detail17trampoline_kernelINS0_14default_configENS1_22reduce_config_selectorIbEEZNS1_11reduce_implILb1ES3_N6hipcub16HIPCUB_304000_NS22TransformInputIteratorIb7NonZeroIiEPilEEPllNS8_6detail34convert_binary_result_type_wrapperINS8_3SumESD_lEEEE10hipError_tPvRmT1_T2_T3_mT4_P12ihipStream_tbEUlT_E1_NS1_11comp_targetILNS1_3genE10ELNS1_11target_archE1200ELNS1_3gpuE4ELNS1_3repE0EEENS1_30default_config_static_selectorELNS0_4arch9wavefront6targetE1EEEvSM_
	.globl	_ZN7rocprim17ROCPRIM_400000_NS6detail17trampoline_kernelINS0_14default_configENS1_22reduce_config_selectorIbEEZNS1_11reduce_implILb1ES3_N6hipcub16HIPCUB_304000_NS22TransformInputIteratorIb7NonZeroIiEPilEEPllNS8_6detail34convert_binary_result_type_wrapperINS8_3SumESD_lEEEE10hipError_tPvRmT1_T2_T3_mT4_P12ihipStream_tbEUlT_E1_NS1_11comp_targetILNS1_3genE10ELNS1_11target_archE1200ELNS1_3gpuE4ELNS1_3repE0EEENS1_30default_config_static_selectorELNS0_4arch9wavefront6targetE1EEEvSM_
	.p2align	8
	.type	_ZN7rocprim17ROCPRIM_400000_NS6detail17trampoline_kernelINS0_14default_configENS1_22reduce_config_selectorIbEEZNS1_11reduce_implILb1ES3_N6hipcub16HIPCUB_304000_NS22TransformInputIteratorIb7NonZeroIiEPilEEPllNS8_6detail34convert_binary_result_type_wrapperINS8_3SumESD_lEEEE10hipError_tPvRmT1_T2_T3_mT4_P12ihipStream_tbEUlT_E1_NS1_11comp_targetILNS1_3genE10ELNS1_11target_archE1200ELNS1_3gpuE4ELNS1_3repE0EEENS1_30default_config_static_selectorELNS0_4arch9wavefront6targetE1EEEvSM_,@function
_ZN7rocprim17ROCPRIM_400000_NS6detail17trampoline_kernelINS0_14default_configENS1_22reduce_config_selectorIbEEZNS1_11reduce_implILb1ES3_N6hipcub16HIPCUB_304000_NS22TransformInputIteratorIb7NonZeroIiEPilEEPllNS8_6detail34convert_binary_result_type_wrapperINS8_3SumESD_lEEEE10hipError_tPvRmT1_T2_T3_mT4_P12ihipStream_tbEUlT_E1_NS1_11comp_targetILNS1_3genE10ELNS1_11target_archE1200ELNS1_3gpuE4ELNS1_3repE0EEENS1_30default_config_static_selectorELNS0_4arch9wavefront6targetE1EEEvSM_: ; @_ZN7rocprim17ROCPRIM_400000_NS6detail17trampoline_kernelINS0_14default_configENS1_22reduce_config_selectorIbEEZNS1_11reduce_implILb1ES3_N6hipcub16HIPCUB_304000_NS22TransformInputIteratorIb7NonZeroIiEPilEEPllNS8_6detail34convert_binary_result_type_wrapperINS8_3SumESD_lEEEE10hipError_tPvRmT1_T2_T3_mT4_P12ihipStream_tbEUlT_E1_NS1_11comp_targetILNS1_3genE10ELNS1_11target_archE1200ELNS1_3gpuE4ELNS1_3repE0EEENS1_30default_config_static_selectorELNS0_4arch9wavefront6targetE1EEEvSM_
; %bb.0:
	.section	.rodata,"a",@progbits
	.p2align	6, 0x0
	.amdhsa_kernel _ZN7rocprim17ROCPRIM_400000_NS6detail17trampoline_kernelINS0_14default_configENS1_22reduce_config_selectorIbEEZNS1_11reduce_implILb1ES3_N6hipcub16HIPCUB_304000_NS22TransformInputIteratorIb7NonZeroIiEPilEEPllNS8_6detail34convert_binary_result_type_wrapperINS8_3SumESD_lEEEE10hipError_tPvRmT1_T2_T3_mT4_P12ihipStream_tbEUlT_E1_NS1_11comp_targetILNS1_3genE10ELNS1_11target_archE1200ELNS1_3gpuE4ELNS1_3repE0EEENS1_30default_config_static_selectorELNS0_4arch9wavefront6targetE1EEEvSM_
		.amdhsa_group_segment_fixed_size 0
		.amdhsa_private_segment_fixed_size 0
		.amdhsa_kernarg_size 56
		.amdhsa_user_sgpr_count 2
		.amdhsa_user_sgpr_dispatch_ptr 0
		.amdhsa_user_sgpr_queue_ptr 0
		.amdhsa_user_sgpr_kernarg_segment_ptr 1
		.amdhsa_user_sgpr_dispatch_id 0
		.amdhsa_user_sgpr_kernarg_preload_length 0
		.amdhsa_user_sgpr_kernarg_preload_offset 0
		.amdhsa_user_sgpr_private_segment_size 0
		.amdhsa_uses_dynamic_stack 0
		.amdhsa_enable_private_segment 0
		.amdhsa_system_sgpr_workgroup_id_x 1
		.amdhsa_system_sgpr_workgroup_id_y 0
		.amdhsa_system_sgpr_workgroup_id_z 0
		.amdhsa_system_sgpr_workgroup_info 0
		.amdhsa_system_vgpr_workitem_id 0
		.amdhsa_next_free_vgpr 1
		.amdhsa_next_free_sgpr 0
		.amdhsa_accum_offset 4
		.amdhsa_reserve_vcc 0
		.amdhsa_float_round_mode_32 0
		.amdhsa_float_round_mode_16_64 0
		.amdhsa_float_denorm_mode_32 3
		.amdhsa_float_denorm_mode_16_64 3
		.amdhsa_dx10_clamp 1
		.amdhsa_ieee_mode 1
		.amdhsa_fp16_overflow 0
		.amdhsa_tg_split 0
		.amdhsa_exception_fp_ieee_invalid_op 0
		.amdhsa_exception_fp_denorm_src 0
		.amdhsa_exception_fp_ieee_div_zero 0
		.amdhsa_exception_fp_ieee_overflow 0
		.amdhsa_exception_fp_ieee_underflow 0
		.amdhsa_exception_fp_ieee_inexact 0
		.amdhsa_exception_int_div_zero 0
	.end_amdhsa_kernel
	.section	.text._ZN7rocprim17ROCPRIM_400000_NS6detail17trampoline_kernelINS0_14default_configENS1_22reduce_config_selectorIbEEZNS1_11reduce_implILb1ES3_N6hipcub16HIPCUB_304000_NS22TransformInputIteratorIb7NonZeroIiEPilEEPllNS8_6detail34convert_binary_result_type_wrapperINS8_3SumESD_lEEEE10hipError_tPvRmT1_T2_T3_mT4_P12ihipStream_tbEUlT_E1_NS1_11comp_targetILNS1_3genE10ELNS1_11target_archE1200ELNS1_3gpuE4ELNS1_3repE0EEENS1_30default_config_static_selectorELNS0_4arch9wavefront6targetE1EEEvSM_,"axG",@progbits,_ZN7rocprim17ROCPRIM_400000_NS6detail17trampoline_kernelINS0_14default_configENS1_22reduce_config_selectorIbEEZNS1_11reduce_implILb1ES3_N6hipcub16HIPCUB_304000_NS22TransformInputIteratorIb7NonZeroIiEPilEEPllNS8_6detail34convert_binary_result_type_wrapperINS8_3SumESD_lEEEE10hipError_tPvRmT1_T2_T3_mT4_P12ihipStream_tbEUlT_E1_NS1_11comp_targetILNS1_3genE10ELNS1_11target_archE1200ELNS1_3gpuE4ELNS1_3repE0EEENS1_30default_config_static_selectorELNS0_4arch9wavefront6targetE1EEEvSM_,comdat
.Lfunc_end182:
	.size	_ZN7rocprim17ROCPRIM_400000_NS6detail17trampoline_kernelINS0_14default_configENS1_22reduce_config_selectorIbEEZNS1_11reduce_implILb1ES3_N6hipcub16HIPCUB_304000_NS22TransformInputIteratorIb7NonZeroIiEPilEEPllNS8_6detail34convert_binary_result_type_wrapperINS8_3SumESD_lEEEE10hipError_tPvRmT1_T2_T3_mT4_P12ihipStream_tbEUlT_E1_NS1_11comp_targetILNS1_3genE10ELNS1_11target_archE1200ELNS1_3gpuE4ELNS1_3repE0EEENS1_30default_config_static_selectorELNS0_4arch9wavefront6targetE1EEEvSM_, .Lfunc_end182-_ZN7rocprim17ROCPRIM_400000_NS6detail17trampoline_kernelINS0_14default_configENS1_22reduce_config_selectorIbEEZNS1_11reduce_implILb1ES3_N6hipcub16HIPCUB_304000_NS22TransformInputIteratorIb7NonZeroIiEPilEEPllNS8_6detail34convert_binary_result_type_wrapperINS8_3SumESD_lEEEE10hipError_tPvRmT1_T2_T3_mT4_P12ihipStream_tbEUlT_E1_NS1_11comp_targetILNS1_3genE10ELNS1_11target_archE1200ELNS1_3gpuE4ELNS1_3repE0EEENS1_30default_config_static_selectorELNS0_4arch9wavefront6targetE1EEEvSM_
                                        ; -- End function
	.set _ZN7rocprim17ROCPRIM_400000_NS6detail17trampoline_kernelINS0_14default_configENS1_22reduce_config_selectorIbEEZNS1_11reduce_implILb1ES3_N6hipcub16HIPCUB_304000_NS22TransformInputIteratorIb7NonZeroIiEPilEEPllNS8_6detail34convert_binary_result_type_wrapperINS8_3SumESD_lEEEE10hipError_tPvRmT1_T2_T3_mT4_P12ihipStream_tbEUlT_E1_NS1_11comp_targetILNS1_3genE10ELNS1_11target_archE1200ELNS1_3gpuE4ELNS1_3repE0EEENS1_30default_config_static_selectorELNS0_4arch9wavefront6targetE1EEEvSM_.num_vgpr, 0
	.set _ZN7rocprim17ROCPRIM_400000_NS6detail17trampoline_kernelINS0_14default_configENS1_22reduce_config_selectorIbEEZNS1_11reduce_implILb1ES3_N6hipcub16HIPCUB_304000_NS22TransformInputIteratorIb7NonZeroIiEPilEEPllNS8_6detail34convert_binary_result_type_wrapperINS8_3SumESD_lEEEE10hipError_tPvRmT1_T2_T3_mT4_P12ihipStream_tbEUlT_E1_NS1_11comp_targetILNS1_3genE10ELNS1_11target_archE1200ELNS1_3gpuE4ELNS1_3repE0EEENS1_30default_config_static_selectorELNS0_4arch9wavefront6targetE1EEEvSM_.num_agpr, 0
	.set _ZN7rocprim17ROCPRIM_400000_NS6detail17trampoline_kernelINS0_14default_configENS1_22reduce_config_selectorIbEEZNS1_11reduce_implILb1ES3_N6hipcub16HIPCUB_304000_NS22TransformInputIteratorIb7NonZeroIiEPilEEPllNS8_6detail34convert_binary_result_type_wrapperINS8_3SumESD_lEEEE10hipError_tPvRmT1_T2_T3_mT4_P12ihipStream_tbEUlT_E1_NS1_11comp_targetILNS1_3genE10ELNS1_11target_archE1200ELNS1_3gpuE4ELNS1_3repE0EEENS1_30default_config_static_selectorELNS0_4arch9wavefront6targetE1EEEvSM_.numbered_sgpr, 0
	.set _ZN7rocprim17ROCPRIM_400000_NS6detail17trampoline_kernelINS0_14default_configENS1_22reduce_config_selectorIbEEZNS1_11reduce_implILb1ES3_N6hipcub16HIPCUB_304000_NS22TransformInputIteratorIb7NonZeroIiEPilEEPllNS8_6detail34convert_binary_result_type_wrapperINS8_3SumESD_lEEEE10hipError_tPvRmT1_T2_T3_mT4_P12ihipStream_tbEUlT_E1_NS1_11comp_targetILNS1_3genE10ELNS1_11target_archE1200ELNS1_3gpuE4ELNS1_3repE0EEENS1_30default_config_static_selectorELNS0_4arch9wavefront6targetE1EEEvSM_.num_named_barrier, 0
	.set _ZN7rocprim17ROCPRIM_400000_NS6detail17trampoline_kernelINS0_14default_configENS1_22reduce_config_selectorIbEEZNS1_11reduce_implILb1ES3_N6hipcub16HIPCUB_304000_NS22TransformInputIteratorIb7NonZeroIiEPilEEPllNS8_6detail34convert_binary_result_type_wrapperINS8_3SumESD_lEEEE10hipError_tPvRmT1_T2_T3_mT4_P12ihipStream_tbEUlT_E1_NS1_11comp_targetILNS1_3genE10ELNS1_11target_archE1200ELNS1_3gpuE4ELNS1_3repE0EEENS1_30default_config_static_selectorELNS0_4arch9wavefront6targetE1EEEvSM_.private_seg_size, 0
	.set _ZN7rocprim17ROCPRIM_400000_NS6detail17trampoline_kernelINS0_14default_configENS1_22reduce_config_selectorIbEEZNS1_11reduce_implILb1ES3_N6hipcub16HIPCUB_304000_NS22TransformInputIteratorIb7NonZeroIiEPilEEPllNS8_6detail34convert_binary_result_type_wrapperINS8_3SumESD_lEEEE10hipError_tPvRmT1_T2_T3_mT4_P12ihipStream_tbEUlT_E1_NS1_11comp_targetILNS1_3genE10ELNS1_11target_archE1200ELNS1_3gpuE4ELNS1_3repE0EEENS1_30default_config_static_selectorELNS0_4arch9wavefront6targetE1EEEvSM_.uses_vcc, 0
	.set _ZN7rocprim17ROCPRIM_400000_NS6detail17trampoline_kernelINS0_14default_configENS1_22reduce_config_selectorIbEEZNS1_11reduce_implILb1ES3_N6hipcub16HIPCUB_304000_NS22TransformInputIteratorIb7NonZeroIiEPilEEPllNS8_6detail34convert_binary_result_type_wrapperINS8_3SumESD_lEEEE10hipError_tPvRmT1_T2_T3_mT4_P12ihipStream_tbEUlT_E1_NS1_11comp_targetILNS1_3genE10ELNS1_11target_archE1200ELNS1_3gpuE4ELNS1_3repE0EEENS1_30default_config_static_selectorELNS0_4arch9wavefront6targetE1EEEvSM_.uses_flat_scratch, 0
	.set _ZN7rocprim17ROCPRIM_400000_NS6detail17trampoline_kernelINS0_14default_configENS1_22reduce_config_selectorIbEEZNS1_11reduce_implILb1ES3_N6hipcub16HIPCUB_304000_NS22TransformInputIteratorIb7NonZeroIiEPilEEPllNS8_6detail34convert_binary_result_type_wrapperINS8_3SumESD_lEEEE10hipError_tPvRmT1_T2_T3_mT4_P12ihipStream_tbEUlT_E1_NS1_11comp_targetILNS1_3genE10ELNS1_11target_archE1200ELNS1_3gpuE4ELNS1_3repE0EEENS1_30default_config_static_selectorELNS0_4arch9wavefront6targetE1EEEvSM_.has_dyn_sized_stack, 0
	.set _ZN7rocprim17ROCPRIM_400000_NS6detail17trampoline_kernelINS0_14default_configENS1_22reduce_config_selectorIbEEZNS1_11reduce_implILb1ES3_N6hipcub16HIPCUB_304000_NS22TransformInputIteratorIb7NonZeroIiEPilEEPllNS8_6detail34convert_binary_result_type_wrapperINS8_3SumESD_lEEEE10hipError_tPvRmT1_T2_T3_mT4_P12ihipStream_tbEUlT_E1_NS1_11comp_targetILNS1_3genE10ELNS1_11target_archE1200ELNS1_3gpuE4ELNS1_3repE0EEENS1_30default_config_static_selectorELNS0_4arch9wavefront6targetE1EEEvSM_.has_recursion, 0
	.set _ZN7rocprim17ROCPRIM_400000_NS6detail17trampoline_kernelINS0_14default_configENS1_22reduce_config_selectorIbEEZNS1_11reduce_implILb1ES3_N6hipcub16HIPCUB_304000_NS22TransformInputIteratorIb7NonZeroIiEPilEEPllNS8_6detail34convert_binary_result_type_wrapperINS8_3SumESD_lEEEE10hipError_tPvRmT1_T2_T3_mT4_P12ihipStream_tbEUlT_E1_NS1_11comp_targetILNS1_3genE10ELNS1_11target_archE1200ELNS1_3gpuE4ELNS1_3repE0EEENS1_30default_config_static_selectorELNS0_4arch9wavefront6targetE1EEEvSM_.has_indirect_call, 0
	.section	.AMDGPU.csdata,"",@progbits
; Kernel info:
; codeLenInByte = 0
; TotalNumSgprs: 6
; NumVgprs: 0
; NumAgprs: 0
; TotalNumVgprs: 0
; ScratchSize: 0
; MemoryBound: 0
; FloatMode: 240
; IeeeMode: 1
; LDSByteSize: 0 bytes/workgroup (compile time only)
; SGPRBlocks: 0
; VGPRBlocks: 0
; NumSGPRsForWavesPerEU: 6
; NumVGPRsForWavesPerEU: 1
; AccumOffset: 4
; Occupancy: 8
; WaveLimiterHint : 0
; COMPUTE_PGM_RSRC2:SCRATCH_EN: 0
; COMPUTE_PGM_RSRC2:USER_SGPR: 2
; COMPUTE_PGM_RSRC2:TRAP_HANDLER: 0
; COMPUTE_PGM_RSRC2:TGID_X_EN: 1
; COMPUTE_PGM_RSRC2:TGID_Y_EN: 0
; COMPUTE_PGM_RSRC2:TGID_Z_EN: 0
; COMPUTE_PGM_RSRC2:TIDIG_COMP_CNT: 0
; COMPUTE_PGM_RSRC3_GFX90A:ACCUM_OFFSET: 0
; COMPUTE_PGM_RSRC3_GFX90A:TG_SPLIT: 0
	.section	.text._ZN7rocprim17ROCPRIM_400000_NS6detail17trampoline_kernelINS0_14default_configENS1_22reduce_config_selectorIbEEZNS1_11reduce_implILb1ES3_N6hipcub16HIPCUB_304000_NS22TransformInputIteratorIb7NonZeroIiEPilEEPllNS8_6detail34convert_binary_result_type_wrapperINS8_3SumESD_lEEEE10hipError_tPvRmT1_T2_T3_mT4_P12ihipStream_tbEUlT_E1_NS1_11comp_targetILNS1_3genE9ELNS1_11target_archE1100ELNS1_3gpuE3ELNS1_3repE0EEENS1_30default_config_static_selectorELNS0_4arch9wavefront6targetE1EEEvSM_,"axG",@progbits,_ZN7rocprim17ROCPRIM_400000_NS6detail17trampoline_kernelINS0_14default_configENS1_22reduce_config_selectorIbEEZNS1_11reduce_implILb1ES3_N6hipcub16HIPCUB_304000_NS22TransformInputIteratorIb7NonZeroIiEPilEEPllNS8_6detail34convert_binary_result_type_wrapperINS8_3SumESD_lEEEE10hipError_tPvRmT1_T2_T3_mT4_P12ihipStream_tbEUlT_E1_NS1_11comp_targetILNS1_3genE9ELNS1_11target_archE1100ELNS1_3gpuE3ELNS1_3repE0EEENS1_30default_config_static_selectorELNS0_4arch9wavefront6targetE1EEEvSM_,comdat
	.protected	_ZN7rocprim17ROCPRIM_400000_NS6detail17trampoline_kernelINS0_14default_configENS1_22reduce_config_selectorIbEEZNS1_11reduce_implILb1ES3_N6hipcub16HIPCUB_304000_NS22TransformInputIteratorIb7NonZeroIiEPilEEPllNS8_6detail34convert_binary_result_type_wrapperINS8_3SumESD_lEEEE10hipError_tPvRmT1_T2_T3_mT4_P12ihipStream_tbEUlT_E1_NS1_11comp_targetILNS1_3genE9ELNS1_11target_archE1100ELNS1_3gpuE3ELNS1_3repE0EEENS1_30default_config_static_selectorELNS0_4arch9wavefront6targetE1EEEvSM_ ; -- Begin function _ZN7rocprim17ROCPRIM_400000_NS6detail17trampoline_kernelINS0_14default_configENS1_22reduce_config_selectorIbEEZNS1_11reduce_implILb1ES3_N6hipcub16HIPCUB_304000_NS22TransformInputIteratorIb7NonZeroIiEPilEEPllNS8_6detail34convert_binary_result_type_wrapperINS8_3SumESD_lEEEE10hipError_tPvRmT1_T2_T3_mT4_P12ihipStream_tbEUlT_E1_NS1_11comp_targetILNS1_3genE9ELNS1_11target_archE1100ELNS1_3gpuE3ELNS1_3repE0EEENS1_30default_config_static_selectorELNS0_4arch9wavefront6targetE1EEEvSM_
	.globl	_ZN7rocprim17ROCPRIM_400000_NS6detail17trampoline_kernelINS0_14default_configENS1_22reduce_config_selectorIbEEZNS1_11reduce_implILb1ES3_N6hipcub16HIPCUB_304000_NS22TransformInputIteratorIb7NonZeroIiEPilEEPllNS8_6detail34convert_binary_result_type_wrapperINS8_3SumESD_lEEEE10hipError_tPvRmT1_T2_T3_mT4_P12ihipStream_tbEUlT_E1_NS1_11comp_targetILNS1_3genE9ELNS1_11target_archE1100ELNS1_3gpuE3ELNS1_3repE0EEENS1_30default_config_static_selectorELNS0_4arch9wavefront6targetE1EEEvSM_
	.p2align	8
	.type	_ZN7rocprim17ROCPRIM_400000_NS6detail17trampoline_kernelINS0_14default_configENS1_22reduce_config_selectorIbEEZNS1_11reduce_implILb1ES3_N6hipcub16HIPCUB_304000_NS22TransformInputIteratorIb7NonZeroIiEPilEEPllNS8_6detail34convert_binary_result_type_wrapperINS8_3SumESD_lEEEE10hipError_tPvRmT1_T2_T3_mT4_P12ihipStream_tbEUlT_E1_NS1_11comp_targetILNS1_3genE9ELNS1_11target_archE1100ELNS1_3gpuE3ELNS1_3repE0EEENS1_30default_config_static_selectorELNS0_4arch9wavefront6targetE1EEEvSM_,@function
_ZN7rocprim17ROCPRIM_400000_NS6detail17trampoline_kernelINS0_14default_configENS1_22reduce_config_selectorIbEEZNS1_11reduce_implILb1ES3_N6hipcub16HIPCUB_304000_NS22TransformInputIteratorIb7NonZeroIiEPilEEPllNS8_6detail34convert_binary_result_type_wrapperINS8_3SumESD_lEEEE10hipError_tPvRmT1_T2_T3_mT4_P12ihipStream_tbEUlT_E1_NS1_11comp_targetILNS1_3genE9ELNS1_11target_archE1100ELNS1_3gpuE3ELNS1_3repE0EEENS1_30default_config_static_selectorELNS0_4arch9wavefront6targetE1EEEvSM_: ; @_ZN7rocprim17ROCPRIM_400000_NS6detail17trampoline_kernelINS0_14default_configENS1_22reduce_config_selectorIbEEZNS1_11reduce_implILb1ES3_N6hipcub16HIPCUB_304000_NS22TransformInputIteratorIb7NonZeroIiEPilEEPllNS8_6detail34convert_binary_result_type_wrapperINS8_3SumESD_lEEEE10hipError_tPvRmT1_T2_T3_mT4_P12ihipStream_tbEUlT_E1_NS1_11comp_targetILNS1_3genE9ELNS1_11target_archE1100ELNS1_3gpuE3ELNS1_3repE0EEENS1_30default_config_static_selectorELNS0_4arch9wavefront6targetE1EEEvSM_
; %bb.0:
	.section	.rodata,"a",@progbits
	.p2align	6, 0x0
	.amdhsa_kernel _ZN7rocprim17ROCPRIM_400000_NS6detail17trampoline_kernelINS0_14default_configENS1_22reduce_config_selectorIbEEZNS1_11reduce_implILb1ES3_N6hipcub16HIPCUB_304000_NS22TransformInputIteratorIb7NonZeroIiEPilEEPllNS8_6detail34convert_binary_result_type_wrapperINS8_3SumESD_lEEEE10hipError_tPvRmT1_T2_T3_mT4_P12ihipStream_tbEUlT_E1_NS1_11comp_targetILNS1_3genE9ELNS1_11target_archE1100ELNS1_3gpuE3ELNS1_3repE0EEENS1_30default_config_static_selectorELNS0_4arch9wavefront6targetE1EEEvSM_
		.amdhsa_group_segment_fixed_size 0
		.amdhsa_private_segment_fixed_size 0
		.amdhsa_kernarg_size 56
		.amdhsa_user_sgpr_count 2
		.amdhsa_user_sgpr_dispatch_ptr 0
		.amdhsa_user_sgpr_queue_ptr 0
		.amdhsa_user_sgpr_kernarg_segment_ptr 1
		.amdhsa_user_sgpr_dispatch_id 0
		.amdhsa_user_sgpr_kernarg_preload_length 0
		.amdhsa_user_sgpr_kernarg_preload_offset 0
		.amdhsa_user_sgpr_private_segment_size 0
		.amdhsa_uses_dynamic_stack 0
		.amdhsa_enable_private_segment 0
		.amdhsa_system_sgpr_workgroup_id_x 1
		.amdhsa_system_sgpr_workgroup_id_y 0
		.amdhsa_system_sgpr_workgroup_id_z 0
		.amdhsa_system_sgpr_workgroup_info 0
		.amdhsa_system_vgpr_workitem_id 0
		.amdhsa_next_free_vgpr 1
		.amdhsa_next_free_sgpr 0
		.amdhsa_accum_offset 4
		.amdhsa_reserve_vcc 0
		.amdhsa_float_round_mode_32 0
		.amdhsa_float_round_mode_16_64 0
		.amdhsa_float_denorm_mode_32 3
		.amdhsa_float_denorm_mode_16_64 3
		.amdhsa_dx10_clamp 1
		.amdhsa_ieee_mode 1
		.amdhsa_fp16_overflow 0
		.amdhsa_tg_split 0
		.amdhsa_exception_fp_ieee_invalid_op 0
		.amdhsa_exception_fp_denorm_src 0
		.amdhsa_exception_fp_ieee_div_zero 0
		.amdhsa_exception_fp_ieee_overflow 0
		.amdhsa_exception_fp_ieee_underflow 0
		.amdhsa_exception_fp_ieee_inexact 0
		.amdhsa_exception_int_div_zero 0
	.end_amdhsa_kernel
	.section	.text._ZN7rocprim17ROCPRIM_400000_NS6detail17trampoline_kernelINS0_14default_configENS1_22reduce_config_selectorIbEEZNS1_11reduce_implILb1ES3_N6hipcub16HIPCUB_304000_NS22TransformInputIteratorIb7NonZeroIiEPilEEPllNS8_6detail34convert_binary_result_type_wrapperINS8_3SumESD_lEEEE10hipError_tPvRmT1_T2_T3_mT4_P12ihipStream_tbEUlT_E1_NS1_11comp_targetILNS1_3genE9ELNS1_11target_archE1100ELNS1_3gpuE3ELNS1_3repE0EEENS1_30default_config_static_selectorELNS0_4arch9wavefront6targetE1EEEvSM_,"axG",@progbits,_ZN7rocprim17ROCPRIM_400000_NS6detail17trampoline_kernelINS0_14default_configENS1_22reduce_config_selectorIbEEZNS1_11reduce_implILb1ES3_N6hipcub16HIPCUB_304000_NS22TransformInputIteratorIb7NonZeroIiEPilEEPllNS8_6detail34convert_binary_result_type_wrapperINS8_3SumESD_lEEEE10hipError_tPvRmT1_T2_T3_mT4_P12ihipStream_tbEUlT_E1_NS1_11comp_targetILNS1_3genE9ELNS1_11target_archE1100ELNS1_3gpuE3ELNS1_3repE0EEENS1_30default_config_static_selectorELNS0_4arch9wavefront6targetE1EEEvSM_,comdat
.Lfunc_end183:
	.size	_ZN7rocprim17ROCPRIM_400000_NS6detail17trampoline_kernelINS0_14default_configENS1_22reduce_config_selectorIbEEZNS1_11reduce_implILb1ES3_N6hipcub16HIPCUB_304000_NS22TransformInputIteratorIb7NonZeroIiEPilEEPllNS8_6detail34convert_binary_result_type_wrapperINS8_3SumESD_lEEEE10hipError_tPvRmT1_T2_T3_mT4_P12ihipStream_tbEUlT_E1_NS1_11comp_targetILNS1_3genE9ELNS1_11target_archE1100ELNS1_3gpuE3ELNS1_3repE0EEENS1_30default_config_static_selectorELNS0_4arch9wavefront6targetE1EEEvSM_, .Lfunc_end183-_ZN7rocprim17ROCPRIM_400000_NS6detail17trampoline_kernelINS0_14default_configENS1_22reduce_config_selectorIbEEZNS1_11reduce_implILb1ES3_N6hipcub16HIPCUB_304000_NS22TransformInputIteratorIb7NonZeroIiEPilEEPllNS8_6detail34convert_binary_result_type_wrapperINS8_3SumESD_lEEEE10hipError_tPvRmT1_T2_T3_mT4_P12ihipStream_tbEUlT_E1_NS1_11comp_targetILNS1_3genE9ELNS1_11target_archE1100ELNS1_3gpuE3ELNS1_3repE0EEENS1_30default_config_static_selectorELNS0_4arch9wavefront6targetE1EEEvSM_
                                        ; -- End function
	.set _ZN7rocprim17ROCPRIM_400000_NS6detail17trampoline_kernelINS0_14default_configENS1_22reduce_config_selectorIbEEZNS1_11reduce_implILb1ES3_N6hipcub16HIPCUB_304000_NS22TransformInputIteratorIb7NonZeroIiEPilEEPllNS8_6detail34convert_binary_result_type_wrapperINS8_3SumESD_lEEEE10hipError_tPvRmT1_T2_T3_mT4_P12ihipStream_tbEUlT_E1_NS1_11comp_targetILNS1_3genE9ELNS1_11target_archE1100ELNS1_3gpuE3ELNS1_3repE0EEENS1_30default_config_static_selectorELNS0_4arch9wavefront6targetE1EEEvSM_.num_vgpr, 0
	.set _ZN7rocprim17ROCPRIM_400000_NS6detail17trampoline_kernelINS0_14default_configENS1_22reduce_config_selectorIbEEZNS1_11reduce_implILb1ES3_N6hipcub16HIPCUB_304000_NS22TransformInputIteratorIb7NonZeroIiEPilEEPllNS8_6detail34convert_binary_result_type_wrapperINS8_3SumESD_lEEEE10hipError_tPvRmT1_T2_T3_mT4_P12ihipStream_tbEUlT_E1_NS1_11comp_targetILNS1_3genE9ELNS1_11target_archE1100ELNS1_3gpuE3ELNS1_3repE0EEENS1_30default_config_static_selectorELNS0_4arch9wavefront6targetE1EEEvSM_.num_agpr, 0
	.set _ZN7rocprim17ROCPRIM_400000_NS6detail17trampoline_kernelINS0_14default_configENS1_22reduce_config_selectorIbEEZNS1_11reduce_implILb1ES3_N6hipcub16HIPCUB_304000_NS22TransformInputIteratorIb7NonZeroIiEPilEEPllNS8_6detail34convert_binary_result_type_wrapperINS8_3SumESD_lEEEE10hipError_tPvRmT1_T2_T3_mT4_P12ihipStream_tbEUlT_E1_NS1_11comp_targetILNS1_3genE9ELNS1_11target_archE1100ELNS1_3gpuE3ELNS1_3repE0EEENS1_30default_config_static_selectorELNS0_4arch9wavefront6targetE1EEEvSM_.numbered_sgpr, 0
	.set _ZN7rocprim17ROCPRIM_400000_NS6detail17trampoline_kernelINS0_14default_configENS1_22reduce_config_selectorIbEEZNS1_11reduce_implILb1ES3_N6hipcub16HIPCUB_304000_NS22TransformInputIteratorIb7NonZeroIiEPilEEPllNS8_6detail34convert_binary_result_type_wrapperINS8_3SumESD_lEEEE10hipError_tPvRmT1_T2_T3_mT4_P12ihipStream_tbEUlT_E1_NS1_11comp_targetILNS1_3genE9ELNS1_11target_archE1100ELNS1_3gpuE3ELNS1_3repE0EEENS1_30default_config_static_selectorELNS0_4arch9wavefront6targetE1EEEvSM_.num_named_barrier, 0
	.set _ZN7rocprim17ROCPRIM_400000_NS6detail17trampoline_kernelINS0_14default_configENS1_22reduce_config_selectorIbEEZNS1_11reduce_implILb1ES3_N6hipcub16HIPCUB_304000_NS22TransformInputIteratorIb7NonZeroIiEPilEEPllNS8_6detail34convert_binary_result_type_wrapperINS8_3SumESD_lEEEE10hipError_tPvRmT1_T2_T3_mT4_P12ihipStream_tbEUlT_E1_NS1_11comp_targetILNS1_3genE9ELNS1_11target_archE1100ELNS1_3gpuE3ELNS1_3repE0EEENS1_30default_config_static_selectorELNS0_4arch9wavefront6targetE1EEEvSM_.private_seg_size, 0
	.set _ZN7rocprim17ROCPRIM_400000_NS6detail17trampoline_kernelINS0_14default_configENS1_22reduce_config_selectorIbEEZNS1_11reduce_implILb1ES3_N6hipcub16HIPCUB_304000_NS22TransformInputIteratorIb7NonZeroIiEPilEEPllNS8_6detail34convert_binary_result_type_wrapperINS8_3SumESD_lEEEE10hipError_tPvRmT1_T2_T3_mT4_P12ihipStream_tbEUlT_E1_NS1_11comp_targetILNS1_3genE9ELNS1_11target_archE1100ELNS1_3gpuE3ELNS1_3repE0EEENS1_30default_config_static_selectorELNS0_4arch9wavefront6targetE1EEEvSM_.uses_vcc, 0
	.set _ZN7rocprim17ROCPRIM_400000_NS6detail17trampoline_kernelINS0_14default_configENS1_22reduce_config_selectorIbEEZNS1_11reduce_implILb1ES3_N6hipcub16HIPCUB_304000_NS22TransformInputIteratorIb7NonZeroIiEPilEEPllNS8_6detail34convert_binary_result_type_wrapperINS8_3SumESD_lEEEE10hipError_tPvRmT1_T2_T3_mT4_P12ihipStream_tbEUlT_E1_NS1_11comp_targetILNS1_3genE9ELNS1_11target_archE1100ELNS1_3gpuE3ELNS1_3repE0EEENS1_30default_config_static_selectorELNS0_4arch9wavefront6targetE1EEEvSM_.uses_flat_scratch, 0
	.set _ZN7rocprim17ROCPRIM_400000_NS6detail17trampoline_kernelINS0_14default_configENS1_22reduce_config_selectorIbEEZNS1_11reduce_implILb1ES3_N6hipcub16HIPCUB_304000_NS22TransformInputIteratorIb7NonZeroIiEPilEEPllNS8_6detail34convert_binary_result_type_wrapperINS8_3SumESD_lEEEE10hipError_tPvRmT1_T2_T3_mT4_P12ihipStream_tbEUlT_E1_NS1_11comp_targetILNS1_3genE9ELNS1_11target_archE1100ELNS1_3gpuE3ELNS1_3repE0EEENS1_30default_config_static_selectorELNS0_4arch9wavefront6targetE1EEEvSM_.has_dyn_sized_stack, 0
	.set _ZN7rocprim17ROCPRIM_400000_NS6detail17trampoline_kernelINS0_14default_configENS1_22reduce_config_selectorIbEEZNS1_11reduce_implILb1ES3_N6hipcub16HIPCUB_304000_NS22TransformInputIteratorIb7NonZeroIiEPilEEPllNS8_6detail34convert_binary_result_type_wrapperINS8_3SumESD_lEEEE10hipError_tPvRmT1_T2_T3_mT4_P12ihipStream_tbEUlT_E1_NS1_11comp_targetILNS1_3genE9ELNS1_11target_archE1100ELNS1_3gpuE3ELNS1_3repE0EEENS1_30default_config_static_selectorELNS0_4arch9wavefront6targetE1EEEvSM_.has_recursion, 0
	.set _ZN7rocprim17ROCPRIM_400000_NS6detail17trampoline_kernelINS0_14default_configENS1_22reduce_config_selectorIbEEZNS1_11reduce_implILb1ES3_N6hipcub16HIPCUB_304000_NS22TransformInputIteratorIb7NonZeroIiEPilEEPllNS8_6detail34convert_binary_result_type_wrapperINS8_3SumESD_lEEEE10hipError_tPvRmT1_T2_T3_mT4_P12ihipStream_tbEUlT_E1_NS1_11comp_targetILNS1_3genE9ELNS1_11target_archE1100ELNS1_3gpuE3ELNS1_3repE0EEENS1_30default_config_static_selectorELNS0_4arch9wavefront6targetE1EEEvSM_.has_indirect_call, 0
	.section	.AMDGPU.csdata,"",@progbits
; Kernel info:
; codeLenInByte = 0
; TotalNumSgprs: 6
; NumVgprs: 0
; NumAgprs: 0
; TotalNumVgprs: 0
; ScratchSize: 0
; MemoryBound: 0
; FloatMode: 240
; IeeeMode: 1
; LDSByteSize: 0 bytes/workgroup (compile time only)
; SGPRBlocks: 0
; VGPRBlocks: 0
; NumSGPRsForWavesPerEU: 6
; NumVGPRsForWavesPerEU: 1
; AccumOffset: 4
; Occupancy: 8
; WaveLimiterHint : 0
; COMPUTE_PGM_RSRC2:SCRATCH_EN: 0
; COMPUTE_PGM_RSRC2:USER_SGPR: 2
; COMPUTE_PGM_RSRC2:TRAP_HANDLER: 0
; COMPUTE_PGM_RSRC2:TGID_X_EN: 1
; COMPUTE_PGM_RSRC2:TGID_Y_EN: 0
; COMPUTE_PGM_RSRC2:TGID_Z_EN: 0
; COMPUTE_PGM_RSRC2:TIDIG_COMP_CNT: 0
; COMPUTE_PGM_RSRC3_GFX90A:ACCUM_OFFSET: 0
; COMPUTE_PGM_RSRC3_GFX90A:TG_SPLIT: 0
	.section	.text._ZN7rocprim17ROCPRIM_400000_NS6detail17trampoline_kernelINS0_14default_configENS1_22reduce_config_selectorIbEEZNS1_11reduce_implILb1ES3_N6hipcub16HIPCUB_304000_NS22TransformInputIteratorIb7NonZeroIiEPilEEPllNS8_6detail34convert_binary_result_type_wrapperINS8_3SumESD_lEEEE10hipError_tPvRmT1_T2_T3_mT4_P12ihipStream_tbEUlT_E1_NS1_11comp_targetILNS1_3genE8ELNS1_11target_archE1030ELNS1_3gpuE2ELNS1_3repE0EEENS1_30default_config_static_selectorELNS0_4arch9wavefront6targetE1EEEvSM_,"axG",@progbits,_ZN7rocprim17ROCPRIM_400000_NS6detail17trampoline_kernelINS0_14default_configENS1_22reduce_config_selectorIbEEZNS1_11reduce_implILb1ES3_N6hipcub16HIPCUB_304000_NS22TransformInputIteratorIb7NonZeroIiEPilEEPllNS8_6detail34convert_binary_result_type_wrapperINS8_3SumESD_lEEEE10hipError_tPvRmT1_T2_T3_mT4_P12ihipStream_tbEUlT_E1_NS1_11comp_targetILNS1_3genE8ELNS1_11target_archE1030ELNS1_3gpuE2ELNS1_3repE0EEENS1_30default_config_static_selectorELNS0_4arch9wavefront6targetE1EEEvSM_,comdat
	.protected	_ZN7rocprim17ROCPRIM_400000_NS6detail17trampoline_kernelINS0_14default_configENS1_22reduce_config_selectorIbEEZNS1_11reduce_implILb1ES3_N6hipcub16HIPCUB_304000_NS22TransformInputIteratorIb7NonZeroIiEPilEEPllNS8_6detail34convert_binary_result_type_wrapperINS8_3SumESD_lEEEE10hipError_tPvRmT1_T2_T3_mT4_P12ihipStream_tbEUlT_E1_NS1_11comp_targetILNS1_3genE8ELNS1_11target_archE1030ELNS1_3gpuE2ELNS1_3repE0EEENS1_30default_config_static_selectorELNS0_4arch9wavefront6targetE1EEEvSM_ ; -- Begin function _ZN7rocprim17ROCPRIM_400000_NS6detail17trampoline_kernelINS0_14default_configENS1_22reduce_config_selectorIbEEZNS1_11reduce_implILb1ES3_N6hipcub16HIPCUB_304000_NS22TransformInputIteratorIb7NonZeroIiEPilEEPllNS8_6detail34convert_binary_result_type_wrapperINS8_3SumESD_lEEEE10hipError_tPvRmT1_T2_T3_mT4_P12ihipStream_tbEUlT_E1_NS1_11comp_targetILNS1_3genE8ELNS1_11target_archE1030ELNS1_3gpuE2ELNS1_3repE0EEENS1_30default_config_static_selectorELNS0_4arch9wavefront6targetE1EEEvSM_
	.globl	_ZN7rocprim17ROCPRIM_400000_NS6detail17trampoline_kernelINS0_14default_configENS1_22reduce_config_selectorIbEEZNS1_11reduce_implILb1ES3_N6hipcub16HIPCUB_304000_NS22TransformInputIteratorIb7NonZeroIiEPilEEPllNS8_6detail34convert_binary_result_type_wrapperINS8_3SumESD_lEEEE10hipError_tPvRmT1_T2_T3_mT4_P12ihipStream_tbEUlT_E1_NS1_11comp_targetILNS1_3genE8ELNS1_11target_archE1030ELNS1_3gpuE2ELNS1_3repE0EEENS1_30default_config_static_selectorELNS0_4arch9wavefront6targetE1EEEvSM_
	.p2align	8
	.type	_ZN7rocprim17ROCPRIM_400000_NS6detail17trampoline_kernelINS0_14default_configENS1_22reduce_config_selectorIbEEZNS1_11reduce_implILb1ES3_N6hipcub16HIPCUB_304000_NS22TransformInputIteratorIb7NonZeroIiEPilEEPllNS8_6detail34convert_binary_result_type_wrapperINS8_3SumESD_lEEEE10hipError_tPvRmT1_T2_T3_mT4_P12ihipStream_tbEUlT_E1_NS1_11comp_targetILNS1_3genE8ELNS1_11target_archE1030ELNS1_3gpuE2ELNS1_3repE0EEENS1_30default_config_static_selectorELNS0_4arch9wavefront6targetE1EEEvSM_,@function
_ZN7rocprim17ROCPRIM_400000_NS6detail17trampoline_kernelINS0_14default_configENS1_22reduce_config_selectorIbEEZNS1_11reduce_implILb1ES3_N6hipcub16HIPCUB_304000_NS22TransformInputIteratorIb7NonZeroIiEPilEEPllNS8_6detail34convert_binary_result_type_wrapperINS8_3SumESD_lEEEE10hipError_tPvRmT1_T2_T3_mT4_P12ihipStream_tbEUlT_E1_NS1_11comp_targetILNS1_3genE8ELNS1_11target_archE1030ELNS1_3gpuE2ELNS1_3repE0EEENS1_30default_config_static_selectorELNS0_4arch9wavefront6targetE1EEEvSM_: ; @_ZN7rocprim17ROCPRIM_400000_NS6detail17trampoline_kernelINS0_14default_configENS1_22reduce_config_selectorIbEEZNS1_11reduce_implILb1ES3_N6hipcub16HIPCUB_304000_NS22TransformInputIteratorIb7NonZeroIiEPilEEPllNS8_6detail34convert_binary_result_type_wrapperINS8_3SumESD_lEEEE10hipError_tPvRmT1_T2_T3_mT4_P12ihipStream_tbEUlT_E1_NS1_11comp_targetILNS1_3genE8ELNS1_11target_archE1030ELNS1_3gpuE2ELNS1_3repE0EEENS1_30default_config_static_selectorELNS0_4arch9wavefront6targetE1EEEvSM_
; %bb.0:
	.section	.rodata,"a",@progbits
	.p2align	6, 0x0
	.amdhsa_kernel _ZN7rocprim17ROCPRIM_400000_NS6detail17trampoline_kernelINS0_14default_configENS1_22reduce_config_selectorIbEEZNS1_11reduce_implILb1ES3_N6hipcub16HIPCUB_304000_NS22TransformInputIteratorIb7NonZeroIiEPilEEPllNS8_6detail34convert_binary_result_type_wrapperINS8_3SumESD_lEEEE10hipError_tPvRmT1_T2_T3_mT4_P12ihipStream_tbEUlT_E1_NS1_11comp_targetILNS1_3genE8ELNS1_11target_archE1030ELNS1_3gpuE2ELNS1_3repE0EEENS1_30default_config_static_selectorELNS0_4arch9wavefront6targetE1EEEvSM_
		.amdhsa_group_segment_fixed_size 0
		.amdhsa_private_segment_fixed_size 0
		.amdhsa_kernarg_size 56
		.amdhsa_user_sgpr_count 2
		.amdhsa_user_sgpr_dispatch_ptr 0
		.amdhsa_user_sgpr_queue_ptr 0
		.amdhsa_user_sgpr_kernarg_segment_ptr 1
		.amdhsa_user_sgpr_dispatch_id 0
		.amdhsa_user_sgpr_kernarg_preload_length 0
		.amdhsa_user_sgpr_kernarg_preload_offset 0
		.amdhsa_user_sgpr_private_segment_size 0
		.amdhsa_uses_dynamic_stack 0
		.amdhsa_enable_private_segment 0
		.amdhsa_system_sgpr_workgroup_id_x 1
		.amdhsa_system_sgpr_workgroup_id_y 0
		.amdhsa_system_sgpr_workgroup_id_z 0
		.amdhsa_system_sgpr_workgroup_info 0
		.amdhsa_system_vgpr_workitem_id 0
		.amdhsa_next_free_vgpr 1
		.amdhsa_next_free_sgpr 0
		.amdhsa_accum_offset 4
		.amdhsa_reserve_vcc 0
		.amdhsa_float_round_mode_32 0
		.amdhsa_float_round_mode_16_64 0
		.amdhsa_float_denorm_mode_32 3
		.amdhsa_float_denorm_mode_16_64 3
		.amdhsa_dx10_clamp 1
		.amdhsa_ieee_mode 1
		.amdhsa_fp16_overflow 0
		.amdhsa_tg_split 0
		.amdhsa_exception_fp_ieee_invalid_op 0
		.amdhsa_exception_fp_denorm_src 0
		.amdhsa_exception_fp_ieee_div_zero 0
		.amdhsa_exception_fp_ieee_overflow 0
		.amdhsa_exception_fp_ieee_underflow 0
		.amdhsa_exception_fp_ieee_inexact 0
		.amdhsa_exception_int_div_zero 0
	.end_amdhsa_kernel
	.section	.text._ZN7rocprim17ROCPRIM_400000_NS6detail17trampoline_kernelINS0_14default_configENS1_22reduce_config_selectorIbEEZNS1_11reduce_implILb1ES3_N6hipcub16HIPCUB_304000_NS22TransformInputIteratorIb7NonZeroIiEPilEEPllNS8_6detail34convert_binary_result_type_wrapperINS8_3SumESD_lEEEE10hipError_tPvRmT1_T2_T3_mT4_P12ihipStream_tbEUlT_E1_NS1_11comp_targetILNS1_3genE8ELNS1_11target_archE1030ELNS1_3gpuE2ELNS1_3repE0EEENS1_30default_config_static_selectorELNS0_4arch9wavefront6targetE1EEEvSM_,"axG",@progbits,_ZN7rocprim17ROCPRIM_400000_NS6detail17trampoline_kernelINS0_14default_configENS1_22reduce_config_selectorIbEEZNS1_11reduce_implILb1ES3_N6hipcub16HIPCUB_304000_NS22TransformInputIteratorIb7NonZeroIiEPilEEPllNS8_6detail34convert_binary_result_type_wrapperINS8_3SumESD_lEEEE10hipError_tPvRmT1_T2_T3_mT4_P12ihipStream_tbEUlT_E1_NS1_11comp_targetILNS1_3genE8ELNS1_11target_archE1030ELNS1_3gpuE2ELNS1_3repE0EEENS1_30default_config_static_selectorELNS0_4arch9wavefront6targetE1EEEvSM_,comdat
.Lfunc_end184:
	.size	_ZN7rocprim17ROCPRIM_400000_NS6detail17trampoline_kernelINS0_14default_configENS1_22reduce_config_selectorIbEEZNS1_11reduce_implILb1ES3_N6hipcub16HIPCUB_304000_NS22TransformInputIteratorIb7NonZeroIiEPilEEPllNS8_6detail34convert_binary_result_type_wrapperINS8_3SumESD_lEEEE10hipError_tPvRmT1_T2_T3_mT4_P12ihipStream_tbEUlT_E1_NS1_11comp_targetILNS1_3genE8ELNS1_11target_archE1030ELNS1_3gpuE2ELNS1_3repE0EEENS1_30default_config_static_selectorELNS0_4arch9wavefront6targetE1EEEvSM_, .Lfunc_end184-_ZN7rocprim17ROCPRIM_400000_NS6detail17trampoline_kernelINS0_14default_configENS1_22reduce_config_selectorIbEEZNS1_11reduce_implILb1ES3_N6hipcub16HIPCUB_304000_NS22TransformInputIteratorIb7NonZeroIiEPilEEPllNS8_6detail34convert_binary_result_type_wrapperINS8_3SumESD_lEEEE10hipError_tPvRmT1_T2_T3_mT4_P12ihipStream_tbEUlT_E1_NS1_11comp_targetILNS1_3genE8ELNS1_11target_archE1030ELNS1_3gpuE2ELNS1_3repE0EEENS1_30default_config_static_selectorELNS0_4arch9wavefront6targetE1EEEvSM_
                                        ; -- End function
	.set _ZN7rocprim17ROCPRIM_400000_NS6detail17trampoline_kernelINS0_14default_configENS1_22reduce_config_selectorIbEEZNS1_11reduce_implILb1ES3_N6hipcub16HIPCUB_304000_NS22TransformInputIteratorIb7NonZeroIiEPilEEPllNS8_6detail34convert_binary_result_type_wrapperINS8_3SumESD_lEEEE10hipError_tPvRmT1_T2_T3_mT4_P12ihipStream_tbEUlT_E1_NS1_11comp_targetILNS1_3genE8ELNS1_11target_archE1030ELNS1_3gpuE2ELNS1_3repE0EEENS1_30default_config_static_selectorELNS0_4arch9wavefront6targetE1EEEvSM_.num_vgpr, 0
	.set _ZN7rocprim17ROCPRIM_400000_NS6detail17trampoline_kernelINS0_14default_configENS1_22reduce_config_selectorIbEEZNS1_11reduce_implILb1ES3_N6hipcub16HIPCUB_304000_NS22TransformInputIteratorIb7NonZeroIiEPilEEPllNS8_6detail34convert_binary_result_type_wrapperINS8_3SumESD_lEEEE10hipError_tPvRmT1_T2_T3_mT4_P12ihipStream_tbEUlT_E1_NS1_11comp_targetILNS1_3genE8ELNS1_11target_archE1030ELNS1_3gpuE2ELNS1_3repE0EEENS1_30default_config_static_selectorELNS0_4arch9wavefront6targetE1EEEvSM_.num_agpr, 0
	.set _ZN7rocprim17ROCPRIM_400000_NS6detail17trampoline_kernelINS0_14default_configENS1_22reduce_config_selectorIbEEZNS1_11reduce_implILb1ES3_N6hipcub16HIPCUB_304000_NS22TransformInputIteratorIb7NonZeroIiEPilEEPllNS8_6detail34convert_binary_result_type_wrapperINS8_3SumESD_lEEEE10hipError_tPvRmT1_T2_T3_mT4_P12ihipStream_tbEUlT_E1_NS1_11comp_targetILNS1_3genE8ELNS1_11target_archE1030ELNS1_3gpuE2ELNS1_3repE0EEENS1_30default_config_static_selectorELNS0_4arch9wavefront6targetE1EEEvSM_.numbered_sgpr, 0
	.set _ZN7rocprim17ROCPRIM_400000_NS6detail17trampoline_kernelINS0_14default_configENS1_22reduce_config_selectorIbEEZNS1_11reduce_implILb1ES3_N6hipcub16HIPCUB_304000_NS22TransformInputIteratorIb7NonZeroIiEPilEEPllNS8_6detail34convert_binary_result_type_wrapperINS8_3SumESD_lEEEE10hipError_tPvRmT1_T2_T3_mT4_P12ihipStream_tbEUlT_E1_NS1_11comp_targetILNS1_3genE8ELNS1_11target_archE1030ELNS1_3gpuE2ELNS1_3repE0EEENS1_30default_config_static_selectorELNS0_4arch9wavefront6targetE1EEEvSM_.num_named_barrier, 0
	.set _ZN7rocprim17ROCPRIM_400000_NS6detail17trampoline_kernelINS0_14default_configENS1_22reduce_config_selectorIbEEZNS1_11reduce_implILb1ES3_N6hipcub16HIPCUB_304000_NS22TransformInputIteratorIb7NonZeroIiEPilEEPllNS8_6detail34convert_binary_result_type_wrapperINS8_3SumESD_lEEEE10hipError_tPvRmT1_T2_T3_mT4_P12ihipStream_tbEUlT_E1_NS1_11comp_targetILNS1_3genE8ELNS1_11target_archE1030ELNS1_3gpuE2ELNS1_3repE0EEENS1_30default_config_static_selectorELNS0_4arch9wavefront6targetE1EEEvSM_.private_seg_size, 0
	.set _ZN7rocprim17ROCPRIM_400000_NS6detail17trampoline_kernelINS0_14default_configENS1_22reduce_config_selectorIbEEZNS1_11reduce_implILb1ES3_N6hipcub16HIPCUB_304000_NS22TransformInputIteratorIb7NonZeroIiEPilEEPllNS8_6detail34convert_binary_result_type_wrapperINS8_3SumESD_lEEEE10hipError_tPvRmT1_T2_T3_mT4_P12ihipStream_tbEUlT_E1_NS1_11comp_targetILNS1_3genE8ELNS1_11target_archE1030ELNS1_3gpuE2ELNS1_3repE0EEENS1_30default_config_static_selectorELNS0_4arch9wavefront6targetE1EEEvSM_.uses_vcc, 0
	.set _ZN7rocprim17ROCPRIM_400000_NS6detail17trampoline_kernelINS0_14default_configENS1_22reduce_config_selectorIbEEZNS1_11reduce_implILb1ES3_N6hipcub16HIPCUB_304000_NS22TransformInputIteratorIb7NonZeroIiEPilEEPllNS8_6detail34convert_binary_result_type_wrapperINS8_3SumESD_lEEEE10hipError_tPvRmT1_T2_T3_mT4_P12ihipStream_tbEUlT_E1_NS1_11comp_targetILNS1_3genE8ELNS1_11target_archE1030ELNS1_3gpuE2ELNS1_3repE0EEENS1_30default_config_static_selectorELNS0_4arch9wavefront6targetE1EEEvSM_.uses_flat_scratch, 0
	.set _ZN7rocprim17ROCPRIM_400000_NS6detail17trampoline_kernelINS0_14default_configENS1_22reduce_config_selectorIbEEZNS1_11reduce_implILb1ES3_N6hipcub16HIPCUB_304000_NS22TransformInputIteratorIb7NonZeroIiEPilEEPllNS8_6detail34convert_binary_result_type_wrapperINS8_3SumESD_lEEEE10hipError_tPvRmT1_T2_T3_mT4_P12ihipStream_tbEUlT_E1_NS1_11comp_targetILNS1_3genE8ELNS1_11target_archE1030ELNS1_3gpuE2ELNS1_3repE0EEENS1_30default_config_static_selectorELNS0_4arch9wavefront6targetE1EEEvSM_.has_dyn_sized_stack, 0
	.set _ZN7rocprim17ROCPRIM_400000_NS6detail17trampoline_kernelINS0_14default_configENS1_22reduce_config_selectorIbEEZNS1_11reduce_implILb1ES3_N6hipcub16HIPCUB_304000_NS22TransformInputIteratorIb7NonZeroIiEPilEEPllNS8_6detail34convert_binary_result_type_wrapperINS8_3SumESD_lEEEE10hipError_tPvRmT1_T2_T3_mT4_P12ihipStream_tbEUlT_E1_NS1_11comp_targetILNS1_3genE8ELNS1_11target_archE1030ELNS1_3gpuE2ELNS1_3repE0EEENS1_30default_config_static_selectorELNS0_4arch9wavefront6targetE1EEEvSM_.has_recursion, 0
	.set _ZN7rocprim17ROCPRIM_400000_NS6detail17trampoline_kernelINS0_14default_configENS1_22reduce_config_selectorIbEEZNS1_11reduce_implILb1ES3_N6hipcub16HIPCUB_304000_NS22TransformInputIteratorIb7NonZeroIiEPilEEPllNS8_6detail34convert_binary_result_type_wrapperINS8_3SumESD_lEEEE10hipError_tPvRmT1_T2_T3_mT4_P12ihipStream_tbEUlT_E1_NS1_11comp_targetILNS1_3genE8ELNS1_11target_archE1030ELNS1_3gpuE2ELNS1_3repE0EEENS1_30default_config_static_selectorELNS0_4arch9wavefront6targetE1EEEvSM_.has_indirect_call, 0
	.section	.AMDGPU.csdata,"",@progbits
; Kernel info:
; codeLenInByte = 0
; TotalNumSgprs: 6
; NumVgprs: 0
; NumAgprs: 0
; TotalNumVgprs: 0
; ScratchSize: 0
; MemoryBound: 0
; FloatMode: 240
; IeeeMode: 1
; LDSByteSize: 0 bytes/workgroup (compile time only)
; SGPRBlocks: 0
; VGPRBlocks: 0
; NumSGPRsForWavesPerEU: 6
; NumVGPRsForWavesPerEU: 1
; AccumOffset: 4
; Occupancy: 8
; WaveLimiterHint : 0
; COMPUTE_PGM_RSRC2:SCRATCH_EN: 0
; COMPUTE_PGM_RSRC2:USER_SGPR: 2
; COMPUTE_PGM_RSRC2:TRAP_HANDLER: 0
; COMPUTE_PGM_RSRC2:TGID_X_EN: 1
; COMPUTE_PGM_RSRC2:TGID_Y_EN: 0
; COMPUTE_PGM_RSRC2:TGID_Z_EN: 0
; COMPUTE_PGM_RSRC2:TIDIG_COMP_CNT: 0
; COMPUTE_PGM_RSRC3_GFX90A:ACCUM_OFFSET: 0
; COMPUTE_PGM_RSRC3_GFX90A:TG_SPLIT: 0
	.section	.text._ZN7rocprim17ROCPRIM_400000_NS6detail17trampoline_kernelINS0_14default_configENS1_25partition_config_selectorILNS1_17partition_subalgoE5ElNS0_10empty_typeEbEEZZNS1_14partition_implILS5_5ELb0ES3_mN6hipcub16HIPCUB_304000_NS21CountingInputIteratorIllEEPS6_NSA_22TransformInputIteratorIb7NonZeroIiEPilEENS0_5tupleIJPlS6_EEENSJ_IJSD_SD_EEES6_SK_JS6_EEE10hipError_tPvRmT3_T4_T5_T6_T7_T9_mT8_P12ihipStream_tbDpT10_ENKUlT_T0_E_clISt17integral_constantIbLb0EES16_EEDaS11_S12_EUlS11_E_NS1_11comp_targetILNS1_3genE0ELNS1_11target_archE4294967295ELNS1_3gpuE0ELNS1_3repE0EEENS1_30default_config_static_selectorELNS0_4arch9wavefront6targetE1EEEvT1_,"axG",@progbits,_ZN7rocprim17ROCPRIM_400000_NS6detail17trampoline_kernelINS0_14default_configENS1_25partition_config_selectorILNS1_17partition_subalgoE5ElNS0_10empty_typeEbEEZZNS1_14partition_implILS5_5ELb0ES3_mN6hipcub16HIPCUB_304000_NS21CountingInputIteratorIllEEPS6_NSA_22TransformInputIteratorIb7NonZeroIiEPilEENS0_5tupleIJPlS6_EEENSJ_IJSD_SD_EEES6_SK_JS6_EEE10hipError_tPvRmT3_T4_T5_T6_T7_T9_mT8_P12ihipStream_tbDpT10_ENKUlT_T0_E_clISt17integral_constantIbLb0EES16_EEDaS11_S12_EUlS11_E_NS1_11comp_targetILNS1_3genE0ELNS1_11target_archE4294967295ELNS1_3gpuE0ELNS1_3repE0EEENS1_30default_config_static_selectorELNS0_4arch9wavefront6targetE1EEEvT1_,comdat
	.protected	_ZN7rocprim17ROCPRIM_400000_NS6detail17trampoline_kernelINS0_14default_configENS1_25partition_config_selectorILNS1_17partition_subalgoE5ElNS0_10empty_typeEbEEZZNS1_14partition_implILS5_5ELb0ES3_mN6hipcub16HIPCUB_304000_NS21CountingInputIteratorIllEEPS6_NSA_22TransformInputIteratorIb7NonZeroIiEPilEENS0_5tupleIJPlS6_EEENSJ_IJSD_SD_EEES6_SK_JS6_EEE10hipError_tPvRmT3_T4_T5_T6_T7_T9_mT8_P12ihipStream_tbDpT10_ENKUlT_T0_E_clISt17integral_constantIbLb0EES16_EEDaS11_S12_EUlS11_E_NS1_11comp_targetILNS1_3genE0ELNS1_11target_archE4294967295ELNS1_3gpuE0ELNS1_3repE0EEENS1_30default_config_static_selectorELNS0_4arch9wavefront6targetE1EEEvT1_ ; -- Begin function _ZN7rocprim17ROCPRIM_400000_NS6detail17trampoline_kernelINS0_14default_configENS1_25partition_config_selectorILNS1_17partition_subalgoE5ElNS0_10empty_typeEbEEZZNS1_14partition_implILS5_5ELb0ES3_mN6hipcub16HIPCUB_304000_NS21CountingInputIteratorIllEEPS6_NSA_22TransformInputIteratorIb7NonZeroIiEPilEENS0_5tupleIJPlS6_EEENSJ_IJSD_SD_EEES6_SK_JS6_EEE10hipError_tPvRmT3_T4_T5_T6_T7_T9_mT8_P12ihipStream_tbDpT10_ENKUlT_T0_E_clISt17integral_constantIbLb0EES16_EEDaS11_S12_EUlS11_E_NS1_11comp_targetILNS1_3genE0ELNS1_11target_archE4294967295ELNS1_3gpuE0ELNS1_3repE0EEENS1_30default_config_static_selectorELNS0_4arch9wavefront6targetE1EEEvT1_
	.globl	_ZN7rocprim17ROCPRIM_400000_NS6detail17trampoline_kernelINS0_14default_configENS1_25partition_config_selectorILNS1_17partition_subalgoE5ElNS0_10empty_typeEbEEZZNS1_14partition_implILS5_5ELb0ES3_mN6hipcub16HIPCUB_304000_NS21CountingInputIteratorIllEEPS6_NSA_22TransformInputIteratorIb7NonZeroIiEPilEENS0_5tupleIJPlS6_EEENSJ_IJSD_SD_EEES6_SK_JS6_EEE10hipError_tPvRmT3_T4_T5_T6_T7_T9_mT8_P12ihipStream_tbDpT10_ENKUlT_T0_E_clISt17integral_constantIbLb0EES16_EEDaS11_S12_EUlS11_E_NS1_11comp_targetILNS1_3genE0ELNS1_11target_archE4294967295ELNS1_3gpuE0ELNS1_3repE0EEENS1_30default_config_static_selectorELNS0_4arch9wavefront6targetE1EEEvT1_
	.p2align	8
	.type	_ZN7rocprim17ROCPRIM_400000_NS6detail17trampoline_kernelINS0_14default_configENS1_25partition_config_selectorILNS1_17partition_subalgoE5ElNS0_10empty_typeEbEEZZNS1_14partition_implILS5_5ELb0ES3_mN6hipcub16HIPCUB_304000_NS21CountingInputIteratorIllEEPS6_NSA_22TransformInputIteratorIb7NonZeroIiEPilEENS0_5tupleIJPlS6_EEENSJ_IJSD_SD_EEES6_SK_JS6_EEE10hipError_tPvRmT3_T4_T5_T6_T7_T9_mT8_P12ihipStream_tbDpT10_ENKUlT_T0_E_clISt17integral_constantIbLb0EES16_EEDaS11_S12_EUlS11_E_NS1_11comp_targetILNS1_3genE0ELNS1_11target_archE4294967295ELNS1_3gpuE0ELNS1_3repE0EEENS1_30default_config_static_selectorELNS0_4arch9wavefront6targetE1EEEvT1_,@function
_ZN7rocprim17ROCPRIM_400000_NS6detail17trampoline_kernelINS0_14default_configENS1_25partition_config_selectorILNS1_17partition_subalgoE5ElNS0_10empty_typeEbEEZZNS1_14partition_implILS5_5ELb0ES3_mN6hipcub16HIPCUB_304000_NS21CountingInputIteratorIllEEPS6_NSA_22TransformInputIteratorIb7NonZeroIiEPilEENS0_5tupleIJPlS6_EEENSJ_IJSD_SD_EEES6_SK_JS6_EEE10hipError_tPvRmT3_T4_T5_T6_T7_T9_mT8_P12ihipStream_tbDpT10_ENKUlT_T0_E_clISt17integral_constantIbLb0EES16_EEDaS11_S12_EUlS11_E_NS1_11comp_targetILNS1_3genE0ELNS1_11target_archE4294967295ELNS1_3gpuE0ELNS1_3repE0EEENS1_30default_config_static_selectorELNS0_4arch9wavefront6targetE1EEEvT1_: ; @_ZN7rocprim17ROCPRIM_400000_NS6detail17trampoline_kernelINS0_14default_configENS1_25partition_config_selectorILNS1_17partition_subalgoE5ElNS0_10empty_typeEbEEZZNS1_14partition_implILS5_5ELb0ES3_mN6hipcub16HIPCUB_304000_NS21CountingInputIteratorIllEEPS6_NSA_22TransformInputIteratorIb7NonZeroIiEPilEENS0_5tupleIJPlS6_EEENSJ_IJSD_SD_EEES6_SK_JS6_EEE10hipError_tPvRmT3_T4_T5_T6_T7_T9_mT8_P12ihipStream_tbDpT10_ENKUlT_T0_E_clISt17integral_constantIbLb0EES16_EEDaS11_S12_EUlS11_E_NS1_11comp_targetILNS1_3genE0ELNS1_11target_archE4294967295ELNS1_3gpuE0ELNS1_3repE0EEENS1_30default_config_static_selectorELNS0_4arch9wavefront6targetE1EEEvT1_
; %bb.0:
	s_load_dwordx4 s[4:7], s[0:1], 0x8
	s_load_dwordx2 s[20:21], s[0:1], 0x58
	s_load_dwordx4 s[16:19], s[0:1], 0x48
	s_load_dwordx2 s[10:11], s[0:1], 0x20
	s_load_dword s3, s[0:1], 0x70
	s_waitcnt lgkmcnt(0)
	s_add_u32 s12, s6, s4
	s_addc_u32 s13, s7, s5
	s_load_dwordx2 s[14:15], s[18:19], 0x0
	s_mul_i32 s8, s2, 0x380
	s_mul_i32 s4, s3, 0x380
	s_add_i32 s18, s3, -1
	s_add_i32 s3, s4, s6
	s_sub_i32 s3, s20, s3
	s_add_u32 s4, s6, s4
	s_addc_u32 s5, s7, 0
	v_mov_b64_e32 v[2:3], s[4:5]
	s_cmp_eq_u32 s2, s18
	v_cmp_le_u64_e32 vcc, s[20:21], v[2:3]
	s_cselect_b64 s[18:19], -1, 0
	s_and_b64 s[20:21], s[18:19], vcc
	s_xor_b64 s[20:21], s[20:21], -1
	s_mov_b32 s9, 0
	s_mov_b64 s[4:5], -1
	s_and_b64 vcc, exec, s[20:21]
	s_cbranch_vccz .LBB185_2
; %bb.1:
	s_add_u32 s4, s12, s8
	v_mov_b32_e32 v1, 0
	s_addc_u32 s5, s13, 0
	v_lshl_add_u64 v[2:3], s[4:5], 0, v[0:1]
	s_mov_b64 s[4:5], 0x80
	v_lshl_add_u64 v[4:5], v[2:3], 0, s[4:5]
	s_mov_b64 s[4:5], 0x100
	;; [unrolled: 2-line block ×6, first 2 shown]
	v_lshlrev_b32_e32 v1, 3, v0
	v_lshl_add_u64 v[14:15], v[2:3], 0, s[4:5]
	ds_write2st64_b64 v1, v[2:3], v[4:5] offset1:2
	ds_write2st64_b64 v1, v[6:7], v[8:9] offset0:4 offset1:6
	ds_write2st64_b64 v1, v[10:11], v[12:13] offset0:8 offset1:10
	ds_write_b64 v1, v[14:15] offset:6144
	s_waitcnt lgkmcnt(0)
	s_barrier
	s_mov_b64 s[4:5], 0
.LBB185_2:
	s_addk_i32 s3, 0x380
	s_andn2_b64 vcc, exec, s[4:5]
	v_cmp_gt_u32_e64 s[4:5], s3, v0
	s_cbranch_vccnz .LBB185_4
; %bb.3:
	s_add_u32 s12, s12, s8
	v_mov_b32_e32 v1, 0
	s_addc_u32 s13, s13, 0
	v_or_b32_e32 v4, 0x80, v0
	v_mov_b32_e32 v5, v1
	v_lshl_add_u64 v[6:7], s[12:13], 0, v[4:5]
	v_cmp_gt_u32_e32 vcc, s3, v4
	v_lshl_add_u64 v[2:3], s[12:13], 0, v[0:1]
	v_cndmask_b32_e64 v3, 0, v3, s[4:5]
	v_cndmask_b32_e32 v5, 0, v7, vcc
	v_cndmask_b32_e32 v4, 0, v6, vcc
	v_or_b32_e32 v6, 0x100, v0
	v_mov_b32_e32 v7, v1
	v_lshl_add_u64 v[8:9], s[12:13], 0, v[6:7]
	v_cmp_gt_u32_e32 vcc, s3, v6
	v_cndmask_b32_e64 v2, 0, v2, s[4:5]
	s_nop 0
	v_cndmask_b32_e32 v7, 0, v9, vcc
	v_cndmask_b32_e32 v6, 0, v8, vcc
	v_or_b32_e32 v8, 0x180, v0
	v_mov_b32_e32 v9, v1
	v_lshl_add_u64 v[10:11], s[12:13], 0, v[8:9]
	v_cmp_gt_u32_e32 vcc, s3, v8
	s_nop 1
	v_cndmask_b32_e32 v9, 0, v11, vcc
	v_cndmask_b32_e32 v8, 0, v10, vcc
	v_or_b32_e32 v10, 0x200, v0
	v_mov_b32_e32 v11, v1
	v_lshl_add_u64 v[12:13], s[12:13], 0, v[10:11]
	v_cmp_gt_u32_e32 vcc, s3, v10
	;; [unrolled: 7-line block ×4, first 2 shown]
	v_lshlrev_b32_e32 v1, 3, v0
	s_nop 0
	v_cndmask_b32_e32 v15, 0, v17, vcc
	v_cndmask_b32_e32 v14, 0, v16, vcc
	ds_write2st64_b64 v1, v[2:3], v[4:5] offset1:2
	ds_write2st64_b64 v1, v[6:7], v[8:9] offset0:4 offset1:6
	ds_write2st64_b64 v1, v[10:11], v[12:13] offset0:8 offset1:10
	ds_write_b64 v1, v[14:15] offset:6144
	s_waitcnt lgkmcnt(0)
	s_barrier
.LBB185_4:
	v_mul_u32_u24_e32 v1, 7, v0
	v_lshlrev_b32_e32 v3, 3, v1
	s_waitcnt lgkmcnt(0)
	ds_read2_b64 v[66:69], v3 offset1:1
	ds_read2_b64 v[62:65], v3 offset0:2 offset1:3
	ds_read2_b64 v[58:61], v3 offset0:4 offset1:5
	ds_read_b64 v[10:11], v3 offset:48
	s_lshl_b64 s[4:5], s[6:7], 2
	s_add_u32 s6, s10, s4
	s_addc_u32 s7, s11, s5
	s_lshl_b64 s[4:5], s[8:9], 2
	s_add_u32 s4, s6, s4
	s_addc_u32 s5, s7, s5
	s_mov_b64 s[6:7], -1
	s_and_b64 vcc, exec, s[20:21]
	v_lshlrev_b32_e32 v4, 2, v0
	s_waitcnt lgkmcnt(0)
	s_barrier
	s_cbranch_vccz .LBB185_6
; %bb.5:
	global_load_dword v1, v4, s[4:5]
	global_load_dword v2, v4, s[4:5] offset:512
	global_load_dword v5, v4, s[4:5] offset:1024
	;; [unrolled: 1-line block ×6, first 2 shown]
	s_mov_b64 s[6:7], 0
	s_waitcnt vmcnt(6)
	v_cmp_ne_u32_e32 vcc, 0, v1
	s_nop 1
	v_cndmask_b32_e64 v1, 0, 1, vcc
	s_waitcnt vmcnt(5)
	v_cmp_ne_u32_e32 vcc, 0, v2
	s_nop 1
	v_cndmask_b32_e64 v2, 0, 1, vcc
	;; [unrolled: 4-line block ×7, first 2 shown]
	ds_write_b8 v0, v1
	ds_write_b8 v0, v2 offset:128
	ds_write_b8 v0, v5 offset:256
	;; [unrolled: 1-line block ×6, first 2 shown]
	s_waitcnt lgkmcnt(0)
	s_barrier
.LBB185_6:
	s_load_dwordx2 s[22:23], s[0:1], 0x68
	s_andn2_b64 vcc, exec, s[6:7]
	s_cbranch_vccnz .LBB185_22
; %bb.7:
	v_mov_b32_e32 v2, 0
	v_cmp_gt_u32_e32 vcc, s3, v0
	s_mov_b32 s8, 0
	v_mov_b32_e32 v1, v2
	v_mov_b32_e32 v5, v2
	s_and_saveexec_b64 s[6:7], vcc
	s_cbranch_execz .LBB185_9
; %bb.8:
	global_load_dword v1, v4, s[4:5]
	s_waitcnt vmcnt(0)
	v_cmp_ne_u32_e32 vcc, 0, v1
	s_nop 1
	v_cndmask_b32_e64 v2, 0, 1, vcc
	v_mov_b32_e32 v1, s8
	v_mov_b32_e32 v5, v2
.LBB185_9:
	s_or_b64 exec, exec, s[6:7]
	v_or_b32_e32 v6, 0x80, v0
	v_cmp_gt_u32_e32 vcc, s3, v6
	s_and_saveexec_b64 s[6:7], vcc
	s_cbranch_execz .LBB185_11
; %bb.10:
	global_load_dword v6, v4, s[4:5] offset:512
	v_mov_b32_e32 v8, 8
	v_lshrrev_b32_e32 v7, 16, v2
	s_mov_b32 s8, 0xc0c0304
	s_movk_i32 s9, 0xff
	v_lshrrev_b32_sdwa v8, v8, v1 dst_sel:BYTE_1 dst_unused:UNUSED_PAD src0_sel:DWORD src1_sel:DWORD
	v_bfe_u32 v9, v1, 16, 8
	v_perm_b32 v7, v7, v2, s8
	v_bitop3_b16 v1, v1, v8, s9 bitop3:0xec
	v_and_b32_e32 v1, 0xffff, v1
	v_lshl_or_b32 v1, v9, 16, v1
	s_waitcnt vmcnt(0)
	v_cmp_ne_u32_e32 vcc, 0, v6
	s_nop 1
	v_cndmask_b32_e64 v6, 0, 1, vcc
	v_lshlrev_b16_e32 v6, 8, v6
	v_bitop3_b16 v2, v2, v6, s9 bitop3:0xec
	v_and_b32_e32 v2, 0xffff, v2
	v_lshl_or_b32 v2, v7, 16, v2
.LBB185_11:
	s_or_b64 exec, exec, s[6:7]
	v_or_b32_e32 v6, 0x100, v0
	v_cmp_gt_u32_e32 vcc, s3, v6
	s_and_saveexec_b64 s[6:7], vcc
	s_cbranch_execz .LBB185_13
; %bb.12:
	global_load_dword v6, v4, s[4:5] offset:1024
	v_mov_b32_e32 v8, 8
	v_lshrrev_b32_e32 v7, 24, v2
	s_movk_i32 s9, 0xff
	v_lshrrev_b32_sdwa v8, v8, v1 dst_sel:BYTE_1 dst_unused:UNUSED_PAD src0_sel:DWORD src1_sel:DWORD
	s_mov_b32 s8, 0xc0c0104
	v_bfe_u32 v9, v1, 16, 8
	v_lshlrev_b16_e32 v7, 8, v7
	v_bitop3_b16 v1, v1, v8, s9 bitop3:0xec
	v_perm_b32 v2, v2, v2, s8
	v_and_b32_e32 v1, 0xffff, v1
	v_lshl_or_b32 v1, v9, 16, v1
	s_waitcnt vmcnt(0)
	v_cmp_ne_u32_e32 vcc, 0, v6
	s_nop 1
	v_cndmask_b32_e64 v6, 0, 1, vcc
	v_or_b32_sdwa v6, v6, v7 dst_sel:WORD_1 dst_unused:UNUSED_PAD src0_sel:DWORD src1_sel:DWORD
	s_nop 0
	v_or_b32_e32 v2, v2, v6
.LBB185_13:
	s_or_b64 exec, exec, s[6:7]
	v_or_b32_e32 v6, 0x180, v0
	v_cmp_gt_u32_e32 vcc, s3, v6
	s_and_saveexec_b64 s[6:7], vcc
	s_cbranch_execz .LBB185_15
; %bb.14:
	global_load_dword v6, v4, s[4:5] offset:1536
	v_mov_b32_e32 v8, 8
	v_lshrrev_b32_e32 v7, 16, v2
	s_movk_i32 s8, 0xff
	v_lshrrev_b32_sdwa v8, v8, v1 dst_sel:BYTE_1 dst_unused:UNUSED_PAD src0_sel:DWORD src1_sel:DWORD
	s_mov_b32 s9, 0xc0c0104
	v_bfe_u32 v9, v1, 16, 8
	v_bitop3_b16 v1, v1, v8, s8 bitop3:0xec
	v_perm_b32 v2, v2, v2, s9
	v_and_b32_e32 v1, 0xffff, v1
	v_lshl_or_b32 v1, v9, 16, v1
	s_waitcnt vmcnt(0)
	v_cmp_ne_u32_e32 vcc, 0, v6
	s_nop 1
	v_cndmask_b32_e64 v6, 0, 1, vcc
	v_lshlrev_b16_e32 v6, 8, v6
	v_bitop3_b16 v6, v7, v6, s8 bitop3:0xec
	v_lshlrev_b32_e32 v6, 16, v6
	v_or_b32_e32 v2, v2, v6
.LBB185_15:
	s_or_b64 exec, exec, s[6:7]
	v_or_b32_e32 v6, 0x200, v0
	v_cmp_gt_u32_e32 vcc, s3, v6
	s_and_saveexec_b64 s[6:7], vcc
	s_cbranch_execz .LBB185_17
; %bb.16:
	global_load_dword v6, v4, s[4:5] offset:2048
	v_mov_b32_e32 v7, 8
	v_bfe_u32 v8, v1, 16, 8
	v_lshrrev_b32_sdwa v1, v7, v1 dst_sel:BYTE_1 dst_unused:UNUSED_PAD src0_sel:DWORD src1_sel:DWORD
	s_mov_b32 s8, 0x3020104
	v_perm_b32 v2, v2, v2, s8
	s_waitcnt vmcnt(0)
	v_cmp_ne_u32_e32 vcc, 0, v6
	s_nop 1
	v_cndmask_b32_e64 v6, 0, 1, vcc
	v_or_b32_e32 v1, v6, v1
	v_and_b32_e32 v1, 0xffff, v1
	v_lshl_or_b32 v1, v8, 16, v1
.LBB185_17:
	s_or_b64 exec, exec, s[6:7]
	v_or_b32_e32 v6, 0x280, v0
	v_cmp_gt_u32_e32 vcc, s3, v6
	s_and_saveexec_b64 s[6:7], vcc
	s_cbranch_execz .LBB185_19
; %bb.18:
	global_load_dword v6, v4, s[4:5] offset:2560
	s_movk_i32 s8, 0xff
	v_bfe_u32 v7, v1, 16, 8
	s_mov_b32 s9, 0x3020104
	v_perm_b32 v2, v2, v2, s9
	s_waitcnt vmcnt(0)
	v_cmp_ne_u32_e32 vcc, 0, v6
	s_nop 1
	v_cndmask_b32_e64 v6, 0, 1, vcc
	v_lshlrev_b16_e32 v6, 8, v6
	v_bitop3_b16 v1, v1, v6, s8 bitop3:0xec
	v_and_b32_e32 v1, 0xffff, v1
	v_lshl_or_b32 v1, v7, 16, v1
.LBB185_19:
	s_or_b64 exec, exec, s[6:7]
	v_or_b32_e32 v6, 0x300, v0
	v_cmp_gt_u32_e32 vcc, s3, v6
	s_and_saveexec_b64 s[6:7], vcc
	s_cbranch_execz .LBB185_21
; %bb.20:
	global_load_dword v4, v4, s[4:5] offset:3072
	v_mov_b32_e32 v6, 8
	s_movk_i32 s3, 0xff
	v_lshrrev_b32_sdwa v6, v6, v1 dst_sel:BYTE_1 dst_unused:UNUSED_PAD src0_sel:DWORD src1_sel:DWORD
	s_mov_b32 s4, 0x3020104
	v_bitop3_b16 v1, v1, v6, s3 bitop3:0xec
	v_and_b32_e32 v1, 0xffff, v1
	v_perm_b32 v2, v2, v2, s4
	s_waitcnt vmcnt(0)
	v_cmp_ne_u32_e32 vcc, 0, v4
	s_nop 1
	v_cndmask_b32_e64 v4, 0, 1, vcc
	v_lshl_or_b32 v1, v4, 16, v1
.LBB185_21:
	s_or_b64 exec, exec, s[6:7]
	v_lshrrev_b32_e32 v4, 8, v2
	ds_write_b8 v0, v5
	ds_write_b8 v0, v4 offset:128
	ds_write_b8_d16_hi v0, v2 offset:256
	v_lshrrev_b32_e32 v2, 24, v2
	ds_write_b8 v0, v2 offset:384
	ds_write_b8 v0, v1 offset:512
	v_lshrrev_b32_e32 v2, 8, v1
	ds_write_b8 v0, v2 offset:640
	ds_write_b8_d16_hi v0, v1 offset:768
	s_waitcnt lgkmcnt(0)
	s_barrier
.LBB185_22:
	s_movk_i32 s3, 0xffcf
	v_mad_i32_i24 v1, v0, s3, v3
	s_waitcnt lgkmcnt(0)
	ds_read_u8 v2, v1
	ds_read_u8 v3, v1 offset:1
	ds_read_u8 v4, v1 offset:2
	;; [unrolled: 1-line block ×6, first 2 shown]
	s_waitcnt lgkmcnt(6)
	v_and_b32_e32 v24, 1, v2
	v_mov_b32_e32 v25, 0
	s_waitcnt lgkmcnt(5)
	v_and_b32_e32 v22, 1, v3
	s_waitcnt lgkmcnt(4)
	v_and_b32_e32 v20, 1, v4
	;; [unrolled: 2-line block ×3, first 2 shown]
	v_mov_b32_e32 v19, v25
	v_add3_u32 v2, v22, v24, v20
	v_mov_b32_e32 v3, v25
	s_waitcnt lgkmcnt(2)
	v_and_b32_e32 v16, 1, v6
	v_mov_b32_e32 v17, v25
	v_lshl_add_u64 v[2:3], v[2:3], 0, v[18:19]
	s_waitcnt lgkmcnt(1)
	v_and_b32_e32 v14, 1, v7
	v_mov_b32_e32 v15, v25
	v_lshl_add_u64 v[2:3], v[2:3], 0, v[16:17]
	;; [unrolled: 4-line block ×3, first 2 shown]
	v_lshl_add_u64 v[26:27], v[2:3], 0, v[12:13]
	v_mbcnt_lo_u32_b32 v2, -1, 0
	v_mbcnt_hi_u32_b32 v13, -1, v2
	v_and_b32_e32 v39, 15, v13
	s_cmp_lg_u32 s2, 0
	v_mov_b32_e32 v23, v25
	v_mov_b32_e32 v21, v25
	v_cmp_eq_u32_e64 s[4:5], 0, v39
	v_cmp_lt_u32_e64 s[12:13], 1, v39
	v_cmp_lt_u32_e64 s[10:11], 3, v39
	v_cmp_lt_u32_e64 s[8:9], 7, v39
	v_and_b32_e32 v38, 16, v13
	v_cmp_eq_u32_e64 s[6:7], 0, v13
	v_cmp_ne_u32_e32 vcc, 0, v13
	s_barrier
	s_cbranch_scc0 .LBB185_50
; %bb.23:
	v_mov_b32_dpp v2, v26 row_shr:1 row_mask:0xf bank_mask:0xf
	v_mov_b32_e32 v3, v25
	v_mov_b32_dpp v5, v25 row_shr:1 row_mask:0xf bank_mask:0xf
	v_mov_b32_e32 v4, v25
	v_lshl_add_u64 v[2:3], v[26:27], 0, v[2:3]
	v_lshl_add_u64 v[4:5], v[4:5], 0, v[2:3]
	v_cndmask_b32_e64 v6, v5, 0, s[4:5]
	v_cndmask_b32_e64 v7, v2, v26, s[4:5]
	v_cndmask_b32_e64 v3, v5, v27, s[4:5]
	v_cndmask_b32_e64 v2, v4, v26, s[4:5]
	v_mov_b32_dpp v4, v7 row_shr:2 row_mask:0xf bank_mask:0xf
	v_mov_b32_dpp v5, v6 row_shr:2 row_mask:0xf bank_mask:0xf
	v_lshl_add_u64 v[4:5], v[4:5], 0, v[2:3]
	v_cndmask_b32_e64 v6, v6, v5, s[12:13]
	v_cndmask_b32_e64 v7, v7, v4, s[12:13]
	v_cndmask_b32_e64 v3, v3, v5, s[12:13]
	v_cndmask_b32_e64 v2, v2, v4, s[12:13]
	v_mov_b32_dpp v4, v7 row_shr:4 row_mask:0xf bank_mask:0xf
	v_mov_b32_dpp v5, v6 row_shr:4 row_mask:0xf bank_mask:0xf
	;; [unrolled: 7-line block ×3, first 2 shown]
	v_lshl_add_u64 v[4:5], v[4:5], 0, v[2:3]
	v_cndmask_b32_e64 v8, v6, v5, s[8:9]
	v_cndmask_b32_e64 v9, v7, v4, s[8:9]
	;; [unrolled: 1-line block ×4, first 2 shown]
	v_mov_b32_dpp v2, v9 row_bcast:15 row_mask:0xf bank_mask:0xf
	v_mov_b32_dpp v3, v8 row_bcast:15 row_mask:0xf bank_mask:0xf
	v_lshl_add_u64 v[6:7], v[2:3], 0, v[4:5]
	v_cmp_eq_u32_e64 s[8:9], 0, v38
	s_nop 1
	v_cndmask_b32_e64 v2, v7, v8, s[8:9]
	v_cndmask_b32_e64 v3, v6, v9, s[8:9]
	s_nop 0
	v_mov_b32_dpp v9, v2 row_bcast:31 row_mask:0xf bank_mask:0xf
	v_mov_b32_dpp v8, v3 row_bcast:31 row_mask:0xf bank_mask:0xf
	v_mov_b64_e32 v[2:3], v[26:27]
	s_and_saveexec_b64 s[10:11], vcc
; %bb.24:
	v_cmp_lt_u32_e32 vcc, 31, v13
	v_cndmask_b32_e64 v3, v7, v5, s[8:9]
	v_cndmask_b32_e64 v2, v6, v4, s[8:9]
	v_cndmask_b32_e32 v5, 0, v9, vcc
	v_cndmask_b32_e32 v4, 0, v8, vcc
	v_lshl_add_u64 v[2:3], v[4:5], 0, v[2:3]
; %bb.25:
	s_or_b64 exec, exec, s[10:11]
	v_or_b32_e32 v5, 63, v0
	v_lshrrev_b32_e32 v4, 6, v0
	v_cmp_eq_u32_e32 vcc, v0, v5
	s_and_saveexec_b64 s[8:9], vcc
; %bb.26:
	v_lshlrev_b32_e32 v5, 3, v4
	ds_write_b64 v5, v[2:3]
; %bb.27:
	s_or_b64 exec, exec, s[8:9]
	v_cmp_gt_u32_e32 vcc, 2, v0
	s_waitcnt lgkmcnt(0)
	s_barrier
	s_and_saveexec_b64 s[8:9], vcc
	s_cbranch_execz .LBB185_29
; %bb.28:
	v_lshlrev_b32_e32 v5, 3, v0
	ds_read_b64 v[6:7], v5
	v_and_b32_e32 v8, 1, v13
	v_cmp_eq_u32_e32 vcc, 1, v8
	s_waitcnt lgkmcnt(0)
	v_mov_b32_dpp v28, v6 row_shr:1 row_mask:0xf bank_mask:0xf
	v_mov_b32_dpp v9, v7 row_shr:1 row_mask:0xf bank_mask:0xf
	v_cndmask_b32_e32 v9, 0, v9, vcc
	v_cndmask_b32_e32 v8, 0, v28, vcc
	v_lshl_add_u64 v[6:7], v[8:9], 0, v[6:7]
	ds_write_b64 v5, v[6:7]
.LBB185_29:
	s_or_b64 exec, exec, s[8:9]
	v_cmp_gt_u32_e32 vcc, 64, v0
	v_cmp_lt_u32_e64 s[8:9], 63, v0
	s_waitcnt lgkmcnt(0)
	s_barrier
                                        ; implicit-def: $vgpr28_vgpr29
	s_and_saveexec_b64 s[10:11], s[8:9]
	s_cbranch_execz .LBB185_31
; %bb.30:
	v_lshl_add_u32 v4, v4, 3, -8
	ds_read_b64 v[28:29], v4
	s_waitcnt lgkmcnt(0)
	v_lshl_add_u64 v[2:3], v[28:29], 0, v[2:3]
.LBB185_31:
	s_or_b64 exec, exec, s[10:11]
	v_add_u32_e32 v4, -1, v13
	v_and_b32_e32 v5, 64, v13
	v_cmp_lt_i32_e64 s[8:9], v4, v5
	s_nop 1
	v_cndmask_b32_e64 v4, v4, v13, s[8:9]
	v_lshlrev_b32_e32 v4, 2, v4
	ds_bpermute_b32 v41, v4, v2
	ds_bpermute_b32 v40, v4, v3
	s_and_saveexec_b64 s[24:25], vcc
	s_cbranch_execz .LBB185_55
; %bb.32:
	v_mov_b32_e32 v5, 0
	ds_read_b64 v[2:3], v5 offset:8
	s_and_saveexec_b64 s[8:9], s[6:7]
	s_cbranch_execz .LBB185_34
; %bb.33:
	s_add_i32 s10, s2, 64
	s_mov_b32 s11, 0
	s_lshl_b64 s[10:11], s[10:11], 4
	s_add_u32 s10, s22, s10
	s_addc_u32 s11, s23, s11
	v_mov_b32_e32 v4, 1
	v_mov_b64_e32 v[6:7], s[10:11]
	s_waitcnt lgkmcnt(0)
	;;#ASMSTART
	global_store_dwordx4 v[6:7], v[2:5] off sc1	
s_waitcnt vmcnt(0)
	;;#ASMEND
.LBB185_34:
	s_or_b64 exec, exec, s[8:9]
	v_xad_u32 v30, v13, -1, s2
	v_add_u32_e32 v4, 64, v30
	v_lshl_add_u64 v[32:33], v[4:5], 4, s[22:23]
	;;#ASMSTART
	global_load_dwordx4 v[6:9], v[32:33] off sc1	
s_waitcnt vmcnt(0)
	;;#ASMEND
	s_nop 0
	v_cmp_eq_u16_sdwa s[10:11], v8, v5 src0_sel:BYTE_0 src1_sel:DWORD
	s_and_saveexec_b64 s[8:9], s[10:11]
	s_cbranch_execz .LBB185_38
; %bb.35:
	s_mov_b64 s[10:11], 0
	v_mov_b32_e32 v4, 0
.LBB185_36:                             ; =>This Inner Loop Header: Depth=1
	;;#ASMSTART
	global_load_dwordx4 v[6:9], v[32:33] off sc1	
s_waitcnt vmcnt(0)
	;;#ASMEND
	s_nop 0
	v_cmp_ne_u16_sdwa s[26:27], v8, v4 src0_sel:BYTE_0 src1_sel:DWORD
	s_or_b64 s[10:11], s[26:27], s[10:11]
	s_andn2_b64 exec, exec, s[10:11]
	s_cbranch_execnz .LBB185_36
; %bb.37:
	s_or_b64 exec, exec, s[10:11]
.LBB185_38:
	s_or_b64 exec, exec, s[8:9]
	v_mov_b32_e32 v42, 2
	v_cmp_eq_u16_sdwa s[8:9], v8, v42 src0_sel:BYTE_0 src1_sel:DWORD
	v_lshlrev_b64 v[32:33], v13, -1
	v_and_b32_e32 v43, 63, v13
	v_and_b32_e32 v4, s9, v33
	v_or_b32_e32 v4, 0x80000000, v4
	v_and_b32_e32 v5, s8, v32
	v_ffbl_b32_e32 v4, v4
	v_add_u32_e32 v4, 32, v4
	v_ffbl_b32_e32 v5, v5
	v_cmp_ne_u32_e32 vcc, 63, v43
	v_min_u32_e32 v9, v5, v4
	v_mov_b32_e32 v31, 0
	v_addc_co_u32_e32 v4, vcc, 0, v13, vcc
	v_lshlrev_b32_e32 v44, 2, v4
	ds_bpermute_b32 v4, v44, v6
	ds_bpermute_b32 v35, v44, v7
	v_mov_b32_e32 v5, v31
	v_mov_b32_e32 v34, v31
	v_cmp_lt_u32_e64 s[8:9], v43, v9
	s_waitcnt lgkmcnt(1)
	v_lshl_add_u64 v[4:5], v[6:7], 0, v[4:5]
	v_cmp_gt_u32_e32 vcc, 62, v43
	s_waitcnt lgkmcnt(0)
	v_lshl_add_u64 v[34:35], v[34:35], 0, v[4:5]
	v_cndmask_b32_e64 v47, v6, v4, s[8:9]
	v_cndmask_b32_e64 v4, 0, 2, vcc
	v_cndmask_b32_e64 v5, v7, v35, s[8:9]
	v_add_lshl_u32 v45, v4, v13, 2
	ds_bpermute_b32 v36, v45, v47
	ds_bpermute_b32 v37, v45, v5
	v_cndmask_b32_e64 v4, v6, v34, s[8:9]
	v_add_u32_e32 v46, 2, v43
	v_cmp_gt_u32_e32 vcc, v46, v9
	v_cmp_gt_u32_e64 s[10:11], 60, v43
	s_waitcnt lgkmcnt(0)
	v_lshl_add_u64 v[34:35], v[36:37], 0, v[4:5]
	v_cndmask_b32_e32 v5, v35, v5, vcc
	v_cndmask_b32_e64 v35, 0, 4, s[10:11]
	v_cndmask_b32_e32 v49, v34, v47, vcc
	v_add_lshl_u32 v47, v35, v13, 2
	ds_bpermute_b32 v36, v47, v49
	ds_bpermute_b32 v37, v47, v5
	v_cndmask_b32_e32 v4, v34, v4, vcc
	v_add_u32_e32 v48, 4, v43
	v_cmp_gt_u32_e32 vcc, v48, v9
	v_cmp_gt_u32_e64 s[10:11], 56, v43
	s_waitcnt lgkmcnt(0)
	v_lshl_add_u64 v[34:35], v[36:37], 0, v[4:5]
	v_cndmask_b32_e32 v5, v35, v5, vcc
	v_cndmask_b32_e64 v35, 0, 8, s[10:11]
	v_cndmask_b32_e32 v51, v34, v49, vcc
	v_add_lshl_u32 v49, v35, v13, 2
	ds_bpermute_b32 v36, v49, v51
	ds_bpermute_b32 v37, v49, v5
	v_cndmask_b32_e32 v4, v34, v4, vcc
	;; [unrolled: 12-line block ×3, first 2 shown]
	v_add_u32_e32 v52, 16, v43
	v_cmp_gt_u32_e32 vcc, v52, v9
	v_add_u32_e32 v54, 32, v43
	s_waitcnt lgkmcnt(0)
	v_lshl_add_u64 v[34:35], v[36:37], 0, v[4:5]
	v_cndmask_b32_e32 v36, v34, v53, vcc
	v_mov_b32_e32 v53, 0x80
	v_cndmask_b32_e32 v37, v35, v5, vcc
	v_lshl_or_b32 v53, v13, 2, v53
	ds_bpermute_b32 v36, v53, v36
	ds_bpermute_b32 v37, v53, v37
	s_and_saveexec_b64 s[10:11], s[8:9]
	s_cbranch_execz .LBB185_40
; %bb.39:
	v_cndmask_b32_e32 v5, v35, v5, vcc
	v_cndmask_b32_e32 v4, v34, v4, vcc
	v_cmp_le_u32_e32 vcc, v54, v9
	s_waitcnt lgkmcnt(0)
	s_nop 0
	v_cndmask_b32_e32 v7, 0, v37, vcc
	v_cndmask_b32_e32 v6, 0, v36, vcc
	v_lshl_add_u64 v[6:7], v[6:7], 0, v[4:5]
.LBB185_40:
	s_or_b64 exec, exec, s[10:11]
	s_branch .LBB185_43
.LBB185_41:                             ;   in Loop: Header=BB185_43 Depth=1
	s_or_b64 exec, exec, s[10:11]
	v_subrev_u32_e32 v30, 64, v30
	v_lshl_add_u64 v[6:7], v[6:7], 0, v[4:5]
	s_mov_b64 s[8:9], 0
.LBB185_42:                             ;   in Loop: Header=BB185_43 Depth=1
	s_and_b64 vcc, exec, s[8:9]
	s_cbranch_vccnz .LBB185_51
.LBB185_43:                             ; =>This Loop Header: Depth=1
                                        ;     Child Loop BB185_46 Depth 2
	v_cmp_ne_u16_sdwa s[8:9], v8, v42 src0_sel:BYTE_0 src1_sel:DWORD
	v_mov_b64_e32 v[4:5], v[6:7]
	s_cmp_lg_u64 s[8:9], exec
	s_mov_b64 s[8:9], -1
                                        ; implicit-def: $vgpr6_vgpr7
	s_cbranch_scc1 .LBB185_42
; %bb.44:                               ;   in Loop: Header=BB185_43 Depth=1
	v_lshl_add_u64 v[34:35], v[30:31], 4, s[22:23]
	;;#ASMSTART
	global_load_dwordx4 v[6:9], v[34:35] off sc1	
s_waitcnt vmcnt(0)
	;;#ASMEND
	s_nop 0
	v_cmp_eq_u16_sdwa s[10:11], v8, v31 src0_sel:BYTE_0 src1_sel:DWORD
	s_and_saveexec_b64 s[8:9], s[10:11]
	s_cbranch_execz .LBB185_48
; %bb.45:                               ;   in Loop: Header=BB185_43 Depth=1
	s_mov_b64 s[10:11], 0
.LBB185_46:                             ;   Parent Loop BB185_43 Depth=1
                                        ; =>  This Inner Loop Header: Depth=2
	;;#ASMSTART
	global_load_dwordx4 v[6:9], v[34:35] off sc1	
s_waitcnt vmcnt(0)
	;;#ASMEND
	s_nop 0
	v_cmp_ne_u16_sdwa s[26:27], v8, v31 src0_sel:BYTE_0 src1_sel:DWORD
	s_or_b64 s[10:11], s[26:27], s[10:11]
	s_andn2_b64 exec, exec, s[10:11]
	s_cbranch_execnz .LBB185_46
; %bb.47:                               ;   in Loop: Header=BB185_43 Depth=1
	s_or_b64 exec, exec, s[10:11]
.LBB185_48:                             ;   in Loop: Header=BB185_43 Depth=1
	s_or_b64 exec, exec, s[8:9]
	v_cmp_eq_u16_sdwa s[8:9], v8, v42 src0_sel:BYTE_0 src1_sel:DWORD
	s_waitcnt lgkmcnt(0)
	ds_bpermute_b32 v37, v44, v7
	v_mov_b32_e32 v36, v31
	v_and_b32_e32 v34, s8, v32
	v_and_b32_e32 v9, s9, v33
	v_ffbl_b32_e32 v35, v34
	ds_bpermute_b32 v34, v44, v6
	v_or_b32_e32 v9, 0x80000000, v9
	v_ffbl_b32_e32 v9, v9
	v_add_u32_e32 v9, 32, v9
	v_min_u32_e32 v9, v35, v9
	v_mov_b32_e32 v35, v31
	s_waitcnt lgkmcnt(0)
	v_lshl_add_u64 v[34:35], v[6:7], 0, v[34:35]
	v_lshl_add_u64 v[36:37], v[36:37], 0, v[34:35]
	v_cmp_lt_u32_e64 s[8:9], v43, v9
	v_cmp_gt_u32_e32 vcc, v46, v9
	s_nop 0
	v_cndmask_b32_e64 v55, v6, v34, s[8:9]
	v_cndmask_b32_e64 v35, v7, v37, s[8:9]
	ds_bpermute_b32 v56, v45, v55
	ds_bpermute_b32 v57, v45, v35
	v_cndmask_b32_e64 v34, v6, v36, s[8:9]
	s_waitcnt lgkmcnt(0)
	v_lshl_add_u64 v[36:37], v[56:57], 0, v[34:35]
	v_cndmask_b32_e32 v55, v36, v55, vcc
	v_cndmask_b32_e32 v35, v37, v35, vcc
	ds_bpermute_b32 v56, v47, v55
	ds_bpermute_b32 v57, v47, v35
	v_cndmask_b32_e32 v34, v36, v34, vcc
	v_cmp_gt_u32_e32 vcc, v48, v9
	s_waitcnt lgkmcnt(0)
	v_lshl_add_u64 v[36:37], v[56:57], 0, v[34:35]
	v_cndmask_b32_e32 v55, v36, v55, vcc
	v_cndmask_b32_e32 v35, v37, v35, vcc
	ds_bpermute_b32 v56, v49, v55
	ds_bpermute_b32 v57, v49, v35
	v_cndmask_b32_e32 v34, v36, v34, vcc
	v_cmp_gt_u32_e32 vcc, v50, v9
	;; [unrolled: 8-line block ×3, first 2 shown]
	s_waitcnt lgkmcnt(0)
	v_lshl_add_u64 v[36:37], v[56:57], 0, v[34:35]
	v_cndmask_b32_e32 v56, v37, v35, vcc
	v_cndmask_b32_e32 v55, v36, v55, vcc
	ds_bpermute_b32 v55, v53, v55
	ds_bpermute_b32 v56, v53, v56
	s_and_saveexec_b64 s[10:11], s[8:9]
	s_cbranch_execz .LBB185_41
; %bb.49:                               ;   in Loop: Header=BB185_43 Depth=1
	v_cndmask_b32_e32 v7, v37, v35, vcc
	v_cndmask_b32_e32 v6, v36, v34, vcc
	v_cmp_le_u32_e32 vcc, v54, v9
	s_waitcnt lgkmcnt(0)
	s_nop 0
	v_cndmask_b32_e32 v35, 0, v56, vcc
	v_cndmask_b32_e32 v34, 0, v55, vcc
	v_lshl_add_u64 v[6:7], v[34:35], 0, v[6:7]
	s_branch .LBB185_41
.LBB185_50:
                                        ; implicit-def: $vgpr6_vgpr7
                                        ; implicit-def: $vgpr8_vgpr9
                                        ; implicit-def: $vgpr28_vgpr29
                                        ; implicit-def: $vgpr30_vgpr31
                                        ; implicit-def: $vgpr32_vgpr33
                                        ; implicit-def: $vgpr34_vgpr35
                                        ; implicit-def: $vgpr36_vgpr37
                                        ; implicit-def: $vgpr4_vgpr5
	s_load_dwordx2 s[6:7], s[0:1], 0x30
	s_cbranch_execnz .LBB185_56
	s_branch .LBB185_67
.LBB185_51:
	s_and_saveexec_b64 s[8:9], s[6:7]
	s_cbranch_execz .LBB185_53
; %bb.52:
	s_add_i32 s2, s2, 64
	s_mov_b32 s3, 0
	s_lshl_b64 s[2:3], s[2:3], 4
	s_add_u32 s2, s22, s2
	s_addc_u32 s3, s23, s3
	v_lshl_add_u64 v[6:7], v[4:5], 0, v[2:3]
	v_mov_b32_e32 v8, 2
	v_mov_b32_e32 v9, 0
	v_mov_b64_e32 v[30:31], s[2:3]
	;;#ASMSTART
	global_store_dwordx4 v[30:31], v[6:9] off sc1	
s_waitcnt vmcnt(0)
	;;#ASMEND
	ds_write_b128 v9, v[2:5] offset:7168
.LBB185_53:
	s_or_b64 exec, exec, s[8:9]
	v_cmp_eq_u32_e32 vcc, 0, v0
	s_and_b64 exec, exec, vcc
; %bb.54:
	v_mov_b32_e32 v2, 0
	ds_write_b64 v2, v[4:5] offset:8
.LBB185_55:
	s_or_b64 exec, exec, s[24:25]
	v_mov_b32_e32 v6, 0
	s_waitcnt lgkmcnt(0)
	s_barrier
	ds_read_b64 v[2:3], v6 offset:8
	v_cndmask_b32_e64 v4, v41, v28, s[6:7]
	v_cndmask_b32_e64 v5, v40, v29, s[6:7]
	v_cmp_ne_u32_e32 vcc, 0, v0
	s_waitcnt lgkmcnt(0)
	s_barrier
	v_cndmask_b32_e32 v5, 0, v5, vcc
	v_cndmask_b32_e32 v4, 0, v4, vcc
	v_lshl_add_u64 v[36:37], v[2:3], 0, v[4:5]
	v_lshl_add_u64 v[34:35], v[36:37], 0, v[24:25]
	v_lshl_add_u64 v[32:33], v[34:35], 0, v[22:23]
	ds_read_b128 v[2:5], v6 offset:7168
	v_lshl_add_u64 v[30:31], v[32:33], 0, v[20:21]
	v_lshl_add_u64 v[28:29], v[30:31], 0, v[18:19]
	;; [unrolled: 1-line block ×4, first 2 shown]
	s_load_dwordx2 s[6:7], s[0:1], 0x30
	s_branch .LBB185_67
.LBB185_56:
	s_waitcnt lgkmcnt(0)
	v_mov_b32_e32 v4, 0
	v_mov_b32_dpp v2, v26 row_shr:1 row_mask:0xf bank_mask:0xf
	v_mov_b32_e32 v3, v4
	v_mov_b32_dpp v5, v4 row_shr:1 row_mask:0xf bank_mask:0xf
	v_lshl_add_u64 v[2:3], v[26:27], 0, v[2:3]
	v_lshl_add_u64 v[4:5], v[4:5], 0, v[2:3]
	v_cndmask_b32_e64 v6, v5, 0, s[4:5]
	v_cndmask_b32_e64 v7, v2, v26, s[4:5]
	v_cndmask_b32_e64 v3, v5, v27, s[4:5]
	v_cndmask_b32_e64 v2, v4, v26, s[4:5]
	v_mov_b32_dpp v4, v7 row_shr:2 row_mask:0xf bank_mask:0xf
	v_mov_b32_dpp v5, v6 row_shr:2 row_mask:0xf bank_mask:0xf
	v_lshl_add_u64 v[4:5], v[4:5], 0, v[2:3]
	v_cndmask_b32_e64 v6, v6, v5, s[12:13]
	v_cndmask_b32_e64 v7, v7, v4, s[12:13]
	;; [unrolled: 1-line block ×4, first 2 shown]
	v_mov_b32_dpp v4, v7 row_shr:4 row_mask:0xf bank_mask:0xf
	v_mov_b32_dpp v5, v6 row_shr:4 row_mask:0xf bank_mask:0xf
	v_lshl_add_u64 v[4:5], v[4:5], 0, v[2:3]
	v_cmp_lt_u32_e32 vcc, 3, v39
	v_cmp_eq_u32_e64 s[0:1], 0, v38
	v_cmp_ne_u32_e64 s[2:3], 0, v13
	v_cndmask_b32_e32 v6, v6, v5, vcc
	v_cndmask_b32_e32 v7, v7, v4, vcc
	;; [unrolled: 1-line block ×4, first 2 shown]
	v_mov_b32_dpp v4, v7 row_shr:8 row_mask:0xf bank_mask:0xf
	v_mov_b32_dpp v5, v6 row_shr:8 row_mask:0xf bank_mask:0xf
	v_lshl_add_u64 v[4:5], v[4:5], 0, v[2:3]
	v_cmp_lt_u32_e32 vcc, 7, v39
	s_nop 1
	v_cndmask_b32_e32 v6, v6, v5, vcc
	v_cndmask_b32_e32 v7, v7, v4, vcc
	v_cndmask_b32_e32 v3, v3, v5, vcc
	v_cndmask_b32_e32 v2, v2, v4, vcc
	v_mov_b32_dpp v4, v7 row_bcast:15 row_mask:0xf bank_mask:0xf
	v_mov_b32_dpp v5, v6 row_bcast:15 row_mask:0xf bank_mask:0xf
	v_lshl_add_u64 v[4:5], v[4:5], 0, v[2:3]
	v_cndmask_b32_e64 v8, v5, v6, s[0:1]
	v_cndmask_b32_e64 v6, v4, v7, s[0:1]
	v_cmp_eq_u32_e32 vcc, 0, v13
	v_mov_b32_dpp v7, v8 row_bcast:31 row_mask:0xf bank_mask:0xf
	v_mov_b32_dpp v6, v6 row_bcast:31 row_mask:0xf bank_mask:0xf
	s_and_saveexec_b64 s[4:5], s[2:3]
; %bb.57:
	v_cndmask_b32_e64 v3, v5, v3, s[0:1]
	v_cndmask_b32_e64 v2, v4, v2, s[0:1]
	v_cmp_lt_u32_e64 s[0:1], 31, v13
	s_nop 1
	v_cndmask_b32_e64 v5, 0, v7, s[0:1]
	v_cndmask_b32_e64 v4, 0, v6, s[0:1]
	v_lshl_add_u64 v[26:27], v[4:5], 0, v[2:3]
; %bb.58:
	s_or_b64 exec, exec, s[4:5]
	v_or_b32_e32 v3, 63, v0
	v_lshrrev_b32_e32 v2, 6, v0
	v_cmp_eq_u32_e64 s[0:1], v0, v3
	s_and_saveexec_b64 s[2:3], s[0:1]
; %bb.59:
	v_lshlrev_b32_e32 v3, 3, v2
	ds_write_b64 v3, v[26:27]
; %bb.60:
	s_or_b64 exec, exec, s[2:3]
	v_cmp_gt_u32_e64 s[0:1], 2, v0
	s_waitcnt lgkmcnt(0)
	s_barrier
	s_and_saveexec_b64 s[2:3], s[0:1]
	s_cbranch_execz .LBB185_62
; %bb.61:
	v_add_u32_e32 v1, v1, v0
	ds_read_b64 v[4:5], v1
	v_and_b32_e32 v3, 1, v13
	v_cmp_eq_u32_e64 s[0:1], 1, v3
	s_waitcnt lgkmcnt(0)
	v_mov_b32_dpp v6, v4 row_shr:1 row_mask:0xf bank_mask:0xf
	v_mov_b32_dpp v7, v5 row_shr:1 row_mask:0xf bank_mask:0xf
	v_cndmask_b32_e64 v7, 0, v7, s[0:1]
	v_cndmask_b32_e64 v6, 0, v6, s[0:1]
	v_lshl_add_u64 v[4:5], v[6:7], 0, v[4:5]
	ds_write_b64 v1, v[4:5]
.LBB185_62:
	s_or_b64 exec, exec, s[2:3]
	v_cmp_lt_u32_e64 s[0:1], 63, v0
	v_mov_b64_e32 v[6:7], 0
	s_waitcnt lgkmcnt(0)
	s_barrier
	s_and_saveexec_b64 s[2:3], s[0:1]
; %bb.63:
	v_lshl_add_u32 v1, v2, 3, -8
	ds_read_b64 v[6:7], v1
; %bb.64:
	s_or_b64 exec, exec, s[2:3]
	v_add_u32_e32 v1, -1, v13
	v_and_b32_e32 v4, 64, v13
	v_cmp_lt_i32_e64 s[0:1], v1, v4
	s_waitcnt lgkmcnt(0)
	v_lshl_add_u64 v[2:3], v[6:7], 0, v[26:27]
	v_mov_b32_e32 v5, 0
	v_cndmask_b32_e64 v1, v1, v13, s[0:1]
	v_lshlrev_b32_e32 v4, 2, v1
	ds_bpermute_b32 v1, v4, v2
	ds_bpermute_b32 v8, v4, v3
	ds_read_b64 v[2:3], v5 offset:8
	v_cmp_eq_u32_e64 s[0:1], 0, v0
	s_and_saveexec_b64 s[2:3], s[0:1]
	s_cbranch_execz .LBB185_66
; %bb.65:
	s_add_u32 s4, s22, 0x400
	s_addc_u32 s5, s23, 0
	v_mov_b32_e32 v4, 2
	v_mov_b64_e32 v[26:27], s[4:5]
	s_waitcnt lgkmcnt(0)
	;;#ASMSTART
	global_store_dwordx4 v[26:27], v[2:5] off sc1	
s_waitcnt vmcnt(0)
	;;#ASMEND
.LBB185_66:
	s_or_b64 exec, exec, s[2:3]
	s_waitcnt lgkmcnt(2)
	v_cndmask_b32_e32 v1, v1, v6, vcc
	s_waitcnt lgkmcnt(1)
	v_cndmask_b32_e32 v4, v8, v7, vcc
	v_cndmask_b32_e64 v37, v4, 0, s[0:1]
	v_cndmask_b32_e64 v36, v1, 0, s[0:1]
	v_lshl_add_u64 v[34:35], v[36:37], 0, v[24:25]
	v_lshl_add_u64 v[32:33], v[34:35], 0, v[22:23]
	;; [unrolled: 1-line block ×6, first 2 shown]
	s_waitcnt lgkmcnt(0)
	s_barrier
	v_mov_b64_e32 v[4:5], 0
.LBB185_67:
	s_mov_b64 s[0:1], 0x81
	s_waitcnt lgkmcnt(0)
	v_cmp_gt_u64_e32 vcc, s[0:1], v[2:3]
	s_mov_b64 s[2:3], -1
	v_lshl_add_u64 v[26:27], v[4:5], 0, v[2:3]
	v_cmp_eq_u32_e64 s[0:1], 1, v24
	s_cbranch_vccnz .LBB185_71
; %bb.68:
	s_and_b64 vcc, exec, s[2:3]
	s_cbranch_vccnz .LBB185_86
.LBB185_69:
	v_cmp_eq_u32_e32 vcc, 0, v0
	s_and_b64 s[0:1], vcc, s[18:19]
	s_and_saveexec_b64 s[2:3], s[0:1]
	s_cbranch_execnz .LBB185_97
.LBB185_70:
	s_endpgm
.LBB185_71:
	v_cmp_lt_u64_e32 vcc, v[36:37], v[26:27]
	s_or_b64 s[2:3], s[20:21], vcc
	s_and_b64 s[2:3], s[2:3], s[0:1]
	s_and_saveexec_b64 s[0:1], s[2:3]
	s_cbranch_execz .LBB185_73
; %bb.72:
	s_lshl_b64 s[2:3], s[14:15], 3
	s_add_u32 s2, s6, s2
	s_addc_u32 s3, s7, s3
	v_lshl_add_u64 v[38:39], v[36:37], 3, s[2:3]
	global_store_dwordx2 v[38:39], v[66:67], off
.LBB185_73:
	s_or_b64 exec, exec, s[0:1]
	v_cmp_lt_u64_e32 vcc, v[34:35], v[26:27]
	s_or_b64 s[0:1], s[20:21], vcc
	v_cmp_eq_u32_e32 vcc, 1, v22
	s_and_b64 s[2:3], s[0:1], vcc
	s_and_saveexec_b64 s[0:1], s[2:3]
	s_cbranch_execz .LBB185_75
; %bb.74:
	s_lshl_b64 s[2:3], s[14:15], 3
	s_add_u32 s2, s6, s2
	s_addc_u32 s3, s7, s3
	v_lshl_add_u64 v[38:39], v[34:35], 3, s[2:3]
	global_store_dwordx2 v[38:39], v[68:69], off
.LBB185_75:
	s_or_b64 exec, exec, s[0:1]
	v_cmp_lt_u64_e32 vcc, v[32:33], v[26:27]
	s_or_b64 s[0:1], s[20:21], vcc
	v_cmp_eq_u32_e32 vcc, 1, v20
	s_and_b64 s[2:3], s[0:1], vcc
	;; [unrolled: 14-line block ×6, first 2 shown]
	s_and_saveexec_b64 s[0:1], s[2:3]
	s_cbranch_execz .LBB185_85
; %bb.84:
	s_lshl_b64 s[2:3], s[14:15], 3
	s_add_u32 s2, s6, s2
	s_addc_u32 s3, s7, s3
	v_lshl_add_u64 v[38:39], v[6:7], 3, s[2:3]
	global_store_dwordx2 v[38:39], v[10:11], off
.LBB185_85:
	s_or_b64 exec, exec, s[0:1]
	s_branch .LBB185_69
.LBB185_86:
	v_cmp_eq_u32_e32 vcc, 1, v24
	s_and_saveexec_b64 s[0:1], vcc
	s_cbranch_execnz .LBB185_98
; %bb.87:
	s_or_b64 exec, exec, s[0:1]
	v_cmp_eq_u32_e32 vcc, 1, v22
	s_and_saveexec_b64 s[0:1], vcc
	s_cbranch_execnz .LBB185_99
.LBB185_88:
	s_or_b64 exec, exec, s[0:1]
	v_cmp_eq_u32_e32 vcc, 1, v20
	s_and_saveexec_b64 s[0:1], vcc
	s_cbranch_execnz .LBB185_100
.LBB185_89:
	s_or_b64 exec, exec, s[0:1]
	v_cmp_eq_u32_e32 vcc, 1, v18
	s_and_saveexec_b64 s[0:1], vcc
	s_cbranch_execnz .LBB185_101
.LBB185_90:
	s_or_b64 exec, exec, s[0:1]
	v_cmp_eq_u32_e32 vcc, 1, v16
	s_and_saveexec_b64 s[0:1], vcc
	s_cbranch_execnz .LBB185_102
.LBB185_91:
	s_or_b64 exec, exec, s[0:1]
	v_cmp_eq_u32_e32 vcc, 1, v14
	s_and_saveexec_b64 s[0:1], vcc
	s_cbranch_execnz .LBB185_103
.LBB185_92:
	s_or_b64 exec, exec, s[0:1]
	v_cmp_eq_u32_e32 vcc, 1, v12
	s_and_saveexec_b64 s[0:1], vcc
.LBB185_93:
	v_sub_u32_e32 v1, v6, v4
	v_lshlrev_b32_e32 v1, 3, v1
	ds_write_b64 v1, v[10:11]
.LBB185_94:
	s_or_b64 exec, exec, s[0:1]
	v_mov_b32_e32 v7, 0
	v_lshlrev_b64 v[4:5], 3, v[4:5]
	v_mov_b32_e32 v1, v7
	v_lshl_add_u64 v[4:5], s[6:7], 0, v[4:5]
	s_lshl_b64 s[0:1], s[14:15], 3
	v_lshl_add_u64 v[4:5], v[4:5], 0, s[0:1]
	v_or_b32_e32 v6, 0x80, v0
	s_mov_b64 s[0:1], 0
	v_mov_b64_e32 v[8:9], v[0:1]
	s_waitcnt lgkmcnt(0)
	s_barrier
.LBB185_95:                             ; =>This Inner Loop Header: Depth=1
	v_lshlrev_b32_e32 v1, 3, v8
	ds_read_b64 v[12:13], v1
	v_cmp_le_u64_e32 vcc, v[2:3], v[6:7]
	v_lshl_add_u64 v[10:11], v[8:9], 3, v[4:5]
	v_mov_b64_e32 v[8:9], v[6:7]
	v_add_u32_e32 v6, 0x80, v6
	s_or_b64 s[0:1], vcc, s[0:1]
	s_waitcnt lgkmcnt(0)
	global_store_dwordx2 v[10:11], v[12:13], off
	s_andn2_b64 exec, exec, s[0:1]
	s_cbranch_execnz .LBB185_95
; %bb.96:
	s_or_b64 exec, exec, s[0:1]
	v_cmp_eq_u32_e32 vcc, 0, v0
	s_and_b64 s[0:1], vcc, s[18:19]
	s_and_saveexec_b64 s[2:3], s[0:1]
	s_cbranch_execz .LBB185_70
.LBB185_97:
	v_mov_b32_e32 v2, 0
	v_lshl_add_u64 v[0:1], v[26:27], 0, s[14:15]
	global_store_dwordx2 v2, v[0:1], s[16:17]
	s_endpgm
.LBB185_98:
	v_sub_u32_e32 v1, v36, v4
	v_lshlrev_b32_e32 v1, 3, v1
	ds_write_b64 v1, v[66:67]
	s_or_b64 exec, exec, s[0:1]
	v_cmp_eq_u32_e32 vcc, 1, v22
	s_and_saveexec_b64 s[0:1], vcc
	s_cbranch_execz .LBB185_88
.LBB185_99:
	v_sub_u32_e32 v1, v34, v4
	v_lshlrev_b32_e32 v1, 3, v1
	ds_write_b64 v1, v[68:69]
	s_or_b64 exec, exec, s[0:1]
	v_cmp_eq_u32_e32 vcc, 1, v20
	s_and_saveexec_b64 s[0:1], vcc
	s_cbranch_execz .LBB185_89
.LBB185_100:
	v_sub_u32_e32 v1, v32, v4
	v_lshlrev_b32_e32 v1, 3, v1
	ds_write_b64 v1, v[62:63]
	s_or_b64 exec, exec, s[0:1]
	v_cmp_eq_u32_e32 vcc, 1, v18
	s_and_saveexec_b64 s[0:1], vcc
	s_cbranch_execz .LBB185_90
.LBB185_101:
	v_sub_u32_e32 v1, v30, v4
	v_lshlrev_b32_e32 v1, 3, v1
	ds_write_b64 v1, v[64:65]
	s_or_b64 exec, exec, s[0:1]
	v_cmp_eq_u32_e32 vcc, 1, v16
	s_and_saveexec_b64 s[0:1], vcc
	s_cbranch_execz .LBB185_91
.LBB185_102:
	v_sub_u32_e32 v1, v28, v4
	v_lshlrev_b32_e32 v1, 3, v1
	ds_write_b64 v1, v[58:59]
	s_or_b64 exec, exec, s[0:1]
	v_cmp_eq_u32_e32 vcc, 1, v14
	s_and_saveexec_b64 s[0:1], vcc
	s_cbranch_execz .LBB185_92
.LBB185_103:
	v_sub_u32_e32 v1, v8, v4
	v_lshlrev_b32_e32 v1, 3, v1
	ds_write_b64 v1, v[60:61]
	s_or_b64 exec, exec, s[0:1]
	v_cmp_eq_u32_e32 vcc, 1, v12
	s_and_saveexec_b64 s[0:1], vcc
	s_cbranch_execnz .LBB185_93
	s_branch .LBB185_94
	.section	.rodata,"a",@progbits
	.p2align	6, 0x0
	.amdhsa_kernel _ZN7rocprim17ROCPRIM_400000_NS6detail17trampoline_kernelINS0_14default_configENS1_25partition_config_selectorILNS1_17partition_subalgoE5ElNS0_10empty_typeEbEEZZNS1_14partition_implILS5_5ELb0ES3_mN6hipcub16HIPCUB_304000_NS21CountingInputIteratorIllEEPS6_NSA_22TransformInputIteratorIb7NonZeroIiEPilEENS0_5tupleIJPlS6_EEENSJ_IJSD_SD_EEES6_SK_JS6_EEE10hipError_tPvRmT3_T4_T5_T6_T7_T9_mT8_P12ihipStream_tbDpT10_ENKUlT_T0_E_clISt17integral_constantIbLb0EES16_EEDaS11_S12_EUlS11_E_NS1_11comp_targetILNS1_3genE0ELNS1_11target_archE4294967295ELNS1_3gpuE0ELNS1_3repE0EEENS1_30default_config_static_selectorELNS0_4arch9wavefront6targetE1EEEvT1_
		.amdhsa_group_segment_fixed_size 7184
		.amdhsa_private_segment_fixed_size 0
		.amdhsa_kernarg_size 120
		.amdhsa_user_sgpr_count 2
		.amdhsa_user_sgpr_dispatch_ptr 0
		.amdhsa_user_sgpr_queue_ptr 0
		.amdhsa_user_sgpr_kernarg_segment_ptr 1
		.amdhsa_user_sgpr_dispatch_id 0
		.amdhsa_user_sgpr_kernarg_preload_length 0
		.amdhsa_user_sgpr_kernarg_preload_offset 0
		.amdhsa_user_sgpr_private_segment_size 0
		.amdhsa_uses_dynamic_stack 0
		.amdhsa_enable_private_segment 0
		.amdhsa_system_sgpr_workgroup_id_x 1
		.amdhsa_system_sgpr_workgroup_id_y 0
		.amdhsa_system_sgpr_workgroup_id_z 0
		.amdhsa_system_sgpr_workgroup_info 0
		.amdhsa_system_vgpr_workitem_id 0
		.amdhsa_next_free_vgpr 70
		.amdhsa_next_free_sgpr 28
		.amdhsa_accum_offset 72
		.amdhsa_reserve_vcc 1
		.amdhsa_float_round_mode_32 0
		.amdhsa_float_round_mode_16_64 0
		.amdhsa_float_denorm_mode_32 3
		.amdhsa_float_denorm_mode_16_64 3
		.amdhsa_dx10_clamp 1
		.amdhsa_ieee_mode 1
		.amdhsa_fp16_overflow 0
		.amdhsa_tg_split 0
		.amdhsa_exception_fp_ieee_invalid_op 0
		.amdhsa_exception_fp_denorm_src 0
		.amdhsa_exception_fp_ieee_div_zero 0
		.amdhsa_exception_fp_ieee_overflow 0
		.amdhsa_exception_fp_ieee_underflow 0
		.amdhsa_exception_fp_ieee_inexact 0
		.amdhsa_exception_int_div_zero 0
	.end_amdhsa_kernel
	.section	.text._ZN7rocprim17ROCPRIM_400000_NS6detail17trampoline_kernelINS0_14default_configENS1_25partition_config_selectorILNS1_17partition_subalgoE5ElNS0_10empty_typeEbEEZZNS1_14partition_implILS5_5ELb0ES3_mN6hipcub16HIPCUB_304000_NS21CountingInputIteratorIllEEPS6_NSA_22TransformInputIteratorIb7NonZeroIiEPilEENS0_5tupleIJPlS6_EEENSJ_IJSD_SD_EEES6_SK_JS6_EEE10hipError_tPvRmT3_T4_T5_T6_T7_T9_mT8_P12ihipStream_tbDpT10_ENKUlT_T0_E_clISt17integral_constantIbLb0EES16_EEDaS11_S12_EUlS11_E_NS1_11comp_targetILNS1_3genE0ELNS1_11target_archE4294967295ELNS1_3gpuE0ELNS1_3repE0EEENS1_30default_config_static_selectorELNS0_4arch9wavefront6targetE1EEEvT1_,"axG",@progbits,_ZN7rocprim17ROCPRIM_400000_NS6detail17trampoline_kernelINS0_14default_configENS1_25partition_config_selectorILNS1_17partition_subalgoE5ElNS0_10empty_typeEbEEZZNS1_14partition_implILS5_5ELb0ES3_mN6hipcub16HIPCUB_304000_NS21CountingInputIteratorIllEEPS6_NSA_22TransformInputIteratorIb7NonZeroIiEPilEENS0_5tupleIJPlS6_EEENSJ_IJSD_SD_EEES6_SK_JS6_EEE10hipError_tPvRmT3_T4_T5_T6_T7_T9_mT8_P12ihipStream_tbDpT10_ENKUlT_T0_E_clISt17integral_constantIbLb0EES16_EEDaS11_S12_EUlS11_E_NS1_11comp_targetILNS1_3genE0ELNS1_11target_archE4294967295ELNS1_3gpuE0ELNS1_3repE0EEENS1_30default_config_static_selectorELNS0_4arch9wavefront6targetE1EEEvT1_,comdat
.Lfunc_end185:
	.size	_ZN7rocprim17ROCPRIM_400000_NS6detail17trampoline_kernelINS0_14default_configENS1_25partition_config_selectorILNS1_17partition_subalgoE5ElNS0_10empty_typeEbEEZZNS1_14partition_implILS5_5ELb0ES3_mN6hipcub16HIPCUB_304000_NS21CountingInputIteratorIllEEPS6_NSA_22TransformInputIteratorIb7NonZeroIiEPilEENS0_5tupleIJPlS6_EEENSJ_IJSD_SD_EEES6_SK_JS6_EEE10hipError_tPvRmT3_T4_T5_T6_T7_T9_mT8_P12ihipStream_tbDpT10_ENKUlT_T0_E_clISt17integral_constantIbLb0EES16_EEDaS11_S12_EUlS11_E_NS1_11comp_targetILNS1_3genE0ELNS1_11target_archE4294967295ELNS1_3gpuE0ELNS1_3repE0EEENS1_30default_config_static_selectorELNS0_4arch9wavefront6targetE1EEEvT1_, .Lfunc_end185-_ZN7rocprim17ROCPRIM_400000_NS6detail17trampoline_kernelINS0_14default_configENS1_25partition_config_selectorILNS1_17partition_subalgoE5ElNS0_10empty_typeEbEEZZNS1_14partition_implILS5_5ELb0ES3_mN6hipcub16HIPCUB_304000_NS21CountingInputIteratorIllEEPS6_NSA_22TransformInputIteratorIb7NonZeroIiEPilEENS0_5tupleIJPlS6_EEENSJ_IJSD_SD_EEES6_SK_JS6_EEE10hipError_tPvRmT3_T4_T5_T6_T7_T9_mT8_P12ihipStream_tbDpT10_ENKUlT_T0_E_clISt17integral_constantIbLb0EES16_EEDaS11_S12_EUlS11_E_NS1_11comp_targetILNS1_3genE0ELNS1_11target_archE4294967295ELNS1_3gpuE0ELNS1_3repE0EEENS1_30default_config_static_selectorELNS0_4arch9wavefront6targetE1EEEvT1_
                                        ; -- End function
	.set _ZN7rocprim17ROCPRIM_400000_NS6detail17trampoline_kernelINS0_14default_configENS1_25partition_config_selectorILNS1_17partition_subalgoE5ElNS0_10empty_typeEbEEZZNS1_14partition_implILS5_5ELb0ES3_mN6hipcub16HIPCUB_304000_NS21CountingInputIteratorIllEEPS6_NSA_22TransformInputIteratorIb7NonZeroIiEPilEENS0_5tupleIJPlS6_EEENSJ_IJSD_SD_EEES6_SK_JS6_EEE10hipError_tPvRmT3_T4_T5_T6_T7_T9_mT8_P12ihipStream_tbDpT10_ENKUlT_T0_E_clISt17integral_constantIbLb0EES16_EEDaS11_S12_EUlS11_E_NS1_11comp_targetILNS1_3genE0ELNS1_11target_archE4294967295ELNS1_3gpuE0ELNS1_3repE0EEENS1_30default_config_static_selectorELNS0_4arch9wavefront6targetE1EEEvT1_.num_vgpr, 70
	.set _ZN7rocprim17ROCPRIM_400000_NS6detail17trampoline_kernelINS0_14default_configENS1_25partition_config_selectorILNS1_17partition_subalgoE5ElNS0_10empty_typeEbEEZZNS1_14partition_implILS5_5ELb0ES3_mN6hipcub16HIPCUB_304000_NS21CountingInputIteratorIllEEPS6_NSA_22TransformInputIteratorIb7NonZeroIiEPilEENS0_5tupleIJPlS6_EEENSJ_IJSD_SD_EEES6_SK_JS6_EEE10hipError_tPvRmT3_T4_T5_T6_T7_T9_mT8_P12ihipStream_tbDpT10_ENKUlT_T0_E_clISt17integral_constantIbLb0EES16_EEDaS11_S12_EUlS11_E_NS1_11comp_targetILNS1_3genE0ELNS1_11target_archE4294967295ELNS1_3gpuE0ELNS1_3repE0EEENS1_30default_config_static_selectorELNS0_4arch9wavefront6targetE1EEEvT1_.num_agpr, 0
	.set _ZN7rocprim17ROCPRIM_400000_NS6detail17trampoline_kernelINS0_14default_configENS1_25partition_config_selectorILNS1_17partition_subalgoE5ElNS0_10empty_typeEbEEZZNS1_14partition_implILS5_5ELb0ES3_mN6hipcub16HIPCUB_304000_NS21CountingInputIteratorIllEEPS6_NSA_22TransformInputIteratorIb7NonZeroIiEPilEENS0_5tupleIJPlS6_EEENSJ_IJSD_SD_EEES6_SK_JS6_EEE10hipError_tPvRmT3_T4_T5_T6_T7_T9_mT8_P12ihipStream_tbDpT10_ENKUlT_T0_E_clISt17integral_constantIbLb0EES16_EEDaS11_S12_EUlS11_E_NS1_11comp_targetILNS1_3genE0ELNS1_11target_archE4294967295ELNS1_3gpuE0ELNS1_3repE0EEENS1_30default_config_static_selectorELNS0_4arch9wavefront6targetE1EEEvT1_.numbered_sgpr, 28
	.set _ZN7rocprim17ROCPRIM_400000_NS6detail17trampoline_kernelINS0_14default_configENS1_25partition_config_selectorILNS1_17partition_subalgoE5ElNS0_10empty_typeEbEEZZNS1_14partition_implILS5_5ELb0ES3_mN6hipcub16HIPCUB_304000_NS21CountingInputIteratorIllEEPS6_NSA_22TransformInputIteratorIb7NonZeroIiEPilEENS0_5tupleIJPlS6_EEENSJ_IJSD_SD_EEES6_SK_JS6_EEE10hipError_tPvRmT3_T4_T5_T6_T7_T9_mT8_P12ihipStream_tbDpT10_ENKUlT_T0_E_clISt17integral_constantIbLb0EES16_EEDaS11_S12_EUlS11_E_NS1_11comp_targetILNS1_3genE0ELNS1_11target_archE4294967295ELNS1_3gpuE0ELNS1_3repE0EEENS1_30default_config_static_selectorELNS0_4arch9wavefront6targetE1EEEvT1_.num_named_barrier, 0
	.set _ZN7rocprim17ROCPRIM_400000_NS6detail17trampoline_kernelINS0_14default_configENS1_25partition_config_selectorILNS1_17partition_subalgoE5ElNS0_10empty_typeEbEEZZNS1_14partition_implILS5_5ELb0ES3_mN6hipcub16HIPCUB_304000_NS21CountingInputIteratorIllEEPS6_NSA_22TransformInputIteratorIb7NonZeroIiEPilEENS0_5tupleIJPlS6_EEENSJ_IJSD_SD_EEES6_SK_JS6_EEE10hipError_tPvRmT3_T4_T5_T6_T7_T9_mT8_P12ihipStream_tbDpT10_ENKUlT_T0_E_clISt17integral_constantIbLb0EES16_EEDaS11_S12_EUlS11_E_NS1_11comp_targetILNS1_3genE0ELNS1_11target_archE4294967295ELNS1_3gpuE0ELNS1_3repE0EEENS1_30default_config_static_selectorELNS0_4arch9wavefront6targetE1EEEvT1_.private_seg_size, 0
	.set _ZN7rocprim17ROCPRIM_400000_NS6detail17trampoline_kernelINS0_14default_configENS1_25partition_config_selectorILNS1_17partition_subalgoE5ElNS0_10empty_typeEbEEZZNS1_14partition_implILS5_5ELb0ES3_mN6hipcub16HIPCUB_304000_NS21CountingInputIteratorIllEEPS6_NSA_22TransformInputIteratorIb7NonZeroIiEPilEENS0_5tupleIJPlS6_EEENSJ_IJSD_SD_EEES6_SK_JS6_EEE10hipError_tPvRmT3_T4_T5_T6_T7_T9_mT8_P12ihipStream_tbDpT10_ENKUlT_T0_E_clISt17integral_constantIbLb0EES16_EEDaS11_S12_EUlS11_E_NS1_11comp_targetILNS1_3genE0ELNS1_11target_archE4294967295ELNS1_3gpuE0ELNS1_3repE0EEENS1_30default_config_static_selectorELNS0_4arch9wavefront6targetE1EEEvT1_.uses_vcc, 1
	.set _ZN7rocprim17ROCPRIM_400000_NS6detail17trampoline_kernelINS0_14default_configENS1_25partition_config_selectorILNS1_17partition_subalgoE5ElNS0_10empty_typeEbEEZZNS1_14partition_implILS5_5ELb0ES3_mN6hipcub16HIPCUB_304000_NS21CountingInputIteratorIllEEPS6_NSA_22TransformInputIteratorIb7NonZeroIiEPilEENS0_5tupleIJPlS6_EEENSJ_IJSD_SD_EEES6_SK_JS6_EEE10hipError_tPvRmT3_T4_T5_T6_T7_T9_mT8_P12ihipStream_tbDpT10_ENKUlT_T0_E_clISt17integral_constantIbLb0EES16_EEDaS11_S12_EUlS11_E_NS1_11comp_targetILNS1_3genE0ELNS1_11target_archE4294967295ELNS1_3gpuE0ELNS1_3repE0EEENS1_30default_config_static_selectorELNS0_4arch9wavefront6targetE1EEEvT1_.uses_flat_scratch, 0
	.set _ZN7rocprim17ROCPRIM_400000_NS6detail17trampoline_kernelINS0_14default_configENS1_25partition_config_selectorILNS1_17partition_subalgoE5ElNS0_10empty_typeEbEEZZNS1_14partition_implILS5_5ELb0ES3_mN6hipcub16HIPCUB_304000_NS21CountingInputIteratorIllEEPS6_NSA_22TransformInputIteratorIb7NonZeroIiEPilEENS0_5tupleIJPlS6_EEENSJ_IJSD_SD_EEES6_SK_JS6_EEE10hipError_tPvRmT3_T4_T5_T6_T7_T9_mT8_P12ihipStream_tbDpT10_ENKUlT_T0_E_clISt17integral_constantIbLb0EES16_EEDaS11_S12_EUlS11_E_NS1_11comp_targetILNS1_3genE0ELNS1_11target_archE4294967295ELNS1_3gpuE0ELNS1_3repE0EEENS1_30default_config_static_selectorELNS0_4arch9wavefront6targetE1EEEvT1_.has_dyn_sized_stack, 0
	.set _ZN7rocprim17ROCPRIM_400000_NS6detail17trampoline_kernelINS0_14default_configENS1_25partition_config_selectorILNS1_17partition_subalgoE5ElNS0_10empty_typeEbEEZZNS1_14partition_implILS5_5ELb0ES3_mN6hipcub16HIPCUB_304000_NS21CountingInputIteratorIllEEPS6_NSA_22TransformInputIteratorIb7NonZeroIiEPilEENS0_5tupleIJPlS6_EEENSJ_IJSD_SD_EEES6_SK_JS6_EEE10hipError_tPvRmT3_T4_T5_T6_T7_T9_mT8_P12ihipStream_tbDpT10_ENKUlT_T0_E_clISt17integral_constantIbLb0EES16_EEDaS11_S12_EUlS11_E_NS1_11comp_targetILNS1_3genE0ELNS1_11target_archE4294967295ELNS1_3gpuE0ELNS1_3repE0EEENS1_30default_config_static_selectorELNS0_4arch9wavefront6targetE1EEEvT1_.has_recursion, 0
	.set _ZN7rocprim17ROCPRIM_400000_NS6detail17trampoline_kernelINS0_14default_configENS1_25partition_config_selectorILNS1_17partition_subalgoE5ElNS0_10empty_typeEbEEZZNS1_14partition_implILS5_5ELb0ES3_mN6hipcub16HIPCUB_304000_NS21CountingInputIteratorIllEEPS6_NSA_22TransformInputIteratorIb7NonZeroIiEPilEENS0_5tupleIJPlS6_EEENSJ_IJSD_SD_EEES6_SK_JS6_EEE10hipError_tPvRmT3_T4_T5_T6_T7_T9_mT8_P12ihipStream_tbDpT10_ENKUlT_T0_E_clISt17integral_constantIbLb0EES16_EEDaS11_S12_EUlS11_E_NS1_11comp_targetILNS1_3genE0ELNS1_11target_archE4294967295ELNS1_3gpuE0ELNS1_3repE0EEENS1_30default_config_static_selectorELNS0_4arch9wavefront6targetE1EEEvT1_.has_indirect_call, 0
	.section	.AMDGPU.csdata,"",@progbits
; Kernel info:
; codeLenInByte = 6036
; TotalNumSgprs: 34
; NumVgprs: 70
; NumAgprs: 0
; TotalNumVgprs: 70
; ScratchSize: 0
; MemoryBound: 0
; FloatMode: 240
; IeeeMode: 1
; LDSByteSize: 7184 bytes/workgroup (compile time only)
; SGPRBlocks: 4
; VGPRBlocks: 8
; NumSGPRsForWavesPerEU: 34
; NumVGPRsForWavesPerEU: 70
; AccumOffset: 72
; Occupancy: 7
; WaveLimiterHint : 1
; COMPUTE_PGM_RSRC2:SCRATCH_EN: 0
; COMPUTE_PGM_RSRC2:USER_SGPR: 2
; COMPUTE_PGM_RSRC2:TRAP_HANDLER: 0
; COMPUTE_PGM_RSRC2:TGID_X_EN: 1
; COMPUTE_PGM_RSRC2:TGID_Y_EN: 0
; COMPUTE_PGM_RSRC2:TGID_Z_EN: 0
; COMPUTE_PGM_RSRC2:TIDIG_COMP_CNT: 0
; COMPUTE_PGM_RSRC3_GFX90A:ACCUM_OFFSET: 17
; COMPUTE_PGM_RSRC3_GFX90A:TG_SPLIT: 0
	.section	.text._ZN7rocprim17ROCPRIM_400000_NS6detail17trampoline_kernelINS0_14default_configENS1_25partition_config_selectorILNS1_17partition_subalgoE5ElNS0_10empty_typeEbEEZZNS1_14partition_implILS5_5ELb0ES3_mN6hipcub16HIPCUB_304000_NS21CountingInputIteratorIllEEPS6_NSA_22TransformInputIteratorIb7NonZeroIiEPilEENS0_5tupleIJPlS6_EEENSJ_IJSD_SD_EEES6_SK_JS6_EEE10hipError_tPvRmT3_T4_T5_T6_T7_T9_mT8_P12ihipStream_tbDpT10_ENKUlT_T0_E_clISt17integral_constantIbLb0EES16_EEDaS11_S12_EUlS11_E_NS1_11comp_targetILNS1_3genE5ELNS1_11target_archE942ELNS1_3gpuE9ELNS1_3repE0EEENS1_30default_config_static_selectorELNS0_4arch9wavefront6targetE1EEEvT1_,"axG",@progbits,_ZN7rocprim17ROCPRIM_400000_NS6detail17trampoline_kernelINS0_14default_configENS1_25partition_config_selectorILNS1_17partition_subalgoE5ElNS0_10empty_typeEbEEZZNS1_14partition_implILS5_5ELb0ES3_mN6hipcub16HIPCUB_304000_NS21CountingInputIteratorIllEEPS6_NSA_22TransformInputIteratorIb7NonZeroIiEPilEENS0_5tupleIJPlS6_EEENSJ_IJSD_SD_EEES6_SK_JS6_EEE10hipError_tPvRmT3_T4_T5_T6_T7_T9_mT8_P12ihipStream_tbDpT10_ENKUlT_T0_E_clISt17integral_constantIbLb0EES16_EEDaS11_S12_EUlS11_E_NS1_11comp_targetILNS1_3genE5ELNS1_11target_archE942ELNS1_3gpuE9ELNS1_3repE0EEENS1_30default_config_static_selectorELNS0_4arch9wavefront6targetE1EEEvT1_,comdat
	.protected	_ZN7rocprim17ROCPRIM_400000_NS6detail17trampoline_kernelINS0_14default_configENS1_25partition_config_selectorILNS1_17partition_subalgoE5ElNS0_10empty_typeEbEEZZNS1_14partition_implILS5_5ELb0ES3_mN6hipcub16HIPCUB_304000_NS21CountingInputIteratorIllEEPS6_NSA_22TransformInputIteratorIb7NonZeroIiEPilEENS0_5tupleIJPlS6_EEENSJ_IJSD_SD_EEES6_SK_JS6_EEE10hipError_tPvRmT3_T4_T5_T6_T7_T9_mT8_P12ihipStream_tbDpT10_ENKUlT_T0_E_clISt17integral_constantIbLb0EES16_EEDaS11_S12_EUlS11_E_NS1_11comp_targetILNS1_3genE5ELNS1_11target_archE942ELNS1_3gpuE9ELNS1_3repE0EEENS1_30default_config_static_selectorELNS0_4arch9wavefront6targetE1EEEvT1_ ; -- Begin function _ZN7rocprim17ROCPRIM_400000_NS6detail17trampoline_kernelINS0_14default_configENS1_25partition_config_selectorILNS1_17partition_subalgoE5ElNS0_10empty_typeEbEEZZNS1_14partition_implILS5_5ELb0ES3_mN6hipcub16HIPCUB_304000_NS21CountingInputIteratorIllEEPS6_NSA_22TransformInputIteratorIb7NonZeroIiEPilEENS0_5tupleIJPlS6_EEENSJ_IJSD_SD_EEES6_SK_JS6_EEE10hipError_tPvRmT3_T4_T5_T6_T7_T9_mT8_P12ihipStream_tbDpT10_ENKUlT_T0_E_clISt17integral_constantIbLb0EES16_EEDaS11_S12_EUlS11_E_NS1_11comp_targetILNS1_3genE5ELNS1_11target_archE942ELNS1_3gpuE9ELNS1_3repE0EEENS1_30default_config_static_selectorELNS0_4arch9wavefront6targetE1EEEvT1_
	.globl	_ZN7rocprim17ROCPRIM_400000_NS6detail17trampoline_kernelINS0_14default_configENS1_25partition_config_selectorILNS1_17partition_subalgoE5ElNS0_10empty_typeEbEEZZNS1_14partition_implILS5_5ELb0ES3_mN6hipcub16HIPCUB_304000_NS21CountingInputIteratorIllEEPS6_NSA_22TransformInputIteratorIb7NonZeroIiEPilEENS0_5tupleIJPlS6_EEENSJ_IJSD_SD_EEES6_SK_JS6_EEE10hipError_tPvRmT3_T4_T5_T6_T7_T9_mT8_P12ihipStream_tbDpT10_ENKUlT_T0_E_clISt17integral_constantIbLb0EES16_EEDaS11_S12_EUlS11_E_NS1_11comp_targetILNS1_3genE5ELNS1_11target_archE942ELNS1_3gpuE9ELNS1_3repE0EEENS1_30default_config_static_selectorELNS0_4arch9wavefront6targetE1EEEvT1_
	.p2align	8
	.type	_ZN7rocprim17ROCPRIM_400000_NS6detail17trampoline_kernelINS0_14default_configENS1_25partition_config_selectorILNS1_17partition_subalgoE5ElNS0_10empty_typeEbEEZZNS1_14partition_implILS5_5ELb0ES3_mN6hipcub16HIPCUB_304000_NS21CountingInputIteratorIllEEPS6_NSA_22TransformInputIteratorIb7NonZeroIiEPilEENS0_5tupleIJPlS6_EEENSJ_IJSD_SD_EEES6_SK_JS6_EEE10hipError_tPvRmT3_T4_T5_T6_T7_T9_mT8_P12ihipStream_tbDpT10_ENKUlT_T0_E_clISt17integral_constantIbLb0EES16_EEDaS11_S12_EUlS11_E_NS1_11comp_targetILNS1_3genE5ELNS1_11target_archE942ELNS1_3gpuE9ELNS1_3repE0EEENS1_30default_config_static_selectorELNS0_4arch9wavefront6targetE1EEEvT1_,@function
_ZN7rocprim17ROCPRIM_400000_NS6detail17trampoline_kernelINS0_14default_configENS1_25partition_config_selectorILNS1_17partition_subalgoE5ElNS0_10empty_typeEbEEZZNS1_14partition_implILS5_5ELb0ES3_mN6hipcub16HIPCUB_304000_NS21CountingInputIteratorIllEEPS6_NSA_22TransformInputIteratorIb7NonZeroIiEPilEENS0_5tupleIJPlS6_EEENSJ_IJSD_SD_EEES6_SK_JS6_EEE10hipError_tPvRmT3_T4_T5_T6_T7_T9_mT8_P12ihipStream_tbDpT10_ENKUlT_T0_E_clISt17integral_constantIbLb0EES16_EEDaS11_S12_EUlS11_E_NS1_11comp_targetILNS1_3genE5ELNS1_11target_archE942ELNS1_3gpuE9ELNS1_3repE0EEENS1_30default_config_static_selectorELNS0_4arch9wavefront6targetE1EEEvT1_: ; @_ZN7rocprim17ROCPRIM_400000_NS6detail17trampoline_kernelINS0_14default_configENS1_25partition_config_selectorILNS1_17partition_subalgoE5ElNS0_10empty_typeEbEEZZNS1_14partition_implILS5_5ELb0ES3_mN6hipcub16HIPCUB_304000_NS21CountingInputIteratorIllEEPS6_NSA_22TransformInputIteratorIb7NonZeroIiEPilEENS0_5tupleIJPlS6_EEENSJ_IJSD_SD_EEES6_SK_JS6_EEE10hipError_tPvRmT3_T4_T5_T6_T7_T9_mT8_P12ihipStream_tbDpT10_ENKUlT_T0_E_clISt17integral_constantIbLb0EES16_EEDaS11_S12_EUlS11_E_NS1_11comp_targetILNS1_3genE5ELNS1_11target_archE942ELNS1_3gpuE9ELNS1_3repE0EEENS1_30default_config_static_selectorELNS0_4arch9wavefront6targetE1EEEvT1_
; %bb.0:
	.section	.rodata,"a",@progbits
	.p2align	6, 0x0
	.amdhsa_kernel _ZN7rocprim17ROCPRIM_400000_NS6detail17trampoline_kernelINS0_14default_configENS1_25partition_config_selectorILNS1_17partition_subalgoE5ElNS0_10empty_typeEbEEZZNS1_14partition_implILS5_5ELb0ES3_mN6hipcub16HIPCUB_304000_NS21CountingInputIteratorIllEEPS6_NSA_22TransformInputIteratorIb7NonZeroIiEPilEENS0_5tupleIJPlS6_EEENSJ_IJSD_SD_EEES6_SK_JS6_EEE10hipError_tPvRmT3_T4_T5_T6_T7_T9_mT8_P12ihipStream_tbDpT10_ENKUlT_T0_E_clISt17integral_constantIbLb0EES16_EEDaS11_S12_EUlS11_E_NS1_11comp_targetILNS1_3genE5ELNS1_11target_archE942ELNS1_3gpuE9ELNS1_3repE0EEENS1_30default_config_static_selectorELNS0_4arch9wavefront6targetE1EEEvT1_
		.amdhsa_group_segment_fixed_size 0
		.amdhsa_private_segment_fixed_size 0
		.amdhsa_kernarg_size 120
		.amdhsa_user_sgpr_count 2
		.amdhsa_user_sgpr_dispatch_ptr 0
		.amdhsa_user_sgpr_queue_ptr 0
		.amdhsa_user_sgpr_kernarg_segment_ptr 1
		.amdhsa_user_sgpr_dispatch_id 0
		.amdhsa_user_sgpr_kernarg_preload_length 0
		.amdhsa_user_sgpr_kernarg_preload_offset 0
		.amdhsa_user_sgpr_private_segment_size 0
		.amdhsa_uses_dynamic_stack 0
		.amdhsa_enable_private_segment 0
		.amdhsa_system_sgpr_workgroup_id_x 1
		.amdhsa_system_sgpr_workgroup_id_y 0
		.amdhsa_system_sgpr_workgroup_id_z 0
		.amdhsa_system_sgpr_workgroup_info 0
		.amdhsa_system_vgpr_workitem_id 0
		.amdhsa_next_free_vgpr 1
		.amdhsa_next_free_sgpr 0
		.amdhsa_accum_offset 4
		.amdhsa_reserve_vcc 0
		.amdhsa_float_round_mode_32 0
		.amdhsa_float_round_mode_16_64 0
		.amdhsa_float_denorm_mode_32 3
		.amdhsa_float_denorm_mode_16_64 3
		.amdhsa_dx10_clamp 1
		.amdhsa_ieee_mode 1
		.amdhsa_fp16_overflow 0
		.amdhsa_tg_split 0
		.amdhsa_exception_fp_ieee_invalid_op 0
		.amdhsa_exception_fp_denorm_src 0
		.amdhsa_exception_fp_ieee_div_zero 0
		.amdhsa_exception_fp_ieee_overflow 0
		.amdhsa_exception_fp_ieee_underflow 0
		.amdhsa_exception_fp_ieee_inexact 0
		.amdhsa_exception_int_div_zero 0
	.end_amdhsa_kernel
	.section	.text._ZN7rocprim17ROCPRIM_400000_NS6detail17trampoline_kernelINS0_14default_configENS1_25partition_config_selectorILNS1_17partition_subalgoE5ElNS0_10empty_typeEbEEZZNS1_14partition_implILS5_5ELb0ES3_mN6hipcub16HIPCUB_304000_NS21CountingInputIteratorIllEEPS6_NSA_22TransformInputIteratorIb7NonZeroIiEPilEENS0_5tupleIJPlS6_EEENSJ_IJSD_SD_EEES6_SK_JS6_EEE10hipError_tPvRmT3_T4_T5_T6_T7_T9_mT8_P12ihipStream_tbDpT10_ENKUlT_T0_E_clISt17integral_constantIbLb0EES16_EEDaS11_S12_EUlS11_E_NS1_11comp_targetILNS1_3genE5ELNS1_11target_archE942ELNS1_3gpuE9ELNS1_3repE0EEENS1_30default_config_static_selectorELNS0_4arch9wavefront6targetE1EEEvT1_,"axG",@progbits,_ZN7rocprim17ROCPRIM_400000_NS6detail17trampoline_kernelINS0_14default_configENS1_25partition_config_selectorILNS1_17partition_subalgoE5ElNS0_10empty_typeEbEEZZNS1_14partition_implILS5_5ELb0ES3_mN6hipcub16HIPCUB_304000_NS21CountingInputIteratorIllEEPS6_NSA_22TransformInputIteratorIb7NonZeroIiEPilEENS0_5tupleIJPlS6_EEENSJ_IJSD_SD_EEES6_SK_JS6_EEE10hipError_tPvRmT3_T4_T5_T6_T7_T9_mT8_P12ihipStream_tbDpT10_ENKUlT_T0_E_clISt17integral_constantIbLb0EES16_EEDaS11_S12_EUlS11_E_NS1_11comp_targetILNS1_3genE5ELNS1_11target_archE942ELNS1_3gpuE9ELNS1_3repE0EEENS1_30default_config_static_selectorELNS0_4arch9wavefront6targetE1EEEvT1_,comdat
.Lfunc_end186:
	.size	_ZN7rocprim17ROCPRIM_400000_NS6detail17trampoline_kernelINS0_14default_configENS1_25partition_config_selectorILNS1_17partition_subalgoE5ElNS0_10empty_typeEbEEZZNS1_14partition_implILS5_5ELb0ES3_mN6hipcub16HIPCUB_304000_NS21CountingInputIteratorIllEEPS6_NSA_22TransformInputIteratorIb7NonZeroIiEPilEENS0_5tupleIJPlS6_EEENSJ_IJSD_SD_EEES6_SK_JS6_EEE10hipError_tPvRmT3_T4_T5_T6_T7_T9_mT8_P12ihipStream_tbDpT10_ENKUlT_T0_E_clISt17integral_constantIbLb0EES16_EEDaS11_S12_EUlS11_E_NS1_11comp_targetILNS1_3genE5ELNS1_11target_archE942ELNS1_3gpuE9ELNS1_3repE0EEENS1_30default_config_static_selectorELNS0_4arch9wavefront6targetE1EEEvT1_, .Lfunc_end186-_ZN7rocprim17ROCPRIM_400000_NS6detail17trampoline_kernelINS0_14default_configENS1_25partition_config_selectorILNS1_17partition_subalgoE5ElNS0_10empty_typeEbEEZZNS1_14partition_implILS5_5ELb0ES3_mN6hipcub16HIPCUB_304000_NS21CountingInputIteratorIllEEPS6_NSA_22TransformInputIteratorIb7NonZeroIiEPilEENS0_5tupleIJPlS6_EEENSJ_IJSD_SD_EEES6_SK_JS6_EEE10hipError_tPvRmT3_T4_T5_T6_T7_T9_mT8_P12ihipStream_tbDpT10_ENKUlT_T0_E_clISt17integral_constantIbLb0EES16_EEDaS11_S12_EUlS11_E_NS1_11comp_targetILNS1_3genE5ELNS1_11target_archE942ELNS1_3gpuE9ELNS1_3repE0EEENS1_30default_config_static_selectorELNS0_4arch9wavefront6targetE1EEEvT1_
                                        ; -- End function
	.set _ZN7rocprim17ROCPRIM_400000_NS6detail17trampoline_kernelINS0_14default_configENS1_25partition_config_selectorILNS1_17partition_subalgoE5ElNS0_10empty_typeEbEEZZNS1_14partition_implILS5_5ELb0ES3_mN6hipcub16HIPCUB_304000_NS21CountingInputIteratorIllEEPS6_NSA_22TransformInputIteratorIb7NonZeroIiEPilEENS0_5tupleIJPlS6_EEENSJ_IJSD_SD_EEES6_SK_JS6_EEE10hipError_tPvRmT3_T4_T5_T6_T7_T9_mT8_P12ihipStream_tbDpT10_ENKUlT_T0_E_clISt17integral_constantIbLb0EES16_EEDaS11_S12_EUlS11_E_NS1_11comp_targetILNS1_3genE5ELNS1_11target_archE942ELNS1_3gpuE9ELNS1_3repE0EEENS1_30default_config_static_selectorELNS0_4arch9wavefront6targetE1EEEvT1_.num_vgpr, 0
	.set _ZN7rocprim17ROCPRIM_400000_NS6detail17trampoline_kernelINS0_14default_configENS1_25partition_config_selectorILNS1_17partition_subalgoE5ElNS0_10empty_typeEbEEZZNS1_14partition_implILS5_5ELb0ES3_mN6hipcub16HIPCUB_304000_NS21CountingInputIteratorIllEEPS6_NSA_22TransformInputIteratorIb7NonZeroIiEPilEENS0_5tupleIJPlS6_EEENSJ_IJSD_SD_EEES6_SK_JS6_EEE10hipError_tPvRmT3_T4_T5_T6_T7_T9_mT8_P12ihipStream_tbDpT10_ENKUlT_T0_E_clISt17integral_constantIbLb0EES16_EEDaS11_S12_EUlS11_E_NS1_11comp_targetILNS1_3genE5ELNS1_11target_archE942ELNS1_3gpuE9ELNS1_3repE0EEENS1_30default_config_static_selectorELNS0_4arch9wavefront6targetE1EEEvT1_.num_agpr, 0
	.set _ZN7rocprim17ROCPRIM_400000_NS6detail17trampoline_kernelINS0_14default_configENS1_25partition_config_selectorILNS1_17partition_subalgoE5ElNS0_10empty_typeEbEEZZNS1_14partition_implILS5_5ELb0ES3_mN6hipcub16HIPCUB_304000_NS21CountingInputIteratorIllEEPS6_NSA_22TransformInputIteratorIb7NonZeroIiEPilEENS0_5tupleIJPlS6_EEENSJ_IJSD_SD_EEES6_SK_JS6_EEE10hipError_tPvRmT3_T4_T5_T6_T7_T9_mT8_P12ihipStream_tbDpT10_ENKUlT_T0_E_clISt17integral_constantIbLb0EES16_EEDaS11_S12_EUlS11_E_NS1_11comp_targetILNS1_3genE5ELNS1_11target_archE942ELNS1_3gpuE9ELNS1_3repE0EEENS1_30default_config_static_selectorELNS0_4arch9wavefront6targetE1EEEvT1_.numbered_sgpr, 0
	.set _ZN7rocprim17ROCPRIM_400000_NS6detail17trampoline_kernelINS0_14default_configENS1_25partition_config_selectorILNS1_17partition_subalgoE5ElNS0_10empty_typeEbEEZZNS1_14partition_implILS5_5ELb0ES3_mN6hipcub16HIPCUB_304000_NS21CountingInputIteratorIllEEPS6_NSA_22TransformInputIteratorIb7NonZeroIiEPilEENS0_5tupleIJPlS6_EEENSJ_IJSD_SD_EEES6_SK_JS6_EEE10hipError_tPvRmT3_T4_T5_T6_T7_T9_mT8_P12ihipStream_tbDpT10_ENKUlT_T0_E_clISt17integral_constantIbLb0EES16_EEDaS11_S12_EUlS11_E_NS1_11comp_targetILNS1_3genE5ELNS1_11target_archE942ELNS1_3gpuE9ELNS1_3repE0EEENS1_30default_config_static_selectorELNS0_4arch9wavefront6targetE1EEEvT1_.num_named_barrier, 0
	.set _ZN7rocprim17ROCPRIM_400000_NS6detail17trampoline_kernelINS0_14default_configENS1_25partition_config_selectorILNS1_17partition_subalgoE5ElNS0_10empty_typeEbEEZZNS1_14partition_implILS5_5ELb0ES3_mN6hipcub16HIPCUB_304000_NS21CountingInputIteratorIllEEPS6_NSA_22TransformInputIteratorIb7NonZeroIiEPilEENS0_5tupleIJPlS6_EEENSJ_IJSD_SD_EEES6_SK_JS6_EEE10hipError_tPvRmT3_T4_T5_T6_T7_T9_mT8_P12ihipStream_tbDpT10_ENKUlT_T0_E_clISt17integral_constantIbLb0EES16_EEDaS11_S12_EUlS11_E_NS1_11comp_targetILNS1_3genE5ELNS1_11target_archE942ELNS1_3gpuE9ELNS1_3repE0EEENS1_30default_config_static_selectorELNS0_4arch9wavefront6targetE1EEEvT1_.private_seg_size, 0
	.set _ZN7rocprim17ROCPRIM_400000_NS6detail17trampoline_kernelINS0_14default_configENS1_25partition_config_selectorILNS1_17partition_subalgoE5ElNS0_10empty_typeEbEEZZNS1_14partition_implILS5_5ELb0ES3_mN6hipcub16HIPCUB_304000_NS21CountingInputIteratorIllEEPS6_NSA_22TransformInputIteratorIb7NonZeroIiEPilEENS0_5tupleIJPlS6_EEENSJ_IJSD_SD_EEES6_SK_JS6_EEE10hipError_tPvRmT3_T4_T5_T6_T7_T9_mT8_P12ihipStream_tbDpT10_ENKUlT_T0_E_clISt17integral_constantIbLb0EES16_EEDaS11_S12_EUlS11_E_NS1_11comp_targetILNS1_3genE5ELNS1_11target_archE942ELNS1_3gpuE9ELNS1_3repE0EEENS1_30default_config_static_selectorELNS0_4arch9wavefront6targetE1EEEvT1_.uses_vcc, 0
	.set _ZN7rocprim17ROCPRIM_400000_NS6detail17trampoline_kernelINS0_14default_configENS1_25partition_config_selectorILNS1_17partition_subalgoE5ElNS0_10empty_typeEbEEZZNS1_14partition_implILS5_5ELb0ES3_mN6hipcub16HIPCUB_304000_NS21CountingInputIteratorIllEEPS6_NSA_22TransformInputIteratorIb7NonZeroIiEPilEENS0_5tupleIJPlS6_EEENSJ_IJSD_SD_EEES6_SK_JS6_EEE10hipError_tPvRmT3_T4_T5_T6_T7_T9_mT8_P12ihipStream_tbDpT10_ENKUlT_T0_E_clISt17integral_constantIbLb0EES16_EEDaS11_S12_EUlS11_E_NS1_11comp_targetILNS1_3genE5ELNS1_11target_archE942ELNS1_3gpuE9ELNS1_3repE0EEENS1_30default_config_static_selectorELNS0_4arch9wavefront6targetE1EEEvT1_.uses_flat_scratch, 0
	.set _ZN7rocprim17ROCPRIM_400000_NS6detail17trampoline_kernelINS0_14default_configENS1_25partition_config_selectorILNS1_17partition_subalgoE5ElNS0_10empty_typeEbEEZZNS1_14partition_implILS5_5ELb0ES3_mN6hipcub16HIPCUB_304000_NS21CountingInputIteratorIllEEPS6_NSA_22TransformInputIteratorIb7NonZeroIiEPilEENS0_5tupleIJPlS6_EEENSJ_IJSD_SD_EEES6_SK_JS6_EEE10hipError_tPvRmT3_T4_T5_T6_T7_T9_mT8_P12ihipStream_tbDpT10_ENKUlT_T0_E_clISt17integral_constantIbLb0EES16_EEDaS11_S12_EUlS11_E_NS1_11comp_targetILNS1_3genE5ELNS1_11target_archE942ELNS1_3gpuE9ELNS1_3repE0EEENS1_30default_config_static_selectorELNS0_4arch9wavefront6targetE1EEEvT1_.has_dyn_sized_stack, 0
	.set _ZN7rocprim17ROCPRIM_400000_NS6detail17trampoline_kernelINS0_14default_configENS1_25partition_config_selectorILNS1_17partition_subalgoE5ElNS0_10empty_typeEbEEZZNS1_14partition_implILS5_5ELb0ES3_mN6hipcub16HIPCUB_304000_NS21CountingInputIteratorIllEEPS6_NSA_22TransformInputIteratorIb7NonZeroIiEPilEENS0_5tupleIJPlS6_EEENSJ_IJSD_SD_EEES6_SK_JS6_EEE10hipError_tPvRmT3_T4_T5_T6_T7_T9_mT8_P12ihipStream_tbDpT10_ENKUlT_T0_E_clISt17integral_constantIbLb0EES16_EEDaS11_S12_EUlS11_E_NS1_11comp_targetILNS1_3genE5ELNS1_11target_archE942ELNS1_3gpuE9ELNS1_3repE0EEENS1_30default_config_static_selectorELNS0_4arch9wavefront6targetE1EEEvT1_.has_recursion, 0
	.set _ZN7rocprim17ROCPRIM_400000_NS6detail17trampoline_kernelINS0_14default_configENS1_25partition_config_selectorILNS1_17partition_subalgoE5ElNS0_10empty_typeEbEEZZNS1_14partition_implILS5_5ELb0ES3_mN6hipcub16HIPCUB_304000_NS21CountingInputIteratorIllEEPS6_NSA_22TransformInputIteratorIb7NonZeroIiEPilEENS0_5tupleIJPlS6_EEENSJ_IJSD_SD_EEES6_SK_JS6_EEE10hipError_tPvRmT3_T4_T5_T6_T7_T9_mT8_P12ihipStream_tbDpT10_ENKUlT_T0_E_clISt17integral_constantIbLb0EES16_EEDaS11_S12_EUlS11_E_NS1_11comp_targetILNS1_3genE5ELNS1_11target_archE942ELNS1_3gpuE9ELNS1_3repE0EEENS1_30default_config_static_selectorELNS0_4arch9wavefront6targetE1EEEvT1_.has_indirect_call, 0
	.section	.AMDGPU.csdata,"",@progbits
; Kernel info:
; codeLenInByte = 0
; TotalNumSgprs: 6
; NumVgprs: 0
; NumAgprs: 0
; TotalNumVgprs: 0
; ScratchSize: 0
; MemoryBound: 0
; FloatMode: 240
; IeeeMode: 1
; LDSByteSize: 0 bytes/workgroup (compile time only)
; SGPRBlocks: 0
; VGPRBlocks: 0
; NumSGPRsForWavesPerEU: 6
; NumVGPRsForWavesPerEU: 1
; AccumOffset: 4
; Occupancy: 8
; WaveLimiterHint : 0
; COMPUTE_PGM_RSRC2:SCRATCH_EN: 0
; COMPUTE_PGM_RSRC2:USER_SGPR: 2
; COMPUTE_PGM_RSRC2:TRAP_HANDLER: 0
; COMPUTE_PGM_RSRC2:TGID_X_EN: 1
; COMPUTE_PGM_RSRC2:TGID_Y_EN: 0
; COMPUTE_PGM_RSRC2:TGID_Z_EN: 0
; COMPUTE_PGM_RSRC2:TIDIG_COMP_CNT: 0
; COMPUTE_PGM_RSRC3_GFX90A:ACCUM_OFFSET: 0
; COMPUTE_PGM_RSRC3_GFX90A:TG_SPLIT: 0
	.section	.text._ZN7rocprim17ROCPRIM_400000_NS6detail17trampoline_kernelINS0_14default_configENS1_25partition_config_selectorILNS1_17partition_subalgoE5ElNS0_10empty_typeEbEEZZNS1_14partition_implILS5_5ELb0ES3_mN6hipcub16HIPCUB_304000_NS21CountingInputIteratorIllEEPS6_NSA_22TransformInputIteratorIb7NonZeroIiEPilEENS0_5tupleIJPlS6_EEENSJ_IJSD_SD_EEES6_SK_JS6_EEE10hipError_tPvRmT3_T4_T5_T6_T7_T9_mT8_P12ihipStream_tbDpT10_ENKUlT_T0_E_clISt17integral_constantIbLb0EES16_EEDaS11_S12_EUlS11_E_NS1_11comp_targetILNS1_3genE4ELNS1_11target_archE910ELNS1_3gpuE8ELNS1_3repE0EEENS1_30default_config_static_selectorELNS0_4arch9wavefront6targetE1EEEvT1_,"axG",@progbits,_ZN7rocprim17ROCPRIM_400000_NS6detail17trampoline_kernelINS0_14default_configENS1_25partition_config_selectorILNS1_17partition_subalgoE5ElNS0_10empty_typeEbEEZZNS1_14partition_implILS5_5ELb0ES3_mN6hipcub16HIPCUB_304000_NS21CountingInputIteratorIllEEPS6_NSA_22TransformInputIteratorIb7NonZeroIiEPilEENS0_5tupleIJPlS6_EEENSJ_IJSD_SD_EEES6_SK_JS6_EEE10hipError_tPvRmT3_T4_T5_T6_T7_T9_mT8_P12ihipStream_tbDpT10_ENKUlT_T0_E_clISt17integral_constantIbLb0EES16_EEDaS11_S12_EUlS11_E_NS1_11comp_targetILNS1_3genE4ELNS1_11target_archE910ELNS1_3gpuE8ELNS1_3repE0EEENS1_30default_config_static_selectorELNS0_4arch9wavefront6targetE1EEEvT1_,comdat
	.protected	_ZN7rocprim17ROCPRIM_400000_NS6detail17trampoline_kernelINS0_14default_configENS1_25partition_config_selectorILNS1_17partition_subalgoE5ElNS0_10empty_typeEbEEZZNS1_14partition_implILS5_5ELb0ES3_mN6hipcub16HIPCUB_304000_NS21CountingInputIteratorIllEEPS6_NSA_22TransformInputIteratorIb7NonZeroIiEPilEENS0_5tupleIJPlS6_EEENSJ_IJSD_SD_EEES6_SK_JS6_EEE10hipError_tPvRmT3_T4_T5_T6_T7_T9_mT8_P12ihipStream_tbDpT10_ENKUlT_T0_E_clISt17integral_constantIbLb0EES16_EEDaS11_S12_EUlS11_E_NS1_11comp_targetILNS1_3genE4ELNS1_11target_archE910ELNS1_3gpuE8ELNS1_3repE0EEENS1_30default_config_static_selectorELNS0_4arch9wavefront6targetE1EEEvT1_ ; -- Begin function _ZN7rocprim17ROCPRIM_400000_NS6detail17trampoline_kernelINS0_14default_configENS1_25partition_config_selectorILNS1_17partition_subalgoE5ElNS0_10empty_typeEbEEZZNS1_14partition_implILS5_5ELb0ES3_mN6hipcub16HIPCUB_304000_NS21CountingInputIteratorIllEEPS6_NSA_22TransformInputIteratorIb7NonZeroIiEPilEENS0_5tupleIJPlS6_EEENSJ_IJSD_SD_EEES6_SK_JS6_EEE10hipError_tPvRmT3_T4_T5_T6_T7_T9_mT8_P12ihipStream_tbDpT10_ENKUlT_T0_E_clISt17integral_constantIbLb0EES16_EEDaS11_S12_EUlS11_E_NS1_11comp_targetILNS1_3genE4ELNS1_11target_archE910ELNS1_3gpuE8ELNS1_3repE0EEENS1_30default_config_static_selectorELNS0_4arch9wavefront6targetE1EEEvT1_
	.globl	_ZN7rocprim17ROCPRIM_400000_NS6detail17trampoline_kernelINS0_14default_configENS1_25partition_config_selectorILNS1_17partition_subalgoE5ElNS0_10empty_typeEbEEZZNS1_14partition_implILS5_5ELb0ES3_mN6hipcub16HIPCUB_304000_NS21CountingInputIteratorIllEEPS6_NSA_22TransformInputIteratorIb7NonZeroIiEPilEENS0_5tupleIJPlS6_EEENSJ_IJSD_SD_EEES6_SK_JS6_EEE10hipError_tPvRmT3_T4_T5_T6_T7_T9_mT8_P12ihipStream_tbDpT10_ENKUlT_T0_E_clISt17integral_constantIbLb0EES16_EEDaS11_S12_EUlS11_E_NS1_11comp_targetILNS1_3genE4ELNS1_11target_archE910ELNS1_3gpuE8ELNS1_3repE0EEENS1_30default_config_static_selectorELNS0_4arch9wavefront6targetE1EEEvT1_
	.p2align	8
	.type	_ZN7rocprim17ROCPRIM_400000_NS6detail17trampoline_kernelINS0_14default_configENS1_25partition_config_selectorILNS1_17partition_subalgoE5ElNS0_10empty_typeEbEEZZNS1_14partition_implILS5_5ELb0ES3_mN6hipcub16HIPCUB_304000_NS21CountingInputIteratorIllEEPS6_NSA_22TransformInputIteratorIb7NonZeroIiEPilEENS0_5tupleIJPlS6_EEENSJ_IJSD_SD_EEES6_SK_JS6_EEE10hipError_tPvRmT3_T4_T5_T6_T7_T9_mT8_P12ihipStream_tbDpT10_ENKUlT_T0_E_clISt17integral_constantIbLb0EES16_EEDaS11_S12_EUlS11_E_NS1_11comp_targetILNS1_3genE4ELNS1_11target_archE910ELNS1_3gpuE8ELNS1_3repE0EEENS1_30default_config_static_selectorELNS0_4arch9wavefront6targetE1EEEvT1_,@function
_ZN7rocprim17ROCPRIM_400000_NS6detail17trampoline_kernelINS0_14default_configENS1_25partition_config_selectorILNS1_17partition_subalgoE5ElNS0_10empty_typeEbEEZZNS1_14partition_implILS5_5ELb0ES3_mN6hipcub16HIPCUB_304000_NS21CountingInputIteratorIllEEPS6_NSA_22TransformInputIteratorIb7NonZeroIiEPilEENS0_5tupleIJPlS6_EEENSJ_IJSD_SD_EEES6_SK_JS6_EEE10hipError_tPvRmT3_T4_T5_T6_T7_T9_mT8_P12ihipStream_tbDpT10_ENKUlT_T0_E_clISt17integral_constantIbLb0EES16_EEDaS11_S12_EUlS11_E_NS1_11comp_targetILNS1_3genE4ELNS1_11target_archE910ELNS1_3gpuE8ELNS1_3repE0EEENS1_30default_config_static_selectorELNS0_4arch9wavefront6targetE1EEEvT1_: ; @_ZN7rocprim17ROCPRIM_400000_NS6detail17trampoline_kernelINS0_14default_configENS1_25partition_config_selectorILNS1_17partition_subalgoE5ElNS0_10empty_typeEbEEZZNS1_14partition_implILS5_5ELb0ES3_mN6hipcub16HIPCUB_304000_NS21CountingInputIteratorIllEEPS6_NSA_22TransformInputIteratorIb7NonZeroIiEPilEENS0_5tupleIJPlS6_EEENSJ_IJSD_SD_EEES6_SK_JS6_EEE10hipError_tPvRmT3_T4_T5_T6_T7_T9_mT8_P12ihipStream_tbDpT10_ENKUlT_T0_E_clISt17integral_constantIbLb0EES16_EEDaS11_S12_EUlS11_E_NS1_11comp_targetILNS1_3genE4ELNS1_11target_archE910ELNS1_3gpuE8ELNS1_3repE0EEENS1_30default_config_static_selectorELNS0_4arch9wavefront6targetE1EEEvT1_
; %bb.0:
	.section	.rodata,"a",@progbits
	.p2align	6, 0x0
	.amdhsa_kernel _ZN7rocprim17ROCPRIM_400000_NS6detail17trampoline_kernelINS0_14default_configENS1_25partition_config_selectorILNS1_17partition_subalgoE5ElNS0_10empty_typeEbEEZZNS1_14partition_implILS5_5ELb0ES3_mN6hipcub16HIPCUB_304000_NS21CountingInputIteratorIllEEPS6_NSA_22TransformInputIteratorIb7NonZeroIiEPilEENS0_5tupleIJPlS6_EEENSJ_IJSD_SD_EEES6_SK_JS6_EEE10hipError_tPvRmT3_T4_T5_T6_T7_T9_mT8_P12ihipStream_tbDpT10_ENKUlT_T0_E_clISt17integral_constantIbLb0EES16_EEDaS11_S12_EUlS11_E_NS1_11comp_targetILNS1_3genE4ELNS1_11target_archE910ELNS1_3gpuE8ELNS1_3repE0EEENS1_30default_config_static_selectorELNS0_4arch9wavefront6targetE1EEEvT1_
		.amdhsa_group_segment_fixed_size 0
		.amdhsa_private_segment_fixed_size 0
		.amdhsa_kernarg_size 120
		.amdhsa_user_sgpr_count 2
		.amdhsa_user_sgpr_dispatch_ptr 0
		.amdhsa_user_sgpr_queue_ptr 0
		.amdhsa_user_sgpr_kernarg_segment_ptr 1
		.amdhsa_user_sgpr_dispatch_id 0
		.amdhsa_user_sgpr_kernarg_preload_length 0
		.amdhsa_user_sgpr_kernarg_preload_offset 0
		.amdhsa_user_sgpr_private_segment_size 0
		.amdhsa_uses_dynamic_stack 0
		.amdhsa_enable_private_segment 0
		.amdhsa_system_sgpr_workgroup_id_x 1
		.amdhsa_system_sgpr_workgroup_id_y 0
		.amdhsa_system_sgpr_workgroup_id_z 0
		.amdhsa_system_sgpr_workgroup_info 0
		.amdhsa_system_vgpr_workitem_id 0
		.amdhsa_next_free_vgpr 1
		.amdhsa_next_free_sgpr 0
		.amdhsa_accum_offset 4
		.amdhsa_reserve_vcc 0
		.amdhsa_float_round_mode_32 0
		.amdhsa_float_round_mode_16_64 0
		.amdhsa_float_denorm_mode_32 3
		.amdhsa_float_denorm_mode_16_64 3
		.amdhsa_dx10_clamp 1
		.amdhsa_ieee_mode 1
		.amdhsa_fp16_overflow 0
		.amdhsa_tg_split 0
		.amdhsa_exception_fp_ieee_invalid_op 0
		.amdhsa_exception_fp_denorm_src 0
		.amdhsa_exception_fp_ieee_div_zero 0
		.amdhsa_exception_fp_ieee_overflow 0
		.amdhsa_exception_fp_ieee_underflow 0
		.amdhsa_exception_fp_ieee_inexact 0
		.amdhsa_exception_int_div_zero 0
	.end_amdhsa_kernel
	.section	.text._ZN7rocprim17ROCPRIM_400000_NS6detail17trampoline_kernelINS0_14default_configENS1_25partition_config_selectorILNS1_17partition_subalgoE5ElNS0_10empty_typeEbEEZZNS1_14partition_implILS5_5ELb0ES3_mN6hipcub16HIPCUB_304000_NS21CountingInputIteratorIllEEPS6_NSA_22TransformInputIteratorIb7NonZeroIiEPilEENS0_5tupleIJPlS6_EEENSJ_IJSD_SD_EEES6_SK_JS6_EEE10hipError_tPvRmT3_T4_T5_T6_T7_T9_mT8_P12ihipStream_tbDpT10_ENKUlT_T0_E_clISt17integral_constantIbLb0EES16_EEDaS11_S12_EUlS11_E_NS1_11comp_targetILNS1_3genE4ELNS1_11target_archE910ELNS1_3gpuE8ELNS1_3repE0EEENS1_30default_config_static_selectorELNS0_4arch9wavefront6targetE1EEEvT1_,"axG",@progbits,_ZN7rocprim17ROCPRIM_400000_NS6detail17trampoline_kernelINS0_14default_configENS1_25partition_config_selectorILNS1_17partition_subalgoE5ElNS0_10empty_typeEbEEZZNS1_14partition_implILS5_5ELb0ES3_mN6hipcub16HIPCUB_304000_NS21CountingInputIteratorIllEEPS6_NSA_22TransformInputIteratorIb7NonZeroIiEPilEENS0_5tupleIJPlS6_EEENSJ_IJSD_SD_EEES6_SK_JS6_EEE10hipError_tPvRmT3_T4_T5_T6_T7_T9_mT8_P12ihipStream_tbDpT10_ENKUlT_T0_E_clISt17integral_constantIbLb0EES16_EEDaS11_S12_EUlS11_E_NS1_11comp_targetILNS1_3genE4ELNS1_11target_archE910ELNS1_3gpuE8ELNS1_3repE0EEENS1_30default_config_static_selectorELNS0_4arch9wavefront6targetE1EEEvT1_,comdat
.Lfunc_end187:
	.size	_ZN7rocprim17ROCPRIM_400000_NS6detail17trampoline_kernelINS0_14default_configENS1_25partition_config_selectorILNS1_17partition_subalgoE5ElNS0_10empty_typeEbEEZZNS1_14partition_implILS5_5ELb0ES3_mN6hipcub16HIPCUB_304000_NS21CountingInputIteratorIllEEPS6_NSA_22TransformInputIteratorIb7NonZeroIiEPilEENS0_5tupleIJPlS6_EEENSJ_IJSD_SD_EEES6_SK_JS6_EEE10hipError_tPvRmT3_T4_T5_T6_T7_T9_mT8_P12ihipStream_tbDpT10_ENKUlT_T0_E_clISt17integral_constantIbLb0EES16_EEDaS11_S12_EUlS11_E_NS1_11comp_targetILNS1_3genE4ELNS1_11target_archE910ELNS1_3gpuE8ELNS1_3repE0EEENS1_30default_config_static_selectorELNS0_4arch9wavefront6targetE1EEEvT1_, .Lfunc_end187-_ZN7rocprim17ROCPRIM_400000_NS6detail17trampoline_kernelINS0_14default_configENS1_25partition_config_selectorILNS1_17partition_subalgoE5ElNS0_10empty_typeEbEEZZNS1_14partition_implILS5_5ELb0ES3_mN6hipcub16HIPCUB_304000_NS21CountingInputIteratorIllEEPS6_NSA_22TransformInputIteratorIb7NonZeroIiEPilEENS0_5tupleIJPlS6_EEENSJ_IJSD_SD_EEES6_SK_JS6_EEE10hipError_tPvRmT3_T4_T5_T6_T7_T9_mT8_P12ihipStream_tbDpT10_ENKUlT_T0_E_clISt17integral_constantIbLb0EES16_EEDaS11_S12_EUlS11_E_NS1_11comp_targetILNS1_3genE4ELNS1_11target_archE910ELNS1_3gpuE8ELNS1_3repE0EEENS1_30default_config_static_selectorELNS0_4arch9wavefront6targetE1EEEvT1_
                                        ; -- End function
	.set _ZN7rocprim17ROCPRIM_400000_NS6detail17trampoline_kernelINS0_14default_configENS1_25partition_config_selectorILNS1_17partition_subalgoE5ElNS0_10empty_typeEbEEZZNS1_14partition_implILS5_5ELb0ES3_mN6hipcub16HIPCUB_304000_NS21CountingInputIteratorIllEEPS6_NSA_22TransformInputIteratorIb7NonZeroIiEPilEENS0_5tupleIJPlS6_EEENSJ_IJSD_SD_EEES6_SK_JS6_EEE10hipError_tPvRmT3_T4_T5_T6_T7_T9_mT8_P12ihipStream_tbDpT10_ENKUlT_T0_E_clISt17integral_constantIbLb0EES16_EEDaS11_S12_EUlS11_E_NS1_11comp_targetILNS1_3genE4ELNS1_11target_archE910ELNS1_3gpuE8ELNS1_3repE0EEENS1_30default_config_static_selectorELNS0_4arch9wavefront6targetE1EEEvT1_.num_vgpr, 0
	.set _ZN7rocprim17ROCPRIM_400000_NS6detail17trampoline_kernelINS0_14default_configENS1_25partition_config_selectorILNS1_17partition_subalgoE5ElNS0_10empty_typeEbEEZZNS1_14partition_implILS5_5ELb0ES3_mN6hipcub16HIPCUB_304000_NS21CountingInputIteratorIllEEPS6_NSA_22TransformInputIteratorIb7NonZeroIiEPilEENS0_5tupleIJPlS6_EEENSJ_IJSD_SD_EEES6_SK_JS6_EEE10hipError_tPvRmT3_T4_T5_T6_T7_T9_mT8_P12ihipStream_tbDpT10_ENKUlT_T0_E_clISt17integral_constantIbLb0EES16_EEDaS11_S12_EUlS11_E_NS1_11comp_targetILNS1_3genE4ELNS1_11target_archE910ELNS1_3gpuE8ELNS1_3repE0EEENS1_30default_config_static_selectorELNS0_4arch9wavefront6targetE1EEEvT1_.num_agpr, 0
	.set _ZN7rocprim17ROCPRIM_400000_NS6detail17trampoline_kernelINS0_14default_configENS1_25partition_config_selectorILNS1_17partition_subalgoE5ElNS0_10empty_typeEbEEZZNS1_14partition_implILS5_5ELb0ES3_mN6hipcub16HIPCUB_304000_NS21CountingInputIteratorIllEEPS6_NSA_22TransformInputIteratorIb7NonZeroIiEPilEENS0_5tupleIJPlS6_EEENSJ_IJSD_SD_EEES6_SK_JS6_EEE10hipError_tPvRmT3_T4_T5_T6_T7_T9_mT8_P12ihipStream_tbDpT10_ENKUlT_T0_E_clISt17integral_constantIbLb0EES16_EEDaS11_S12_EUlS11_E_NS1_11comp_targetILNS1_3genE4ELNS1_11target_archE910ELNS1_3gpuE8ELNS1_3repE0EEENS1_30default_config_static_selectorELNS0_4arch9wavefront6targetE1EEEvT1_.numbered_sgpr, 0
	.set _ZN7rocprim17ROCPRIM_400000_NS6detail17trampoline_kernelINS0_14default_configENS1_25partition_config_selectorILNS1_17partition_subalgoE5ElNS0_10empty_typeEbEEZZNS1_14partition_implILS5_5ELb0ES3_mN6hipcub16HIPCUB_304000_NS21CountingInputIteratorIllEEPS6_NSA_22TransformInputIteratorIb7NonZeroIiEPilEENS0_5tupleIJPlS6_EEENSJ_IJSD_SD_EEES6_SK_JS6_EEE10hipError_tPvRmT3_T4_T5_T6_T7_T9_mT8_P12ihipStream_tbDpT10_ENKUlT_T0_E_clISt17integral_constantIbLb0EES16_EEDaS11_S12_EUlS11_E_NS1_11comp_targetILNS1_3genE4ELNS1_11target_archE910ELNS1_3gpuE8ELNS1_3repE0EEENS1_30default_config_static_selectorELNS0_4arch9wavefront6targetE1EEEvT1_.num_named_barrier, 0
	.set _ZN7rocprim17ROCPRIM_400000_NS6detail17trampoline_kernelINS0_14default_configENS1_25partition_config_selectorILNS1_17partition_subalgoE5ElNS0_10empty_typeEbEEZZNS1_14partition_implILS5_5ELb0ES3_mN6hipcub16HIPCUB_304000_NS21CountingInputIteratorIllEEPS6_NSA_22TransformInputIteratorIb7NonZeroIiEPilEENS0_5tupleIJPlS6_EEENSJ_IJSD_SD_EEES6_SK_JS6_EEE10hipError_tPvRmT3_T4_T5_T6_T7_T9_mT8_P12ihipStream_tbDpT10_ENKUlT_T0_E_clISt17integral_constantIbLb0EES16_EEDaS11_S12_EUlS11_E_NS1_11comp_targetILNS1_3genE4ELNS1_11target_archE910ELNS1_3gpuE8ELNS1_3repE0EEENS1_30default_config_static_selectorELNS0_4arch9wavefront6targetE1EEEvT1_.private_seg_size, 0
	.set _ZN7rocprim17ROCPRIM_400000_NS6detail17trampoline_kernelINS0_14default_configENS1_25partition_config_selectorILNS1_17partition_subalgoE5ElNS0_10empty_typeEbEEZZNS1_14partition_implILS5_5ELb0ES3_mN6hipcub16HIPCUB_304000_NS21CountingInputIteratorIllEEPS6_NSA_22TransformInputIteratorIb7NonZeroIiEPilEENS0_5tupleIJPlS6_EEENSJ_IJSD_SD_EEES6_SK_JS6_EEE10hipError_tPvRmT3_T4_T5_T6_T7_T9_mT8_P12ihipStream_tbDpT10_ENKUlT_T0_E_clISt17integral_constantIbLb0EES16_EEDaS11_S12_EUlS11_E_NS1_11comp_targetILNS1_3genE4ELNS1_11target_archE910ELNS1_3gpuE8ELNS1_3repE0EEENS1_30default_config_static_selectorELNS0_4arch9wavefront6targetE1EEEvT1_.uses_vcc, 0
	.set _ZN7rocprim17ROCPRIM_400000_NS6detail17trampoline_kernelINS0_14default_configENS1_25partition_config_selectorILNS1_17partition_subalgoE5ElNS0_10empty_typeEbEEZZNS1_14partition_implILS5_5ELb0ES3_mN6hipcub16HIPCUB_304000_NS21CountingInputIteratorIllEEPS6_NSA_22TransformInputIteratorIb7NonZeroIiEPilEENS0_5tupleIJPlS6_EEENSJ_IJSD_SD_EEES6_SK_JS6_EEE10hipError_tPvRmT3_T4_T5_T6_T7_T9_mT8_P12ihipStream_tbDpT10_ENKUlT_T0_E_clISt17integral_constantIbLb0EES16_EEDaS11_S12_EUlS11_E_NS1_11comp_targetILNS1_3genE4ELNS1_11target_archE910ELNS1_3gpuE8ELNS1_3repE0EEENS1_30default_config_static_selectorELNS0_4arch9wavefront6targetE1EEEvT1_.uses_flat_scratch, 0
	.set _ZN7rocprim17ROCPRIM_400000_NS6detail17trampoline_kernelINS0_14default_configENS1_25partition_config_selectorILNS1_17partition_subalgoE5ElNS0_10empty_typeEbEEZZNS1_14partition_implILS5_5ELb0ES3_mN6hipcub16HIPCUB_304000_NS21CountingInputIteratorIllEEPS6_NSA_22TransformInputIteratorIb7NonZeroIiEPilEENS0_5tupleIJPlS6_EEENSJ_IJSD_SD_EEES6_SK_JS6_EEE10hipError_tPvRmT3_T4_T5_T6_T7_T9_mT8_P12ihipStream_tbDpT10_ENKUlT_T0_E_clISt17integral_constantIbLb0EES16_EEDaS11_S12_EUlS11_E_NS1_11comp_targetILNS1_3genE4ELNS1_11target_archE910ELNS1_3gpuE8ELNS1_3repE0EEENS1_30default_config_static_selectorELNS0_4arch9wavefront6targetE1EEEvT1_.has_dyn_sized_stack, 0
	.set _ZN7rocprim17ROCPRIM_400000_NS6detail17trampoline_kernelINS0_14default_configENS1_25partition_config_selectorILNS1_17partition_subalgoE5ElNS0_10empty_typeEbEEZZNS1_14partition_implILS5_5ELb0ES3_mN6hipcub16HIPCUB_304000_NS21CountingInputIteratorIllEEPS6_NSA_22TransformInputIteratorIb7NonZeroIiEPilEENS0_5tupleIJPlS6_EEENSJ_IJSD_SD_EEES6_SK_JS6_EEE10hipError_tPvRmT3_T4_T5_T6_T7_T9_mT8_P12ihipStream_tbDpT10_ENKUlT_T0_E_clISt17integral_constantIbLb0EES16_EEDaS11_S12_EUlS11_E_NS1_11comp_targetILNS1_3genE4ELNS1_11target_archE910ELNS1_3gpuE8ELNS1_3repE0EEENS1_30default_config_static_selectorELNS0_4arch9wavefront6targetE1EEEvT1_.has_recursion, 0
	.set _ZN7rocprim17ROCPRIM_400000_NS6detail17trampoline_kernelINS0_14default_configENS1_25partition_config_selectorILNS1_17partition_subalgoE5ElNS0_10empty_typeEbEEZZNS1_14partition_implILS5_5ELb0ES3_mN6hipcub16HIPCUB_304000_NS21CountingInputIteratorIllEEPS6_NSA_22TransformInputIteratorIb7NonZeroIiEPilEENS0_5tupleIJPlS6_EEENSJ_IJSD_SD_EEES6_SK_JS6_EEE10hipError_tPvRmT3_T4_T5_T6_T7_T9_mT8_P12ihipStream_tbDpT10_ENKUlT_T0_E_clISt17integral_constantIbLb0EES16_EEDaS11_S12_EUlS11_E_NS1_11comp_targetILNS1_3genE4ELNS1_11target_archE910ELNS1_3gpuE8ELNS1_3repE0EEENS1_30default_config_static_selectorELNS0_4arch9wavefront6targetE1EEEvT1_.has_indirect_call, 0
	.section	.AMDGPU.csdata,"",@progbits
; Kernel info:
; codeLenInByte = 0
; TotalNumSgprs: 6
; NumVgprs: 0
; NumAgprs: 0
; TotalNumVgprs: 0
; ScratchSize: 0
; MemoryBound: 0
; FloatMode: 240
; IeeeMode: 1
; LDSByteSize: 0 bytes/workgroup (compile time only)
; SGPRBlocks: 0
; VGPRBlocks: 0
; NumSGPRsForWavesPerEU: 6
; NumVGPRsForWavesPerEU: 1
; AccumOffset: 4
; Occupancy: 8
; WaveLimiterHint : 0
; COMPUTE_PGM_RSRC2:SCRATCH_EN: 0
; COMPUTE_PGM_RSRC2:USER_SGPR: 2
; COMPUTE_PGM_RSRC2:TRAP_HANDLER: 0
; COMPUTE_PGM_RSRC2:TGID_X_EN: 1
; COMPUTE_PGM_RSRC2:TGID_Y_EN: 0
; COMPUTE_PGM_RSRC2:TGID_Z_EN: 0
; COMPUTE_PGM_RSRC2:TIDIG_COMP_CNT: 0
; COMPUTE_PGM_RSRC3_GFX90A:ACCUM_OFFSET: 0
; COMPUTE_PGM_RSRC3_GFX90A:TG_SPLIT: 0
	.section	.text._ZN7rocprim17ROCPRIM_400000_NS6detail17trampoline_kernelINS0_14default_configENS1_25partition_config_selectorILNS1_17partition_subalgoE5ElNS0_10empty_typeEbEEZZNS1_14partition_implILS5_5ELb0ES3_mN6hipcub16HIPCUB_304000_NS21CountingInputIteratorIllEEPS6_NSA_22TransformInputIteratorIb7NonZeroIiEPilEENS0_5tupleIJPlS6_EEENSJ_IJSD_SD_EEES6_SK_JS6_EEE10hipError_tPvRmT3_T4_T5_T6_T7_T9_mT8_P12ihipStream_tbDpT10_ENKUlT_T0_E_clISt17integral_constantIbLb0EES16_EEDaS11_S12_EUlS11_E_NS1_11comp_targetILNS1_3genE3ELNS1_11target_archE908ELNS1_3gpuE7ELNS1_3repE0EEENS1_30default_config_static_selectorELNS0_4arch9wavefront6targetE1EEEvT1_,"axG",@progbits,_ZN7rocprim17ROCPRIM_400000_NS6detail17trampoline_kernelINS0_14default_configENS1_25partition_config_selectorILNS1_17partition_subalgoE5ElNS0_10empty_typeEbEEZZNS1_14partition_implILS5_5ELb0ES3_mN6hipcub16HIPCUB_304000_NS21CountingInputIteratorIllEEPS6_NSA_22TransformInputIteratorIb7NonZeroIiEPilEENS0_5tupleIJPlS6_EEENSJ_IJSD_SD_EEES6_SK_JS6_EEE10hipError_tPvRmT3_T4_T5_T6_T7_T9_mT8_P12ihipStream_tbDpT10_ENKUlT_T0_E_clISt17integral_constantIbLb0EES16_EEDaS11_S12_EUlS11_E_NS1_11comp_targetILNS1_3genE3ELNS1_11target_archE908ELNS1_3gpuE7ELNS1_3repE0EEENS1_30default_config_static_selectorELNS0_4arch9wavefront6targetE1EEEvT1_,comdat
	.protected	_ZN7rocprim17ROCPRIM_400000_NS6detail17trampoline_kernelINS0_14default_configENS1_25partition_config_selectorILNS1_17partition_subalgoE5ElNS0_10empty_typeEbEEZZNS1_14partition_implILS5_5ELb0ES3_mN6hipcub16HIPCUB_304000_NS21CountingInputIteratorIllEEPS6_NSA_22TransformInputIteratorIb7NonZeroIiEPilEENS0_5tupleIJPlS6_EEENSJ_IJSD_SD_EEES6_SK_JS6_EEE10hipError_tPvRmT3_T4_T5_T6_T7_T9_mT8_P12ihipStream_tbDpT10_ENKUlT_T0_E_clISt17integral_constantIbLb0EES16_EEDaS11_S12_EUlS11_E_NS1_11comp_targetILNS1_3genE3ELNS1_11target_archE908ELNS1_3gpuE7ELNS1_3repE0EEENS1_30default_config_static_selectorELNS0_4arch9wavefront6targetE1EEEvT1_ ; -- Begin function _ZN7rocprim17ROCPRIM_400000_NS6detail17trampoline_kernelINS0_14default_configENS1_25partition_config_selectorILNS1_17partition_subalgoE5ElNS0_10empty_typeEbEEZZNS1_14partition_implILS5_5ELb0ES3_mN6hipcub16HIPCUB_304000_NS21CountingInputIteratorIllEEPS6_NSA_22TransformInputIteratorIb7NonZeroIiEPilEENS0_5tupleIJPlS6_EEENSJ_IJSD_SD_EEES6_SK_JS6_EEE10hipError_tPvRmT3_T4_T5_T6_T7_T9_mT8_P12ihipStream_tbDpT10_ENKUlT_T0_E_clISt17integral_constantIbLb0EES16_EEDaS11_S12_EUlS11_E_NS1_11comp_targetILNS1_3genE3ELNS1_11target_archE908ELNS1_3gpuE7ELNS1_3repE0EEENS1_30default_config_static_selectorELNS0_4arch9wavefront6targetE1EEEvT1_
	.globl	_ZN7rocprim17ROCPRIM_400000_NS6detail17trampoline_kernelINS0_14default_configENS1_25partition_config_selectorILNS1_17partition_subalgoE5ElNS0_10empty_typeEbEEZZNS1_14partition_implILS5_5ELb0ES3_mN6hipcub16HIPCUB_304000_NS21CountingInputIteratorIllEEPS6_NSA_22TransformInputIteratorIb7NonZeroIiEPilEENS0_5tupleIJPlS6_EEENSJ_IJSD_SD_EEES6_SK_JS6_EEE10hipError_tPvRmT3_T4_T5_T6_T7_T9_mT8_P12ihipStream_tbDpT10_ENKUlT_T0_E_clISt17integral_constantIbLb0EES16_EEDaS11_S12_EUlS11_E_NS1_11comp_targetILNS1_3genE3ELNS1_11target_archE908ELNS1_3gpuE7ELNS1_3repE0EEENS1_30default_config_static_selectorELNS0_4arch9wavefront6targetE1EEEvT1_
	.p2align	8
	.type	_ZN7rocprim17ROCPRIM_400000_NS6detail17trampoline_kernelINS0_14default_configENS1_25partition_config_selectorILNS1_17partition_subalgoE5ElNS0_10empty_typeEbEEZZNS1_14partition_implILS5_5ELb0ES3_mN6hipcub16HIPCUB_304000_NS21CountingInputIteratorIllEEPS6_NSA_22TransformInputIteratorIb7NonZeroIiEPilEENS0_5tupleIJPlS6_EEENSJ_IJSD_SD_EEES6_SK_JS6_EEE10hipError_tPvRmT3_T4_T5_T6_T7_T9_mT8_P12ihipStream_tbDpT10_ENKUlT_T0_E_clISt17integral_constantIbLb0EES16_EEDaS11_S12_EUlS11_E_NS1_11comp_targetILNS1_3genE3ELNS1_11target_archE908ELNS1_3gpuE7ELNS1_3repE0EEENS1_30default_config_static_selectorELNS0_4arch9wavefront6targetE1EEEvT1_,@function
_ZN7rocprim17ROCPRIM_400000_NS6detail17trampoline_kernelINS0_14default_configENS1_25partition_config_selectorILNS1_17partition_subalgoE5ElNS0_10empty_typeEbEEZZNS1_14partition_implILS5_5ELb0ES3_mN6hipcub16HIPCUB_304000_NS21CountingInputIteratorIllEEPS6_NSA_22TransformInputIteratorIb7NonZeroIiEPilEENS0_5tupleIJPlS6_EEENSJ_IJSD_SD_EEES6_SK_JS6_EEE10hipError_tPvRmT3_T4_T5_T6_T7_T9_mT8_P12ihipStream_tbDpT10_ENKUlT_T0_E_clISt17integral_constantIbLb0EES16_EEDaS11_S12_EUlS11_E_NS1_11comp_targetILNS1_3genE3ELNS1_11target_archE908ELNS1_3gpuE7ELNS1_3repE0EEENS1_30default_config_static_selectorELNS0_4arch9wavefront6targetE1EEEvT1_: ; @_ZN7rocprim17ROCPRIM_400000_NS6detail17trampoline_kernelINS0_14default_configENS1_25partition_config_selectorILNS1_17partition_subalgoE5ElNS0_10empty_typeEbEEZZNS1_14partition_implILS5_5ELb0ES3_mN6hipcub16HIPCUB_304000_NS21CountingInputIteratorIllEEPS6_NSA_22TransformInputIteratorIb7NonZeroIiEPilEENS0_5tupleIJPlS6_EEENSJ_IJSD_SD_EEES6_SK_JS6_EEE10hipError_tPvRmT3_T4_T5_T6_T7_T9_mT8_P12ihipStream_tbDpT10_ENKUlT_T0_E_clISt17integral_constantIbLb0EES16_EEDaS11_S12_EUlS11_E_NS1_11comp_targetILNS1_3genE3ELNS1_11target_archE908ELNS1_3gpuE7ELNS1_3repE0EEENS1_30default_config_static_selectorELNS0_4arch9wavefront6targetE1EEEvT1_
; %bb.0:
	.section	.rodata,"a",@progbits
	.p2align	6, 0x0
	.amdhsa_kernel _ZN7rocprim17ROCPRIM_400000_NS6detail17trampoline_kernelINS0_14default_configENS1_25partition_config_selectorILNS1_17partition_subalgoE5ElNS0_10empty_typeEbEEZZNS1_14partition_implILS5_5ELb0ES3_mN6hipcub16HIPCUB_304000_NS21CountingInputIteratorIllEEPS6_NSA_22TransformInputIteratorIb7NonZeroIiEPilEENS0_5tupleIJPlS6_EEENSJ_IJSD_SD_EEES6_SK_JS6_EEE10hipError_tPvRmT3_T4_T5_T6_T7_T9_mT8_P12ihipStream_tbDpT10_ENKUlT_T0_E_clISt17integral_constantIbLb0EES16_EEDaS11_S12_EUlS11_E_NS1_11comp_targetILNS1_3genE3ELNS1_11target_archE908ELNS1_3gpuE7ELNS1_3repE0EEENS1_30default_config_static_selectorELNS0_4arch9wavefront6targetE1EEEvT1_
		.amdhsa_group_segment_fixed_size 0
		.amdhsa_private_segment_fixed_size 0
		.amdhsa_kernarg_size 120
		.amdhsa_user_sgpr_count 2
		.amdhsa_user_sgpr_dispatch_ptr 0
		.amdhsa_user_sgpr_queue_ptr 0
		.amdhsa_user_sgpr_kernarg_segment_ptr 1
		.amdhsa_user_sgpr_dispatch_id 0
		.amdhsa_user_sgpr_kernarg_preload_length 0
		.amdhsa_user_sgpr_kernarg_preload_offset 0
		.amdhsa_user_sgpr_private_segment_size 0
		.amdhsa_uses_dynamic_stack 0
		.amdhsa_enable_private_segment 0
		.amdhsa_system_sgpr_workgroup_id_x 1
		.amdhsa_system_sgpr_workgroup_id_y 0
		.amdhsa_system_sgpr_workgroup_id_z 0
		.amdhsa_system_sgpr_workgroup_info 0
		.amdhsa_system_vgpr_workitem_id 0
		.amdhsa_next_free_vgpr 1
		.amdhsa_next_free_sgpr 0
		.amdhsa_accum_offset 4
		.amdhsa_reserve_vcc 0
		.amdhsa_float_round_mode_32 0
		.amdhsa_float_round_mode_16_64 0
		.amdhsa_float_denorm_mode_32 3
		.amdhsa_float_denorm_mode_16_64 3
		.amdhsa_dx10_clamp 1
		.amdhsa_ieee_mode 1
		.amdhsa_fp16_overflow 0
		.amdhsa_tg_split 0
		.amdhsa_exception_fp_ieee_invalid_op 0
		.amdhsa_exception_fp_denorm_src 0
		.amdhsa_exception_fp_ieee_div_zero 0
		.amdhsa_exception_fp_ieee_overflow 0
		.amdhsa_exception_fp_ieee_underflow 0
		.amdhsa_exception_fp_ieee_inexact 0
		.amdhsa_exception_int_div_zero 0
	.end_amdhsa_kernel
	.section	.text._ZN7rocprim17ROCPRIM_400000_NS6detail17trampoline_kernelINS0_14default_configENS1_25partition_config_selectorILNS1_17partition_subalgoE5ElNS0_10empty_typeEbEEZZNS1_14partition_implILS5_5ELb0ES3_mN6hipcub16HIPCUB_304000_NS21CountingInputIteratorIllEEPS6_NSA_22TransformInputIteratorIb7NonZeroIiEPilEENS0_5tupleIJPlS6_EEENSJ_IJSD_SD_EEES6_SK_JS6_EEE10hipError_tPvRmT3_T4_T5_T6_T7_T9_mT8_P12ihipStream_tbDpT10_ENKUlT_T0_E_clISt17integral_constantIbLb0EES16_EEDaS11_S12_EUlS11_E_NS1_11comp_targetILNS1_3genE3ELNS1_11target_archE908ELNS1_3gpuE7ELNS1_3repE0EEENS1_30default_config_static_selectorELNS0_4arch9wavefront6targetE1EEEvT1_,"axG",@progbits,_ZN7rocprim17ROCPRIM_400000_NS6detail17trampoline_kernelINS0_14default_configENS1_25partition_config_selectorILNS1_17partition_subalgoE5ElNS0_10empty_typeEbEEZZNS1_14partition_implILS5_5ELb0ES3_mN6hipcub16HIPCUB_304000_NS21CountingInputIteratorIllEEPS6_NSA_22TransformInputIteratorIb7NonZeroIiEPilEENS0_5tupleIJPlS6_EEENSJ_IJSD_SD_EEES6_SK_JS6_EEE10hipError_tPvRmT3_T4_T5_T6_T7_T9_mT8_P12ihipStream_tbDpT10_ENKUlT_T0_E_clISt17integral_constantIbLb0EES16_EEDaS11_S12_EUlS11_E_NS1_11comp_targetILNS1_3genE3ELNS1_11target_archE908ELNS1_3gpuE7ELNS1_3repE0EEENS1_30default_config_static_selectorELNS0_4arch9wavefront6targetE1EEEvT1_,comdat
.Lfunc_end188:
	.size	_ZN7rocprim17ROCPRIM_400000_NS6detail17trampoline_kernelINS0_14default_configENS1_25partition_config_selectorILNS1_17partition_subalgoE5ElNS0_10empty_typeEbEEZZNS1_14partition_implILS5_5ELb0ES3_mN6hipcub16HIPCUB_304000_NS21CountingInputIteratorIllEEPS6_NSA_22TransformInputIteratorIb7NonZeroIiEPilEENS0_5tupleIJPlS6_EEENSJ_IJSD_SD_EEES6_SK_JS6_EEE10hipError_tPvRmT3_T4_T5_T6_T7_T9_mT8_P12ihipStream_tbDpT10_ENKUlT_T0_E_clISt17integral_constantIbLb0EES16_EEDaS11_S12_EUlS11_E_NS1_11comp_targetILNS1_3genE3ELNS1_11target_archE908ELNS1_3gpuE7ELNS1_3repE0EEENS1_30default_config_static_selectorELNS0_4arch9wavefront6targetE1EEEvT1_, .Lfunc_end188-_ZN7rocprim17ROCPRIM_400000_NS6detail17trampoline_kernelINS0_14default_configENS1_25partition_config_selectorILNS1_17partition_subalgoE5ElNS0_10empty_typeEbEEZZNS1_14partition_implILS5_5ELb0ES3_mN6hipcub16HIPCUB_304000_NS21CountingInputIteratorIllEEPS6_NSA_22TransformInputIteratorIb7NonZeroIiEPilEENS0_5tupleIJPlS6_EEENSJ_IJSD_SD_EEES6_SK_JS6_EEE10hipError_tPvRmT3_T4_T5_T6_T7_T9_mT8_P12ihipStream_tbDpT10_ENKUlT_T0_E_clISt17integral_constantIbLb0EES16_EEDaS11_S12_EUlS11_E_NS1_11comp_targetILNS1_3genE3ELNS1_11target_archE908ELNS1_3gpuE7ELNS1_3repE0EEENS1_30default_config_static_selectorELNS0_4arch9wavefront6targetE1EEEvT1_
                                        ; -- End function
	.set _ZN7rocprim17ROCPRIM_400000_NS6detail17trampoline_kernelINS0_14default_configENS1_25partition_config_selectorILNS1_17partition_subalgoE5ElNS0_10empty_typeEbEEZZNS1_14partition_implILS5_5ELb0ES3_mN6hipcub16HIPCUB_304000_NS21CountingInputIteratorIllEEPS6_NSA_22TransformInputIteratorIb7NonZeroIiEPilEENS0_5tupleIJPlS6_EEENSJ_IJSD_SD_EEES6_SK_JS6_EEE10hipError_tPvRmT3_T4_T5_T6_T7_T9_mT8_P12ihipStream_tbDpT10_ENKUlT_T0_E_clISt17integral_constantIbLb0EES16_EEDaS11_S12_EUlS11_E_NS1_11comp_targetILNS1_3genE3ELNS1_11target_archE908ELNS1_3gpuE7ELNS1_3repE0EEENS1_30default_config_static_selectorELNS0_4arch9wavefront6targetE1EEEvT1_.num_vgpr, 0
	.set _ZN7rocprim17ROCPRIM_400000_NS6detail17trampoline_kernelINS0_14default_configENS1_25partition_config_selectorILNS1_17partition_subalgoE5ElNS0_10empty_typeEbEEZZNS1_14partition_implILS5_5ELb0ES3_mN6hipcub16HIPCUB_304000_NS21CountingInputIteratorIllEEPS6_NSA_22TransformInputIteratorIb7NonZeroIiEPilEENS0_5tupleIJPlS6_EEENSJ_IJSD_SD_EEES6_SK_JS6_EEE10hipError_tPvRmT3_T4_T5_T6_T7_T9_mT8_P12ihipStream_tbDpT10_ENKUlT_T0_E_clISt17integral_constantIbLb0EES16_EEDaS11_S12_EUlS11_E_NS1_11comp_targetILNS1_3genE3ELNS1_11target_archE908ELNS1_3gpuE7ELNS1_3repE0EEENS1_30default_config_static_selectorELNS0_4arch9wavefront6targetE1EEEvT1_.num_agpr, 0
	.set _ZN7rocprim17ROCPRIM_400000_NS6detail17trampoline_kernelINS0_14default_configENS1_25partition_config_selectorILNS1_17partition_subalgoE5ElNS0_10empty_typeEbEEZZNS1_14partition_implILS5_5ELb0ES3_mN6hipcub16HIPCUB_304000_NS21CountingInputIteratorIllEEPS6_NSA_22TransformInputIteratorIb7NonZeroIiEPilEENS0_5tupleIJPlS6_EEENSJ_IJSD_SD_EEES6_SK_JS6_EEE10hipError_tPvRmT3_T4_T5_T6_T7_T9_mT8_P12ihipStream_tbDpT10_ENKUlT_T0_E_clISt17integral_constantIbLb0EES16_EEDaS11_S12_EUlS11_E_NS1_11comp_targetILNS1_3genE3ELNS1_11target_archE908ELNS1_3gpuE7ELNS1_3repE0EEENS1_30default_config_static_selectorELNS0_4arch9wavefront6targetE1EEEvT1_.numbered_sgpr, 0
	.set _ZN7rocprim17ROCPRIM_400000_NS6detail17trampoline_kernelINS0_14default_configENS1_25partition_config_selectorILNS1_17partition_subalgoE5ElNS0_10empty_typeEbEEZZNS1_14partition_implILS5_5ELb0ES3_mN6hipcub16HIPCUB_304000_NS21CountingInputIteratorIllEEPS6_NSA_22TransformInputIteratorIb7NonZeroIiEPilEENS0_5tupleIJPlS6_EEENSJ_IJSD_SD_EEES6_SK_JS6_EEE10hipError_tPvRmT3_T4_T5_T6_T7_T9_mT8_P12ihipStream_tbDpT10_ENKUlT_T0_E_clISt17integral_constantIbLb0EES16_EEDaS11_S12_EUlS11_E_NS1_11comp_targetILNS1_3genE3ELNS1_11target_archE908ELNS1_3gpuE7ELNS1_3repE0EEENS1_30default_config_static_selectorELNS0_4arch9wavefront6targetE1EEEvT1_.num_named_barrier, 0
	.set _ZN7rocprim17ROCPRIM_400000_NS6detail17trampoline_kernelINS0_14default_configENS1_25partition_config_selectorILNS1_17partition_subalgoE5ElNS0_10empty_typeEbEEZZNS1_14partition_implILS5_5ELb0ES3_mN6hipcub16HIPCUB_304000_NS21CountingInputIteratorIllEEPS6_NSA_22TransformInputIteratorIb7NonZeroIiEPilEENS0_5tupleIJPlS6_EEENSJ_IJSD_SD_EEES6_SK_JS6_EEE10hipError_tPvRmT3_T4_T5_T6_T7_T9_mT8_P12ihipStream_tbDpT10_ENKUlT_T0_E_clISt17integral_constantIbLb0EES16_EEDaS11_S12_EUlS11_E_NS1_11comp_targetILNS1_3genE3ELNS1_11target_archE908ELNS1_3gpuE7ELNS1_3repE0EEENS1_30default_config_static_selectorELNS0_4arch9wavefront6targetE1EEEvT1_.private_seg_size, 0
	.set _ZN7rocprim17ROCPRIM_400000_NS6detail17trampoline_kernelINS0_14default_configENS1_25partition_config_selectorILNS1_17partition_subalgoE5ElNS0_10empty_typeEbEEZZNS1_14partition_implILS5_5ELb0ES3_mN6hipcub16HIPCUB_304000_NS21CountingInputIteratorIllEEPS6_NSA_22TransformInputIteratorIb7NonZeroIiEPilEENS0_5tupleIJPlS6_EEENSJ_IJSD_SD_EEES6_SK_JS6_EEE10hipError_tPvRmT3_T4_T5_T6_T7_T9_mT8_P12ihipStream_tbDpT10_ENKUlT_T0_E_clISt17integral_constantIbLb0EES16_EEDaS11_S12_EUlS11_E_NS1_11comp_targetILNS1_3genE3ELNS1_11target_archE908ELNS1_3gpuE7ELNS1_3repE0EEENS1_30default_config_static_selectorELNS0_4arch9wavefront6targetE1EEEvT1_.uses_vcc, 0
	.set _ZN7rocprim17ROCPRIM_400000_NS6detail17trampoline_kernelINS0_14default_configENS1_25partition_config_selectorILNS1_17partition_subalgoE5ElNS0_10empty_typeEbEEZZNS1_14partition_implILS5_5ELb0ES3_mN6hipcub16HIPCUB_304000_NS21CountingInputIteratorIllEEPS6_NSA_22TransformInputIteratorIb7NonZeroIiEPilEENS0_5tupleIJPlS6_EEENSJ_IJSD_SD_EEES6_SK_JS6_EEE10hipError_tPvRmT3_T4_T5_T6_T7_T9_mT8_P12ihipStream_tbDpT10_ENKUlT_T0_E_clISt17integral_constantIbLb0EES16_EEDaS11_S12_EUlS11_E_NS1_11comp_targetILNS1_3genE3ELNS1_11target_archE908ELNS1_3gpuE7ELNS1_3repE0EEENS1_30default_config_static_selectorELNS0_4arch9wavefront6targetE1EEEvT1_.uses_flat_scratch, 0
	.set _ZN7rocprim17ROCPRIM_400000_NS6detail17trampoline_kernelINS0_14default_configENS1_25partition_config_selectorILNS1_17partition_subalgoE5ElNS0_10empty_typeEbEEZZNS1_14partition_implILS5_5ELb0ES3_mN6hipcub16HIPCUB_304000_NS21CountingInputIteratorIllEEPS6_NSA_22TransformInputIteratorIb7NonZeroIiEPilEENS0_5tupleIJPlS6_EEENSJ_IJSD_SD_EEES6_SK_JS6_EEE10hipError_tPvRmT3_T4_T5_T6_T7_T9_mT8_P12ihipStream_tbDpT10_ENKUlT_T0_E_clISt17integral_constantIbLb0EES16_EEDaS11_S12_EUlS11_E_NS1_11comp_targetILNS1_3genE3ELNS1_11target_archE908ELNS1_3gpuE7ELNS1_3repE0EEENS1_30default_config_static_selectorELNS0_4arch9wavefront6targetE1EEEvT1_.has_dyn_sized_stack, 0
	.set _ZN7rocprim17ROCPRIM_400000_NS6detail17trampoline_kernelINS0_14default_configENS1_25partition_config_selectorILNS1_17partition_subalgoE5ElNS0_10empty_typeEbEEZZNS1_14partition_implILS5_5ELb0ES3_mN6hipcub16HIPCUB_304000_NS21CountingInputIteratorIllEEPS6_NSA_22TransformInputIteratorIb7NonZeroIiEPilEENS0_5tupleIJPlS6_EEENSJ_IJSD_SD_EEES6_SK_JS6_EEE10hipError_tPvRmT3_T4_T5_T6_T7_T9_mT8_P12ihipStream_tbDpT10_ENKUlT_T0_E_clISt17integral_constantIbLb0EES16_EEDaS11_S12_EUlS11_E_NS1_11comp_targetILNS1_3genE3ELNS1_11target_archE908ELNS1_3gpuE7ELNS1_3repE0EEENS1_30default_config_static_selectorELNS0_4arch9wavefront6targetE1EEEvT1_.has_recursion, 0
	.set _ZN7rocprim17ROCPRIM_400000_NS6detail17trampoline_kernelINS0_14default_configENS1_25partition_config_selectorILNS1_17partition_subalgoE5ElNS0_10empty_typeEbEEZZNS1_14partition_implILS5_5ELb0ES3_mN6hipcub16HIPCUB_304000_NS21CountingInputIteratorIllEEPS6_NSA_22TransformInputIteratorIb7NonZeroIiEPilEENS0_5tupleIJPlS6_EEENSJ_IJSD_SD_EEES6_SK_JS6_EEE10hipError_tPvRmT3_T4_T5_T6_T7_T9_mT8_P12ihipStream_tbDpT10_ENKUlT_T0_E_clISt17integral_constantIbLb0EES16_EEDaS11_S12_EUlS11_E_NS1_11comp_targetILNS1_3genE3ELNS1_11target_archE908ELNS1_3gpuE7ELNS1_3repE0EEENS1_30default_config_static_selectorELNS0_4arch9wavefront6targetE1EEEvT1_.has_indirect_call, 0
	.section	.AMDGPU.csdata,"",@progbits
; Kernel info:
; codeLenInByte = 0
; TotalNumSgprs: 6
; NumVgprs: 0
; NumAgprs: 0
; TotalNumVgprs: 0
; ScratchSize: 0
; MemoryBound: 0
; FloatMode: 240
; IeeeMode: 1
; LDSByteSize: 0 bytes/workgroup (compile time only)
; SGPRBlocks: 0
; VGPRBlocks: 0
; NumSGPRsForWavesPerEU: 6
; NumVGPRsForWavesPerEU: 1
; AccumOffset: 4
; Occupancy: 8
; WaveLimiterHint : 0
; COMPUTE_PGM_RSRC2:SCRATCH_EN: 0
; COMPUTE_PGM_RSRC2:USER_SGPR: 2
; COMPUTE_PGM_RSRC2:TRAP_HANDLER: 0
; COMPUTE_PGM_RSRC2:TGID_X_EN: 1
; COMPUTE_PGM_RSRC2:TGID_Y_EN: 0
; COMPUTE_PGM_RSRC2:TGID_Z_EN: 0
; COMPUTE_PGM_RSRC2:TIDIG_COMP_CNT: 0
; COMPUTE_PGM_RSRC3_GFX90A:ACCUM_OFFSET: 0
; COMPUTE_PGM_RSRC3_GFX90A:TG_SPLIT: 0
	.section	.text._ZN7rocprim17ROCPRIM_400000_NS6detail17trampoline_kernelINS0_14default_configENS1_25partition_config_selectorILNS1_17partition_subalgoE5ElNS0_10empty_typeEbEEZZNS1_14partition_implILS5_5ELb0ES3_mN6hipcub16HIPCUB_304000_NS21CountingInputIteratorIllEEPS6_NSA_22TransformInputIteratorIb7NonZeroIiEPilEENS0_5tupleIJPlS6_EEENSJ_IJSD_SD_EEES6_SK_JS6_EEE10hipError_tPvRmT3_T4_T5_T6_T7_T9_mT8_P12ihipStream_tbDpT10_ENKUlT_T0_E_clISt17integral_constantIbLb0EES16_EEDaS11_S12_EUlS11_E_NS1_11comp_targetILNS1_3genE2ELNS1_11target_archE906ELNS1_3gpuE6ELNS1_3repE0EEENS1_30default_config_static_selectorELNS0_4arch9wavefront6targetE1EEEvT1_,"axG",@progbits,_ZN7rocprim17ROCPRIM_400000_NS6detail17trampoline_kernelINS0_14default_configENS1_25partition_config_selectorILNS1_17partition_subalgoE5ElNS0_10empty_typeEbEEZZNS1_14partition_implILS5_5ELb0ES3_mN6hipcub16HIPCUB_304000_NS21CountingInputIteratorIllEEPS6_NSA_22TransformInputIteratorIb7NonZeroIiEPilEENS0_5tupleIJPlS6_EEENSJ_IJSD_SD_EEES6_SK_JS6_EEE10hipError_tPvRmT3_T4_T5_T6_T7_T9_mT8_P12ihipStream_tbDpT10_ENKUlT_T0_E_clISt17integral_constantIbLb0EES16_EEDaS11_S12_EUlS11_E_NS1_11comp_targetILNS1_3genE2ELNS1_11target_archE906ELNS1_3gpuE6ELNS1_3repE0EEENS1_30default_config_static_selectorELNS0_4arch9wavefront6targetE1EEEvT1_,comdat
	.protected	_ZN7rocprim17ROCPRIM_400000_NS6detail17trampoline_kernelINS0_14default_configENS1_25partition_config_selectorILNS1_17partition_subalgoE5ElNS0_10empty_typeEbEEZZNS1_14partition_implILS5_5ELb0ES3_mN6hipcub16HIPCUB_304000_NS21CountingInputIteratorIllEEPS6_NSA_22TransformInputIteratorIb7NonZeroIiEPilEENS0_5tupleIJPlS6_EEENSJ_IJSD_SD_EEES6_SK_JS6_EEE10hipError_tPvRmT3_T4_T5_T6_T7_T9_mT8_P12ihipStream_tbDpT10_ENKUlT_T0_E_clISt17integral_constantIbLb0EES16_EEDaS11_S12_EUlS11_E_NS1_11comp_targetILNS1_3genE2ELNS1_11target_archE906ELNS1_3gpuE6ELNS1_3repE0EEENS1_30default_config_static_selectorELNS0_4arch9wavefront6targetE1EEEvT1_ ; -- Begin function _ZN7rocprim17ROCPRIM_400000_NS6detail17trampoline_kernelINS0_14default_configENS1_25partition_config_selectorILNS1_17partition_subalgoE5ElNS0_10empty_typeEbEEZZNS1_14partition_implILS5_5ELb0ES3_mN6hipcub16HIPCUB_304000_NS21CountingInputIteratorIllEEPS6_NSA_22TransformInputIteratorIb7NonZeroIiEPilEENS0_5tupleIJPlS6_EEENSJ_IJSD_SD_EEES6_SK_JS6_EEE10hipError_tPvRmT3_T4_T5_T6_T7_T9_mT8_P12ihipStream_tbDpT10_ENKUlT_T0_E_clISt17integral_constantIbLb0EES16_EEDaS11_S12_EUlS11_E_NS1_11comp_targetILNS1_3genE2ELNS1_11target_archE906ELNS1_3gpuE6ELNS1_3repE0EEENS1_30default_config_static_selectorELNS0_4arch9wavefront6targetE1EEEvT1_
	.globl	_ZN7rocprim17ROCPRIM_400000_NS6detail17trampoline_kernelINS0_14default_configENS1_25partition_config_selectorILNS1_17partition_subalgoE5ElNS0_10empty_typeEbEEZZNS1_14partition_implILS5_5ELb0ES3_mN6hipcub16HIPCUB_304000_NS21CountingInputIteratorIllEEPS6_NSA_22TransformInputIteratorIb7NonZeroIiEPilEENS0_5tupleIJPlS6_EEENSJ_IJSD_SD_EEES6_SK_JS6_EEE10hipError_tPvRmT3_T4_T5_T6_T7_T9_mT8_P12ihipStream_tbDpT10_ENKUlT_T0_E_clISt17integral_constantIbLb0EES16_EEDaS11_S12_EUlS11_E_NS1_11comp_targetILNS1_3genE2ELNS1_11target_archE906ELNS1_3gpuE6ELNS1_3repE0EEENS1_30default_config_static_selectorELNS0_4arch9wavefront6targetE1EEEvT1_
	.p2align	8
	.type	_ZN7rocprim17ROCPRIM_400000_NS6detail17trampoline_kernelINS0_14default_configENS1_25partition_config_selectorILNS1_17partition_subalgoE5ElNS0_10empty_typeEbEEZZNS1_14partition_implILS5_5ELb0ES3_mN6hipcub16HIPCUB_304000_NS21CountingInputIteratorIllEEPS6_NSA_22TransformInputIteratorIb7NonZeroIiEPilEENS0_5tupleIJPlS6_EEENSJ_IJSD_SD_EEES6_SK_JS6_EEE10hipError_tPvRmT3_T4_T5_T6_T7_T9_mT8_P12ihipStream_tbDpT10_ENKUlT_T0_E_clISt17integral_constantIbLb0EES16_EEDaS11_S12_EUlS11_E_NS1_11comp_targetILNS1_3genE2ELNS1_11target_archE906ELNS1_3gpuE6ELNS1_3repE0EEENS1_30default_config_static_selectorELNS0_4arch9wavefront6targetE1EEEvT1_,@function
_ZN7rocprim17ROCPRIM_400000_NS6detail17trampoline_kernelINS0_14default_configENS1_25partition_config_selectorILNS1_17partition_subalgoE5ElNS0_10empty_typeEbEEZZNS1_14partition_implILS5_5ELb0ES3_mN6hipcub16HIPCUB_304000_NS21CountingInputIteratorIllEEPS6_NSA_22TransformInputIteratorIb7NonZeroIiEPilEENS0_5tupleIJPlS6_EEENSJ_IJSD_SD_EEES6_SK_JS6_EEE10hipError_tPvRmT3_T4_T5_T6_T7_T9_mT8_P12ihipStream_tbDpT10_ENKUlT_T0_E_clISt17integral_constantIbLb0EES16_EEDaS11_S12_EUlS11_E_NS1_11comp_targetILNS1_3genE2ELNS1_11target_archE906ELNS1_3gpuE6ELNS1_3repE0EEENS1_30default_config_static_selectorELNS0_4arch9wavefront6targetE1EEEvT1_: ; @_ZN7rocprim17ROCPRIM_400000_NS6detail17trampoline_kernelINS0_14default_configENS1_25partition_config_selectorILNS1_17partition_subalgoE5ElNS0_10empty_typeEbEEZZNS1_14partition_implILS5_5ELb0ES3_mN6hipcub16HIPCUB_304000_NS21CountingInputIteratorIllEEPS6_NSA_22TransformInputIteratorIb7NonZeroIiEPilEENS0_5tupleIJPlS6_EEENSJ_IJSD_SD_EEES6_SK_JS6_EEE10hipError_tPvRmT3_T4_T5_T6_T7_T9_mT8_P12ihipStream_tbDpT10_ENKUlT_T0_E_clISt17integral_constantIbLb0EES16_EEDaS11_S12_EUlS11_E_NS1_11comp_targetILNS1_3genE2ELNS1_11target_archE906ELNS1_3gpuE6ELNS1_3repE0EEENS1_30default_config_static_selectorELNS0_4arch9wavefront6targetE1EEEvT1_
; %bb.0:
	.section	.rodata,"a",@progbits
	.p2align	6, 0x0
	.amdhsa_kernel _ZN7rocprim17ROCPRIM_400000_NS6detail17trampoline_kernelINS0_14default_configENS1_25partition_config_selectorILNS1_17partition_subalgoE5ElNS0_10empty_typeEbEEZZNS1_14partition_implILS5_5ELb0ES3_mN6hipcub16HIPCUB_304000_NS21CountingInputIteratorIllEEPS6_NSA_22TransformInputIteratorIb7NonZeroIiEPilEENS0_5tupleIJPlS6_EEENSJ_IJSD_SD_EEES6_SK_JS6_EEE10hipError_tPvRmT3_T4_T5_T6_T7_T9_mT8_P12ihipStream_tbDpT10_ENKUlT_T0_E_clISt17integral_constantIbLb0EES16_EEDaS11_S12_EUlS11_E_NS1_11comp_targetILNS1_3genE2ELNS1_11target_archE906ELNS1_3gpuE6ELNS1_3repE0EEENS1_30default_config_static_selectorELNS0_4arch9wavefront6targetE1EEEvT1_
		.amdhsa_group_segment_fixed_size 0
		.amdhsa_private_segment_fixed_size 0
		.amdhsa_kernarg_size 120
		.amdhsa_user_sgpr_count 2
		.amdhsa_user_sgpr_dispatch_ptr 0
		.amdhsa_user_sgpr_queue_ptr 0
		.amdhsa_user_sgpr_kernarg_segment_ptr 1
		.amdhsa_user_sgpr_dispatch_id 0
		.amdhsa_user_sgpr_kernarg_preload_length 0
		.amdhsa_user_sgpr_kernarg_preload_offset 0
		.amdhsa_user_sgpr_private_segment_size 0
		.amdhsa_uses_dynamic_stack 0
		.amdhsa_enable_private_segment 0
		.amdhsa_system_sgpr_workgroup_id_x 1
		.amdhsa_system_sgpr_workgroup_id_y 0
		.amdhsa_system_sgpr_workgroup_id_z 0
		.amdhsa_system_sgpr_workgroup_info 0
		.amdhsa_system_vgpr_workitem_id 0
		.amdhsa_next_free_vgpr 1
		.amdhsa_next_free_sgpr 0
		.amdhsa_accum_offset 4
		.amdhsa_reserve_vcc 0
		.amdhsa_float_round_mode_32 0
		.amdhsa_float_round_mode_16_64 0
		.amdhsa_float_denorm_mode_32 3
		.amdhsa_float_denorm_mode_16_64 3
		.amdhsa_dx10_clamp 1
		.amdhsa_ieee_mode 1
		.amdhsa_fp16_overflow 0
		.amdhsa_tg_split 0
		.amdhsa_exception_fp_ieee_invalid_op 0
		.amdhsa_exception_fp_denorm_src 0
		.amdhsa_exception_fp_ieee_div_zero 0
		.amdhsa_exception_fp_ieee_overflow 0
		.amdhsa_exception_fp_ieee_underflow 0
		.amdhsa_exception_fp_ieee_inexact 0
		.amdhsa_exception_int_div_zero 0
	.end_amdhsa_kernel
	.section	.text._ZN7rocprim17ROCPRIM_400000_NS6detail17trampoline_kernelINS0_14default_configENS1_25partition_config_selectorILNS1_17partition_subalgoE5ElNS0_10empty_typeEbEEZZNS1_14partition_implILS5_5ELb0ES3_mN6hipcub16HIPCUB_304000_NS21CountingInputIteratorIllEEPS6_NSA_22TransformInputIteratorIb7NonZeroIiEPilEENS0_5tupleIJPlS6_EEENSJ_IJSD_SD_EEES6_SK_JS6_EEE10hipError_tPvRmT3_T4_T5_T6_T7_T9_mT8_P12ihipStream_tbDpT10_ENKUlT_T0_E_clISt17integral_constantIbLb0EES16_EEDaS11_S12_EUlS11_E_NS1_11comp_targetILNS1_3genE2ELNS1_11target_archE906ELNS1_3gpuE6ELNS1_3repE0EEENS1_30default_config_static_selectorELNS0_4arch9wavefront6targetE1EEEvT1_,"axG",@progbits,_ZN7rocprim17ROCPRIM_400000_NS6detail17trampoline_kernelINS0_14default_configENS1_25partition_config_selectorILNS1_17partition_subalgoE5ElNS0_10empty_typeEbEEZZNS1_14partition_implILS5_5ELb0ES3_mN6hipcub16HIPCUB_304000_NS21CountingInputIteratorIllEEPS6_NSA_22TransformInputIteratorIb7NonZeroIiEPilEENS0_5tupleIJPlS6_EEENSJ_IJSD_SD_EEES6_SK_JS6_EEE10hipError_tPvRmT3_T4_T5_T6_T7_T9_mT8_P12ihipStream_tbDpT10_ENKUlT_T0_E_clISt17integral_constantIbLb0EES16_EEDaS11_S12_EUlS11_E_NS1_11comp_targetILNS1_3genE2ELNS1_11target_archE906ELNS1_3gpuE6ELNS1_3repE0EEENS1_30default_config_static_selectorELNS0_4arch9wavefront6targetE1EEEvT1_,comdat
.Lfunc_end189:
	.size	_ZN7rocprim17ROCPRIM_400000_NS6detail17trampoline_kernelINS0_14default_configENS1_25partition_config_selectorILNS1_17partition_subalgoE5ElNS0_10empty_typeEbEEZZNS1_14partition_implILS5_5ELb0ES3_mN6hipcub16HIPCUB_304000_NS21CountingInputIteratorIllEEPS6_NSA_22TransformInputIteratorIb7NonZeroIiEPilEENS0_5tupleIJPlS6_EEENSJ_IJSD_SD_EEES6_SK_JS6_EEE10hipError_tPvRmT3_T4_T5_T6_T7_T9_mT8_P12ihipStream_tbDpT10_ENKUlT_T0_E_clISt17integral_constantIbLb0EES16_EEDaS11_S12_EUlS11_E_NS1_11comp_targetILNS1_3genE2ELNS1_11target_archE906ELNS1_3gpuE6ELNS1_3repE0EEENS1_30default_config_static_selectorELNS0_4arch9wavefront6targetE1EEEvT1_, .Lfunc_end189-_ZN7rocprim17ROCPRIM_400000_NS6detail17trampoline_kernelINS0_14default_configENS1_25partition_config_selectorILNS1_17partition_subalgoE5ElNS0_10empty_typeEbEEZZNS1_14partition_implILS5_5ELb0ES3_mN6hipcub16HIPCUB_304000_NS21CountingInputIteratorIllEEPS6_NSA_22TransformInputIteratorIb7NonZeroIiEPilEENS0_5tupleIJPlS6_EEENSJ_IJSD_SD_EEES6_SK_JS6_EEE10hipError_tPvRmT3_T4_T5_T6_T7_T9_mT8_P12ihipStream_tbDpT10_ENKUlT_T0_E_clISt17integral_constantIbLb0EES16_EEDaS11_S12_EUlS11_E_NS1_11comp_targetILNS1_3genE2ELNS1_11target_archE906ELNS1_3gpuE6ELNS1_3repE0EEENS1_30default_config_static_selectorELNS0_4arch9wavefront6targetE1EEEvT1_
                                        ; -- End function
	.set _ZN7rocprim17ROCPRIM_400000_NS6detail17trampoline_kernelINS0_14default_configENS1_25partition_config_selectorILNS1_17partition_subalgoE5ElNS0_10empty_typeEbEEZZNS1_14partition_implILS5_5ELb0ES3_mN6hipcub16HIPCUB_304000_NS21CountingInputIteratorIllEEPS6_NSA_22TransformInputIteratorIb7NonZeroIiEPilEENS0_5tupleIJPlS6_EEENSJ_IJSD_SD_EEES6_SK_JS6_EEE10hipError_tPvRmT3_T4_T5_T6_T7_T9_mT8_P12ihipStream_tbDpT10_ENKUlT_T0_E_clISt17integral_constantIbLb0EES16_EEDaS11_S12_EUlS11_E_NS1_11comp_targetILNS1_3genE2ELNS1_11target_archE906ELNS1_3gpuE6ELNS1_3repE0EEENS1_30default_config_static_selectorELNS0_4arch9wavefront6targetE1EEEvT1_.num_vgpr, 0
	.set _ZN7rocprim17ROCPRIM_400000_NS6detail17trampoline_kernelINS0_14default_configENS1_25partition_config_selectorILNS1_17partition_subalgoE5ElNS0_10empty_typeEbEEZZNS1_14partition_implILS5_5ELb0ES3_mN6hipcub16HIPCUB_304000_NS21CountingInputIteratorIllEEPS6_NSA_22TransformInputIteratorIb7NonZeroIiEPilEENS0_5tupleIJPlS6_EEENSJ_IJSD_SD_EEES6_SK_JS6_EEE10hipError_tPvRmT3_T4_T5_T6_T7_T9_mT8_P12ihipStream_tbDpT10_ENKUlT_T0_E_clISt17integral_constantIbLb0EES16_EEDaS11_S12_EUlS11_E_NS1_11comp_targetILNS1_3genE2ELNS1_11target_archE906ELNS1_3gpuE6ELNS1_3repE0EEENS1_30default_config_static_selectorELNS0_4arch9wavefront6targetE1EEEvT1_.num_agpr, 0
	.set _ZN7rocprim17ROCPRIM_400000_NS6detail17trampoline_kernelINS0_14default_configENS1_25partition_config_selectorILNS1_17partition_subalgoE5ElNS0_10empty_typeEbEEZZNS1_14partition_implILS5_5ELb0ES3_mN6hipcub16HIPCUB_304000_NS21CountingInputIteratorIllEEPS6_NSA_22TransformInputIteratorIb7NonZeroIiEPilEENS0_5tupleIJPlS6_EEENSJ_IJSD_SD_EEES6_SK_JS6_EEE10hipError_tPvRmT3_T4_T5_T6_T7_T9_mT8_P12ihipStream_tbDpT10_ENKUlT_T0_E_clISt17integral_constantIbLb0EES16_EEDaS11_S12_EUlS11_E_NS1_11comp_targetILNS1_3genE2ELNS1_11target_archE906ELNS1_3gpuE6ELNS1_3repE0EEENS1_30default_config_static_selectorELNS0_4arch9wavefront6targetE1EEEvT1_.numbered_sgpr, 0
	.set _ZN7rocprim17ROCPRIM_400000_NS6detail17trampoline_kernelINS0_14default_configENS1_25partition_config_selectorILNS1_17partition_subalgoE5ElNS0_10empty_typeEbEEZZNS1_14partition_implILS5_5ELb0ES3_mN6hipcub16HIPCUB_304000_NS21CountingInputIteratorIllEEPS6_NSA_22TransformInputIteratorIb7NonZeroIiEPilEENS0_5tupleIJPlS6_EEENSJ_IJSD_SD_EEES6_SK_JS6_EEE10hipError_tPvRmT3_T4_T5_T6_T7_T9_mT8_P12ihipStream_tbDpT10_ENKUlT_T0_E_clISt17integral_constantIbLb0EES16_EEDaS11_S12_EUlS11_E_NS1_11comp_targetILNS1_3genE2ELNS1_11target_archE906ELNS1_3gpuE6ELNS1_3repE0EEENS1_30default_config_static_selectorELNS0_4arch9wavefront6targetE1EEEvT1_.num_named_barrier, 0
	.set _ZN7rocprim17ROCPRIM_400000_NS6detail17trampoline_kernelINS0_14default_configENS1_25partition_config_selectorILNS1_17partition_subalgoE5ElNS0_10empty_typeEbEEZZNS1_14partition_implILS5_5ELb0ES3_mN6hipcub16HIPCUB_304000_NS21CountingInputIteratorIllEEPS6_NSA_22TransformInputIteratorIb7NonZeroIiEPilEENS0_5tupleIJPlS6_EEENSJ_IJSD_SD_EEES6_SK_JS6_EEE10hipError_tPvRmT3_T4_T5_T6_T7_T9_mT8_P12ihipStream_tbDpT10_ENKUlT_T0_E_clISt17integral_constantIbLb0EES16_EEDaS11_S12_EUlS11_E_NS1_11comp_targetILNS1_3genE2ELNS1_11target_archE906ELNS1_3gpuE6ELNS1_3repE0EEENS1_30default_config_static_selectorELNS0_4arch9wavefront6targetE1EEEvT1_.private_seg_size, 0
	.set _ZN7rocprim17ROCPRIM_400000_NS6detail17trampoline_kernelINS0_14default_configENS1_25partition_config_selectorILNS1_17partition_subalgoE5ElNS0_10empty_typeEbEEZZNS1_14partition_implILS5_5ELb0ES3_mN6hipcub16HIPCUB_304000_NS21CountingInputIteratorIllEEPS6_NSA_22TransformInputIteratorIb7NonZeroIiEPilEENS0_5tupleIJPlS6_EEENSJ_IJSD_SD_EEES6_SK_JS6_EEE10hipError_tPvRmT3_T4_T5_T6_T7_T9_mT8_P12ihipStream_tbDpT10_ENKUlT_T0_E_clISt17integral_constantIbLb0EES16_EEDaS11_S12_EUlS11_E_NS1_11comp_targetILNS1_3genE2ELNS1_11target_archE906ELNS1_3gpuE6ELNS1_3repE0EEENS1_30default_config_static_selectorELNS0_4arch9wavefront6targetE1EEEvT1_.uses_vcc, 0
	.set _ZN7rocprim17ROCPRIM_400000_NS6detail17trampoline_kernelINS0_14default_configENS1_25partition_config_selectorILNS1_17partition_subalgoE5ElNS0_10empty_typeEbEEZZNS1_14partition_implILS5_5ELb0ES3_mN6hipcub16HIPCUB_304000_NS21CountingInputIteratorIllEEPS6_NSA_22TransformInputIteratorIb7NonZeroIiEPilEENS0_5tupleIJPlS6_EEENSJ_IJSD_SD_EEES6_SK_JS6_EEE10hipError_tPvRmT3_T4_T5_T6_T7_T9_mT8_P12ihipStream_tbDpT10_ENKUlT_T0_E_clISt17integral_constantIbLb0EES16_EEDaS11_S12_EUlS11_E_NS1_11comp_targetILNS1_3genE2ELNS1_11target_archE906ELNS1_3gpuE6ELNS1_3repE0EEENS1_30default_config_static_selectorELNS0_4arch9wavefront6targetE1EEEvT1_.uses_flat_scratch, 0
	.set _ZN7rocprim17ROCPRIM_400000_NS6detail17trampoline_kernelINS0_14default_configENS1_25partition_config_selectorILNS1_17partition_subalgoE5ElNS0_10empty_typeEbEEZZNS1_14partition_implILS5_5ELb0ES3_mN6hipcub16HIPCUB_304000_NS21CountingInputIteratorIllEEPS6_NSA_22TransformInputIteratorIb7NonZeroIiEPilEENS0_5tupleIJPlS6_EEENSJ_IJSD_SD_EEES6_SK_JS6_EEE10hipError_tPvRmT3_T4_T5_T6_T7_T9_mT8_P12ihipStream_tbDpT10_ENKUlT_T0_E_clISt17integral_constantIbLb0EES16_EEDaS11_S12_EUlS11_E_NS1_11comp_targetILNS1_3genE2ELNS1_11target_archE906ELNS1_3gpuE6ELNS1_3repE0EEENS1_30default_config_static_selectorELNS0_4arch9wavefront6targetE1EEEvT1_.has_dyn_sized_stack, 0
	.set _ZN7rocprim17ROCPRIM_400000_NS6detail17trampoline_kernelINS0_14default_configENS1_25partition_config_selectorILNS1_17partition_subalgoE5ElNS0_10empty_typeEbEEZZNS1_14partition_implILS5_5ELb0ES3_mN6hipcub16HIPCUB_304000_NS21CountingInputIteratorIllEEPS6_NSA_22TransformInputIteratorIb7NonZeroIiEPilEENS0_5tupleIJPlS6_EEENSJ_IJSD_SD_EEES6_SK_JS6_EEE10hipError_tPvRmT3_T4_T5_T6_T7_T9_mT8_P12ihipStream_tbDpT10_ENKUlT_T0_E_clISt17integral_constantIbLb0EES16_EEDaS11_S12_EUlS11_E_NS1_11comp_targetILNS1_3genE2ELNS1_11target_archE906ELNS1_3gpuE6ELNS1_3repE0EEENS1_30default_config_static_selectorELNS0_4arch9wavefront6targetE1EEEvT1_.has_recursion, 0
	.set _ZN7rocprim17ROCPRIM_400000_NS6detail17trampoline_kernelINS0_14default_configENS1_25partition_config_selectorILNS1_17partition_subalgoE5ElNS0_10empty_typeEbEEZZNS1_14partition_implILS5_5ELb0ES3_mN6hipcub16HIPCUB_304000_NS21CountingInputIteratorIllEEPS6_NSA_22TransformInputIteratorIb7NonZeroIiEPilEENS0_5tupleIJPlS6_EEENSJ_IJSD_SD_EEES6_SK_JS6_EEE10hipError_tPvRmT3_T4_T5_T6_T7_T9_mT8_P12ihipStream_tbDpT10_ENKUlT_T0_E_clISt17integral_constantIbLb0EES16_EEDaS11_S12_EUlS11_E_NS1_11comp_targetILNS1_3genE2ELNS1_11target_archE906ELNS1_3gpuE6ELNS1_3repE0EEENS1_30default_config_static_selectorELNS0_4arch9wavefront6targetE1EEEvT1_.has_indirect_call, 0
	.section	.AMDGPU.csdata,"",@progbits
; Kernel info:
; codeLenInByte = 0
; TotalNumSgprs: 6
; NumVgprs: 0
; NumAgprs: 0
; TotalNumVgprs: 0
; ScratchSize: 0
; MemoryBound: 0
; FloatMode: 240
; IeeeMode: 1
; LDSByteSize: 0 bytes/workgroup (compile time only)
; SGPRBlocks: 0
; VGPRBlocks: 0
; NumSGPRsForWavesPerEU: 6
; NumVGPRsForWavesPerEU: 1
; AccumOffset: 4
; Occupancy: 8
; WaveLimiterHint : 0
; COMPUTE_PGM_RSRC2:SCRATCH_EN: 0
; COMPUTE_PGM_RSRC2:USER_SGPR: 2
; COMPUTE_PGM_RSRC2:TRAP_HANDLER: 0
; COMPUTE_PGM_RSRC2:TGID_X_EN: 1
; COMPUTE_PGM_RSRC2:TGID_Y_EN: 0
; COMPUTE_PGM_RSRC2:TGID_Z_EN: 0
; COMPUTE_PGM_RSRC2:TIDIG_COMP_CNT: 0
; COMPUTE_PGM_RSRC3_GFX90A:ACCUM_OFFSET: 0
; COMPUTE_PGM_RSRC3_GFX90A:TG_SPLIT: 0
	.section	.text._ZN7rocprim17ROCPRIM_400000_NS6detail17trampoline_kernelINS0_14default_configENS1_25partition_config_selectorILNS1_17partition_subalgoE5ElNS0_10empty_typeEbEEZZNS1_14partition_implILS5_5ELb0ES3_mN6hipcub16HIPCUB_304000_NS21CountingInputIteratorIllEEPS6_NSA_22TransformInputIteratorIb7NonZeroIiEPilEENS0_5tupleIJPlS6_EEENSJ_IJSD_SD_EEES6_SK_JS6_EEE10hipError_tPvRmT3_T4_T5_T6_T7_T9_mT8_P12ihipStream_tbDpT10_ENKUlT_T0_E_clISt17integral_constantIbLb0EES16_EEDaS11_S12_EUlS11_E_NS1_11comp_targetILNS1_3genE10ELNS1_11target_archE1200ELNS1_3gpuE4ELNS1_3repE0EEENS1_30default_config_static_selectorELNS0_4arch9wavefront6targetE1EEEvT1_,"axG",@progbits,_ZN7rocprim17ROCPRIM_400000_NS6detail17trampoline_kernelINS0_14default_configENS1_25partition_config_selectorILNS1_17partition_subalgoE5ElNS0_10empty_typeEbEEZZNS1_14partition_implILS5_5ELb0ES3_mN6hipcub16HIPCUB_304000_NS21CountingInputIteratorIllEEPS6_NSA_22TransformInputIteratorIb7NonZeroIiEPilEENS0_5tupleIJPlS6_EEENSJ_IJSD_SD_EEES6_SK_JS6_EEE10hipError_tPvRmT3_T4_T5_T6_T7_T9_mT8_P12ihipStream_tbDpT10_ENKUlT_T0_E_clISt17integral_constantIbLb0EES16_EEDaS11_S12_EUlS11_E_NS1_11comp_targetILNS1_3genE10ELNS1_11target_archE1200ELNS1_3gpuE4ELNS1_3repE0EEENS1_30default_config_static_selectorELNS0_4arch9wavefront6targetE1EEEvT1_,comdat
	.protected	_ZN7rocprim17ROCPRIM_400000_NS6detail17trampoline_kernelINS0_14default_configENS1_25partition_config_selectorILNS1_17partition_subalgoE5ElNS0_10empty_typeEbEEZZNS1_14partition_implILS5_5ELb0ES3_mN6hipcub16HIPCUB_304000_NS21CountingInputIteratorIllEEPS6_NSA_22TransformInputIteratorIb7NonZeroIiEPilEENS0_5tupleIJPlS6_EEENSJ_IJSD_SD_EEES6_SK_JS6_EEE10hipError_tPvRmT3_T4_T5_T6_T7_T9_mT8_P12ihipStream_tbDpT10_ENKUlT_T0_E_clISt17integral_constantIbLb0EES16_EEDaS11_S12_EUlS11_E_NS1_11comp_targetILNS1_3genE10ELNS1_11target_archE1200ELNS1_3gpuE4ELNS1_3repE0EEENS1_30default_config_static_selectorELNS0_4arch9wavefront6targetE1EEEvT1_ ; -- Begin function _ZN7rocprim17ROCPRIM_400000_NS6detail17trampoline_kernelINS0_14default_configENS1_25partition_config_selectorILNS1_17partition_subalgoE5ElNS0_10empty_typeEbEEZZNS1_14partition_implILS5_5ELb0ES3_mN6hipcub16HIPCUB_304000_NS21CountingInputIteratorIllEEPS6_NSA_22TransformInputIteratorIb7NonZeroIiEPilEENS0_5tupleIJPlS6_EEENSJ_IJSD_SD_EEES6_SK_JS6_EEE10hipError_tPvRmT3_T4_T5_T6_T7_T9_mT8_P12ihipStream_tbDpT10_ENKUlT_T0_E_clISt17integral_constantIbLb0EES16_EEDaS11_S12_EUlS11_E_NS1_11comp_targetILNS1_3genE10ELNS1_11target_archE1200ELNS1_3gpuE4ELNS1_3repE0EEENS1_30default_config_static_selectorELNS0_4arch9wavefront6targetE1EEEvT1_
	.globl	_ZN7rocprim17ROCPRIM_400000_NS6detail17trampoline_kernelINS0_14default_configENS1_25partition_config_selectorILNS1_17partition_subalgoE5ElNS0_10empty_typeEbEEZZNS1_14partition_implILS5_5ELb0ES3_mN6hipcub16HIPCUB_304000_NS21CountingInputIteratorIllEEPS6_NSA_22TransformInputIteratorIb7NonZeroIiEPilEENS0_5tupleIJPlS6_EEENSJ_IJSD_SD_EEES6_SK_JS6_EEE10hipError_tPvRmT3_T4_T5_T6_T7_T9_mT8_P12ihipStream_tbDpT10_ENKUlT_T0_E_clISt17integral_constantIbLb0EES16_EEDaS11_S12_EUlS11_E_NS1_11comp_targetILNS1_3genE10ELNS1_11target_archE1200ELNS1_3gpuE4ELNS1_3repE0EEENS1_30default_config_static_selectorELNS0_4arch9wavefront6targetE1EEEvT1_
	.p2align	8
	.type	_ZN7rocprim17ROCPRIM_400000_NS6detail17trampoline_kernelINS0_14default_configENS1_25partition_config_selectorILNS1_17partition_subalgoE5ElNS0_10empty_typeEbEEZZNS1_14partition_implILS5_5ELb0ES3_mN6hipcub16HIPCUB_304000_NS21CountingInputIteratorIllEEPS6_NSA_22TransformInputIteratorIb7NonZeroIiEPilEENS0_5tupleIJPlS6_EEENSJ_IJSD_SD_EEES6_SK_JS6_EEE10hipError_tPvRmT3_T4_T5_T6_T7_T9_mT8_P12ihipStream_tbDpT10_ENKUlT_T0_E_clISt17integral_constantIbLb0EES16_EEDaS11_S12_EUlS11_E_NS1_11comp_targetILNS1_3genE10ELNS1_11target_archE1200ELNS1_3gpuE4ELNS1_3repE0EEENS1_30default_config_static_selectorELNS0_4arch9wavefront6targetE1EEEvT1_,@function
_ZN7rocprim17ROCPRIM_400000_NS6detail17trampoline_kernelINS0_14default_configENS1_25partition_config_selectorILNS1_17partition_subalgoE5ElNS0_10empty_typeEbEEZZNS1_14partition_implILS5_5ELb0ES3_mN6hipcub16HIPCUB_304000_NS21CountingInputIteratorIllEEPS6_NSA_22TransformInputIteratorIb7NonZeroIiEPilEENS0_5tupleIJPlS6_EEENSJ_IJSD_SD_EEES6_SK_JS6_EEE10hipError_tPvRmT3_T4_T5_T6_T7_T9_mT8_P12ihipStream_tbDpT10_ENKUlT_T0_E_clISt17integral_constantIbLb0EES16_EEDaS11_S12_EUlS11_E_NS1_11comp_targetILNS1_3genE10ELNS1_11target_archE1200ELNS1_3gpuE4ELNS1_3repE0EEENS1_30default_config_static_selectorELNS0_4arch9wavefront6targetE1EEEvT1_: ; @_ZN7rocprim17ROCPRIM_400000_NS6detail17trampoline_kernelINS0_14default_configENS1_25partition_config_selectorILNS1_17partition_subalgoE5ElNS0_10empty_typeEbEEZZNS1_14partition_implILS5_5ELb0ES3_mN6hipcub16HIPCUB_304000_NS21CountingInputIteratorIllEEPS6_NSA_22TransformInputIteratorIb7NonZeroIiEPilEENS0_5tupleIJPlS6_EEENSJ_IJSD_SD_EEES6_SK_JS6_EEE10hipError_tPvRmT3_T4_T5_T6_T7_T9_mT8_P12ihipStream_tbDpT10_ENKUlT_T0_E_clISt17integral_constantIbLb0EES16_EEDaS11_S12_EUlS11_E_NS1_11comp_targetILNS1_3genE10ELNS1_11target_archE1200ELNS1_3gpuE4ELNS1_3repE0EEENS1_30default_config_static_selectorELNS0_4arch9wavefront6targetE1EEEvT1_
; %bb.0:
	.section	.rodata,"a",@progbits
	.p2align	6, 0x0
	.amdhsa_kernel _ZN7rocprim17ROCPRIM_400000_NS6detail17trampoline_kernelINS0_14default_configENS1_25partition_config_selectorILNS1_17partition_subalgoE5ElNS0_10empty_typeEbEEZZNS1_14partition_implILS5_5ELb0ES3_mN6hipcub16HIPCUB_304000_NS21CountingInputIteratorIllEEPS6_NSA_22TransformInputIteratorIb7NonZeroIiEPilEENS0_5tupleIJPlS6_EEENSJ_IJSD_SD_EEES6_SK_JS6_EEE10hipError_tPvRmT3_T4_T5_T6_T7_T9_mT8_P12ihipStream_tbDpT10_ENKUlT_T0_E_clISt17integral_constantIbLb0EES16_EEDaS11_S12_EUlS11_E_NS1_11comp_targetILNS1_3genE10ELNS1_11target_archE1200ELNS1_3gpuE4ELNS1_3repE0EEENS1_30default_config_static_selectorELNS0_4arch9wavefront6targetE1EEEvT1_
		.amdhsa_group_segment_fixed_size 0
		.amdhsa_private_segment_fixed_size 0
		.amdhsa_kernarg_size 120
		.amdhsa_user_sgpr_count 2
		.amdhsa_user_sgpr_dispatch_ptr 0
		.amdhsa_user_sgpr_queue_ptr 0
		.amdhsa_user_sgpr_kernarg_segment_ptr 1
		.amdhsa_user_sgpr_dispatch_id 0
		.amdhsa_user_sgpr_kernarg_preload_length 0
		.amdhsa_user_sgpr_kernarg_preload_offset 0
		.amdhsa_user_sgpr_private_segment_size 0
		.amdhsa_uses_dynamic_stack 0
		.amdhsa_enable_private_segment 0
		.amdhsa_system_sgpr_workgroup_id_x 1
		.amdhsa_system_sgpr_workgroup_id_y 0
		.amdhsa_system_sgpr_workgroup_id_z 0
		.amdhsa_system_sgpr_workgroup_info 0
		.amdhsa_system_vgpr_workitem_id 0
		.amdhsa_next_free_vgpr 1
		.amdhsa_next_free_sgpr 0
		.amdhsa_accum_offset 4
		.amdhsa_reserve_vcc 0
		.amdhsa_float_round_mode_32 0
		.amdhsa_float_round_mode_16_64 0
		.amdhsa_float_denorm_mode_32 3
		.amdhsa_float_denorm_mode_16_64 3
		.amdhsa_dx10_clamp 1
		.amdhsa_ieee_mode 1
		.amdhsa_fp16_overflow 0
		.amdhsa_tg_split 0
		.amdhsa_exception_fp_ieee_invalid_op 0
		.amdhsa_exception_fp_denorm_src 0
		.amdhsa_exception_fp_ieee_div_zero 0
		.amdhsa_exception_fp_ieee_overflow 0
		.amdhsa_exception_fp_ieee_underflow 0
		.amdhsa_exception_fp_ieee_inexact 0
		.amdhsa_exception_int_div_zero 0
	.end_amdhsa_kernel
	.section	.text._ZN7rocprim17ROCPRIM_400000_NS6detail17trampoline_kernelINS0_14default_configENS1_25partition_config_selectorILNS1_17partition_subalgoE5ElNS0_10empty_typeEbEEZZNS1_14partition_implILS5_5ELb0ES3_mN6hipcub16HIPCUB_304000_NS21CountingInputIteratorIllEEPS6_NSA_22TransformInputIteratorIb7NonZeroIiEPilEENS0_5tupleIJPlS6_EEENSJ_IJSD_SD_EEES6_SK_JS6_EEE10hipError_tPvRmT3_T4_T5_T6_T7_T9_mT8_P12ihipStream_tbDpT10_ENKUlT_T0_E_clISt17integral_constantIbLb0EES16_EEDaS11_S12_EUlS11_E_NS1_11comp_targetILNS1_3genE10ELNS1_11target_archE1200ELNS1_3gpuE4ELNS1_3repE0EEENS1_30default_config_static_selectorELNS0_4arch9wavefront6targetE1EEEvT1_,"axG",@progbits,_ZN7rocprim17ROCPRIM_400000_NS6detail17trampoline_kernelINS0_14default_configENS1_25partition_config_selectorILNS1_17partition_subalgoE5ElNS0_10empty_typeEbEEZZNS1_14partition_implILS5_5ELb0ES3_mN6hipcub16HIPCUB_304000_NS21CountingInputIteratorIllEEPS6_NSA_22TransformInputIteratorIb7NonZeroIiEPilEENS0_5tupleIJPlS6_EEENSJ_IJSD_SD_EEES6_SK_JS6_EEE10hipError_tPvRmT3_T4_T5_T6_T7_T9_mT8_P12ihipStream_tbDpT10_ENKUlT_T0_E_clISt17integral_constantIbLb0EES16_EEDaS11_S12_EUlS11_E_NS1_11comp_targetILNS1_3genE10ELNS1_11target_archE1200ELNS1_3gpuE4ELNS1_3repE0EEENS1_30default_config_static_selectorELNS0_4arch9wavefront6targetE1EEEvT1_,comdat
.Lfunc_end190:
	.size	_ZN7rocprim17ROCPRIM_400000_NS6detail17trampoline_kernelINS0_14default_configENS1_25partition_config_selectorILNS1_17partition_subalgoE5ElNS0_10empty_typeEbEEZZNS1_14partition_implILS5_5ELb0ES3_mN6hipcub16HIPCUB_304000_NS21CountingInputIteratorIllEEPS6_NSA_22TransformInputIteratorIb7NonZeroIiEPilEENS0_5tupleIJPlS6_EEENSJ_IJSD_SD_EEES6_SK_JS6_EEE10hipError_tPvRmT3_T4_T5_T6_T7_T9_mT8_P12ihipStream_tbDpT10_ENKUlT_T0_E_clISt17integral_constantIbLb0EES16_EEDaS11_S12_EUlS11_E_NS1_11comp_targetILNS1_3genE10ELNS1_11target_archE1200ELNS1_3gpuE4ELNS1_3repE0EEENS1_30default_config_static_selectorELNS0_4arch9wavefront6targetE1EEEvT1_, .Lfunc_end190-_ZN7rocprim17ROCPRIM_400000_NS6detail17trampoline_kernelINS0_14default_configENS1_25partition_config_selectorILNS1_17partition_subalgoE5ElNS0_10empty_typeEbEEZZNS1_14partition_implILS5_5ELb0ES3_mN6hipcub16HIPCUB_304000_NS21CountingInputIteratorIllEEPS6_NSA_22TransformInputIteratorIb7NonZeroIiEPilEENS0_5tupleIJPlS6_EEENSJ_IJSD_SD_EEES6_SK_JS6_EEE10hipError_tPvRmT3_T4_T5_T6_T7_T9_mT8_P12ihipStream_tbDpT10_ENKUlT_T0_E_clISt17integral_constantIbLb0EES16_EEDaS11_S12_EUlS11_E_NS1_11comp_targetILNS1_3genE10ELNS1_11target_archE1200ELNS1_3gpuE4ELNS1_3repE0EEENS1_30default_config_static_selectorELNS0_4arch9wavefront6targetE1EEEvT1_
                                        ; -- End function
	.set _ZN7rocprim17ROCPRIM_400000_NS6detail17trampoline_kernelINS0_14default_configENS1_25partition_config_selectorILNS1_17partition_subalgoE5ElNS0_10empty_typeEbEEZZNS1_14partition_implILS5_5ELb0ES3_mN6hipcub16HIPCUB_304000_NS21CountingInputIteratorIllEEPS6_NSA_22TransformInputIteratorIb7NonZeroIiEPilEENS0_5tupleIJPlS6_EEENSJ_IJSD_SD_EEES6_SK_JS6_EEE10hipError_tPvRmT3_T4_T5_T6_T7_T9_mT8_P12ihipStream_tbDpT10_ENKUlT_T0_E_clISt17integral_constantIbLb0EES16_EEDaS11_S12_EUlS11_E_NS1_11comp_targetILNS1_3genE10ELNS1_11target_archE1200ELNS1_3gpuE4ELNS1_3repE0EEENS1_30default_config_static_selectorELNS0_4arch9wavefront6targetE1EEEvT1_.num_vgpr, 0
	.set _ZN7rocprim17ROCPRIM_400000_NS6detail17trampoline_kernelINS0_14default_configENS1_25partition_config_selectorILNS1_17partition_subalgoE5ElNS0_10empty_typeEbEEZZNS1_14partition_implILS5_5ELb0ES3_mN6hipcub16HIPCUB_304000_NS21CountingInputIteratorIllEEPS6_NSA_22TransformInputIteratorIb7NonZeroIiEPilEENS0_5tupleIJPlS6_EEENSJ_IJSD_SD_EEES6_SK_JS6_EEE10hipError_tPvRmT3_T4_T5_T6_T7_T9_mT8_P12ihipStream_tbDpT10_ENKUlT_T0_E_clISt17integral_constantIbLb0EES16_EEDaS11_S12_EUlS11_E_NS1_11comp_targetILNS1_3genE10ELNS1_11target_archE1200ELNS1_3gpuE4ELNS1_3repE0EEENS1_30default_config_static_selectorELNS0_4arch9wavefront6targetE1EEEvT1_.num_agpr, 0
	.set _ZN7rocprim17ROCPRIM_400000_NS6detail17trampoline_kernelINS0_14default_configENS1_25partition_config_selectorILNS1_17partition_subalgoE5ElNS0_10empty_typeEbEEZZNS1_14partition_implILS5_5ELb0ES3_mN6hipcub16HIPCUB_304000_NS21CountingInputIteratorIllEEPS6_NSA_22TransformInputIteratorIb7NonZeroIiEPilEENS0_5tupleIJPlS6_EEENSJ_IJSD_SD_EEES6_SK_JS6_EEE10hipError_tPvRmT3_T4_T5_T6_T7_T9_mT8_P12ihipStream_tbDpT10_ENKUlT_T0_E_clISt17integral_constantIbLb0EES16_EEDaS11_S12_EUlS11_E_NS1_11comp_targetILNS1_3genE10ELNS1_11target_archE1200ELNS1_3gpuE4ELNS1_3repE0EEENS1_30default_config_static_selectorELNS0_4arch9wavefront6targetE1EEEvT1_.numbered_sgpr, 0
	.set _ZN7rocprim17ROCPRIM_400000_NS6detail17trampoline_kernelINS0_14default_configENS1_25partition_config_selectorILNS1_17partition_subalgoE5ElNS0_10empty_typeEbEEZZNS1_14partition_implILS5_5ELb0ES3_mN6hipcub16HIPCUB_304000_NS21CountingInputIteratorIllEEPS6_NSA_22TransformInputIteratorIb7NonZeroIiEPilEENS0_5tupleIJPlS6_EEENSJ_IJSD_SD_EEES6_SK_JS6_EEE10hipError_tPvRmT3_T4_T5_T6_T7_T9_mT8_P12ihipStream_tbDpT10_ENKUlT_T0_E_clISt17integral_constantIbLb0EES16_EEDaS11_S12_EUlS11_E_NS1_11comp_targetILNS1_3genE10ELNS1_11target_archE1200ELNS1_3gpuE4ELNS1_3repE0EEENS1_30default_config_static_selectorELNS0_4arch9wavefront6targetE1EEEvT1_.num_named_barrier, 0
	.set _ZN7rocprim17ROCPRIM_400000_NS6detail17trampoline_kernelINS0_14default_configENS1_25partition_config_selectorILNS1_17partition_subalgoE5ElNS0_10empty_typeEbEEZZNS1_14partition_implILS5_5ELb0ES3_mN6hipcub16HIPCUB_304000_NS21CountingInputIteratorIllEEPS6_NSA_22TransformInputIteratorIb7NonZeroIiEPilEENS0_5tupleIJPlS6_EEENSJ_IJSD_SD_EEES6_SK_JS6_EEE10hipError_tPvRmT3_T4_T5_T6_T7_T9_mT8_P12ihipStream_tbDpT10_ENKUlT_T0_E_clISt17integral_constantIbLb0EES16_EEDaS11_S12_EUlS11_E_NS1_11comp_targetILNS1_3genE10ELNS1_11target_archE1200ELNS1_3gpuE4ELNS1_3repE0EEENS1_30default_config_static_selectorELNS0_4arch9wavefront6targetE1EEEvT1_.private_seg_size, 0
	.set _ZN7rocprim17ROCPRIM_400000_NS6detail17trampoline_kernelINS0_14default_configENS1_25partition_config_selectorILNS1_17partition_subalgoE5ElNS0_10empty_typeEbEEZZNS1_14partition_implILS5_5ELb0ES3_mN6hipcub16HIPCUB_304000_NS21CountingInputIteratorIllEEPS6_NSA_22TransformInputIteratorIb7NonZeroIiEPilEENS0_5tupleIJPlS6_EEENSJ_IJSD_SD_EEES6_SK_JS6_EEE10hipError_tPvRmT3_T4_T5_T6_T7_T9_mT8_P12ihipStream_tbDpT10_ENKUlT_T0_E_clISt17integral_constantIbLb0EES16_EEDaS11_S12_EUlS11_E_NS1_11comp_targetILNS1_3genE10ELNS1_11target_archE1200ELNS1_3gpuE4ELNS1_3repE0EEENS1_30default_config_static_selectorELNS0_4arch9wavefront6targetE1EEEvT1_.uses_vcc, 0
	.set _ZN7rocprim17ROCPRIM_400000_NS6detail17trampoline_kernelINS0_14default_configENS1_25partition_config_selectorILNS1_17partition_subalgoE5ElNS0_10empty_typeEbEEZZNS1_14partition_implILS5_5ELb0ES3_mN6hipcub16HIPCUB_304000_NS21CountingInputIteratorIllEEPS6_NSA_22TransformInputIteratorIb7NonZeroIiEPilEENS0_5tupleIJPlS6_EEENSJ_IJSD_SD_EEES6_SK_JS6_EEE10hipError_tPvRmT3_T4_T5_T6_T7_T9_mT8_P12ihipStream_tbDpT10_ENKUlT_T0_E_clISt17integral_constantIbLb0EES16_EEDaS11_S12_EUlS11_E_NS1_11comp_targetILNS1_3genE10ELNS1_11target_archE1200ELNS1_3gpuE4ELNS1_3repE0EEENS1_30default_config_static_selectorELNS0_4arch9wavefront6targetE1EEEvT1_.uses_flat_scratch, 0
	.set _ZN7rocprim17ROCPRIM_400000_NS6detail17trampoline_kernelINS0_14default_configENS1_25partition_config_selectorILNS1_17partition_subalgoE5ElNS0_10empty_typeEbEEZZNS1_14partition_implILS5_5ELb0ES3_mN6hipcub16HIPCUB_304000_NS21CountingInputIteratorIllEEPS6_NSA_22TransformInputIteratorIb7NonZeroIiEPilEENS0_5tupleIJPlS6_EEENSJ_IJSD_SD_EEES6_SK_JS6_EEE10hipError_tPvRmT3_T4_T5_T6_T7_T9_mT8_P12ihipStream_tbDpT10_ENKUlT_T0_E_clISt17integral_constantIbLb0EES16_EEDaS11_S12_EUlS11_E_NS1_11comp_targetILNS1_3genE10ELNS1_11target_archE1200ELNS1_3gpuE4ELNS1_3repE0EEENS1_30default_config_static_selectorELNS0_4arch9wavefront6targetE1EEEvT1_.has_dyn_sized_stack, 0
	.set _ZN7rocprim17ROCPRIM_400000_NS6detail17trampoline_kernelINS0_14default_configENS1_25partition_config_selectorILNS1_17partition_subalgoE5ElNS0_10empty_typeEbEEZZNS1_14partition_implILS5_5ELb0ES3_mN6hipcub16HIPCUB_304000_NS21CountingInputIteratorIllEEPS6_NSA_22TransformInputIteratorIb7NonZeroIiEPilEENS0_5tupleIJPlS6_EEENSJ_IJSD_SD_EEES6_SK_JS6_EEE10hipError_tPvRmT3_T4_T5_T6_T7_T9_mT8_P12ihipStream_tbDpT10_ENKUlT_T0_E_clISt17integral_constantIbLb0EES16_EEDaS11_S12_EUlS11_E_NS1_11comp_targetILNS1_3genE10ELNS1_11target_archE1200ELNS1_3gpuE4ELNS1_3repE0EEENS1_30default_config_static_selectorELNS0_4arch9wavefront6targetE1EEEvT1_.has_recursion, 0
	.set _ZN7rocprim17ROCPRIM_400000_NS6detail17trampoline_kernelINS0_14default_configENS1_25partition_config_selectorILNS1_17partition_subalgoE5ElNS0_10empty_typeEbEEZZNS1_14partition_implILS5_5ELb0ES3_mN6hipcub16HIPCUB_304000_NS21CountingInputIteratorIllEEPS6_NSA_22TransformInputIteratorIb7NonZeroIiEPilEENS0_5tupleIJPlS6_EEENSJ_IJSD_SD_EEES6_SK_JS6_EEE10hipError_tPvRmT3_T4_T5_T6_T7_T9_mT8_P12ihipStream_tbDpT10_ENKUlT_T0_E_clISt17integral_constantIbLb0EES16_EEDaS11_S12_EUlS11_E_NS1_11comp_targetILNS1_3genE10ELNS1_11target_archE1200ELNS1_3gpuE4ELNS1_3repE0EEENS1_30default_config_static_selectorELNS0_4arch9wavefront6targetE1EEEvT1_.has_indirect_call, 0
	.section	.AMDGPU.csdata,"",@progbits
; Kernel info:
; codeLenInByte = 0
; TotalNumSgprs: 6
; NumVgprs: 0
; NumAgprs: 0
; TotalNumVgprs: 0
; ScratchSize: 0
; MemoryBound: 0
; FloatMode: 240
; IeeeMode: 1
; LDSByteSize: 0 bytes/workgroup (compile time only)
; SGPRBlocks: 0
; VGPRBlocks: 0
; NumSGPRsForWavesPerEU: 6
; NumVGPRsForWavesPerEU: 1
; AccumOffset: 4
; Occupancy: 8
; WaveLimiterHint : 0
; COMPUTE_PGM_RSRC2:SCRATCH_EN: 0
; COMPUTE_PGM_RSRC2:USER_SGPR: 2
; COMPUTE_PGM_RSRC2:TRAP_HANDLER: 0
; COMPUTE_PGM_RSRC2:TGID_X_EN: 1
; COMPUTE_PGM_RSRC2:TGID_Y_EN: 0
; COMPUTE_PGM_RSRC2:TGID_Z_EN: 0
; COMPUTE_PGM_RSRC2:TIDIG_COMP_CNT: 0
; COMPUTE_PGM_RSRC3_GFX90A:ACCUM_OFFSET: 0
; COMPUTE_PGM_RSRC3_GFX90A:TG_SPLIT: 0
	.section	.text._ZN7rocprim17ROCPRIM_400000_NS6detail17trampoline_kernelINS0_14default_configENS1_25partition_config_selectorILNS1_17partition_subalgoE5ElNS0_10empty_typeEbEEZZNS1_14partition_implILS5_5ELb0ES3_mN6hipcub16HIPCUB_304000_NS21CountingInputIteratorIllEEPS6_NSA_22TransformInputIteratorIb7NonZeroIiEPilEENS0_5tupleIJPlS6_EEENSJ_IJSD_SD_EEES6_SK_JS6_EEE10hipError_tPvRmT3_T4_T5_T6_T7_T9_mT8_P12ihipStream_tbDpT10_ENKUlT_T0_E_clISt17integral_constantIbLb0EES16_EEDaS11_S12_EUlS11_E_NS1_11comp_targetILNS1_3genE9ELNS1_11target_archE1100ELNS1_3gpuE3ELNS1_3repE0EEENS1_30default_config_static_selectorELNS0_4arch9wavefront6targetE1EEEvT1_,"axG",@progbits,_ZN7rocprim17ROCPRIM_400000_NS6detail17trampoline_kernelINS0_14default_configENS1_25partition_config_selectorILNS1_17partition_subalgoE5ElNS0_10empty_typeEbEEZZNS1_14partition_implILS5_5ELb0ES3_mN6hipcub16HIPCUB_304000_NS21CountingInputIteratorIllEEPS6_NSA_22TransformInputIteratorIb7NonZeroIiEPilEENS0_5tupleIJPlS6_EEENSJ_IJSD_SD_EEES6_SK_JS6_EEE10hipError_tPvRmT3_T4_T5_T6_T7_T9_mT8_P12ihipStream_tbDpT10_ENKUlT_T0_E_clISt17integral_constantIbLb0EES16_EEDaS11_S12_EUlS11_E_NS1_11comp_targetILNS1_3genE9ELNS1_11target_archE1100ELNS1_3gpuE3ELNS1_3repE0EEENS1_30default_config_static_selectorELNS0_4arch9wavefront6targetE1EEEvT1_,comdat
	.protected	_ZN7rocprim17ROCPRIM_400000_NS6detail17trampoline_kernelINS0_14default_configENS1_25partition_config_selectorILNS1_17partition_subalgoE5ElNS0_10empty_typeEbEEZZNS1_14partition_implILS5_5ELb0ES3_mN6hipcub16HIPCUB_304000_NS21CountingInputIteratorIllEEPS6_NSA_22TransformInputIteratorIb7NonZeroIiEPilEENS0_5tupleIJPlS6_EEENSJ_IJSD_SD_EEES6_SK_JS6_EEE10hipError_tPvRmT3_T4_T5_T6_T7_T9_mT8_P12ihipStream_tbDpT10_ENKUlT_T0_E_clISt17integral_constantIbLb0EES16_EEDaS11_S12_EUlS11_E_NS1_11comp_targetILNS1_3genE9ELNS1_11target_archE1100ELNS1_3gpuE3ELNS1_3repE0EEENS1_30default_config_static_selectorELNS0_4arch9wavefront6targetE1EEEvT1_ ; -- Begin function _ZN7rocprim17ROCPRIM_400000_NS6detail17trampoline_kernelINS0_14default_configENS1_25partition_config_selectorILNS1_17partition_subalgoE5ElNS0_10empty_typeEbEEZZNS1_14partition_implILS5_5ELb0ES3_mN6hipcub16HIPCUB_304000_NS21CountingInputIteratorIllEEPS6_NSA_22TransformInputIteratorIb7NonZeroIiEPilEENS0_5tupleIJPlS6_EEENSJ_IJSD_SD_EEES6_SK_JS6_EEE10hipError_tPvRmT3_T4_T5_T6_T7_T9_mT8_P12ihipStream_tbDpT10_ENKUlT_T0_E_clISt17integral_constantIbLb0EES16_EEDaS11_S12_EUlS11_E_NS1_11comp_targetILNS1_3genE9ELNS1_11target_archE1100ELNS1_3gpuE3ELNS1_3repE0EEENS1_30default_config_static_selectorELNS0_4arch9wavefront6targetE1EEEvT1_
	.globl	_ZN7rocprim17ROCPRIM_400000_NS6detail17trampoline_kernelINS0_14default_configENS1_25partition_config_selectorILNS1_17partition_subalgoE5ElNS0_10empty_typeEbEEZZNS1_14partition_implILS5_5ELb0ES3_mN6hipcub16HIPCUB_304000_NS21CountingInputIteratorIllEEPS6_NSA_22TransformInputIteratorIb7NonZeroIiEPilEENS0_5tupleIJPlS6_EEENSJ_IJSD_SD_EEES6_SK_JS6_EEE10hipError_tPvRmT3_T4_T5_T6_T7_T9_mT8_P12ihipStream_tbDpT10_ENKUlT_T0_E_clISt17integral_constantIbLb0EES16_EEDaS11_S12_EUlS11_E_NS1_11comp_targetILNS1_3genE9ELNS1_11target_archE1100ELNS1_3gpuE3ELNS1_3repE0EEENS1_30default_config_static_selectorELNS0_4arch9wavefront6targetE1EEEvT1_
	.p2align	8
	.type	_ZN7rocprim17ROCPRIM_400000_NS6detail17trampoline_kernelINS0_14default_configENS1_25partition_config_selectorILNS1_17partition_subalgoE5ElNS0_10empty_typeEbEEZZNS1_14partition_implILS5_5ELb0ES3_mN6hipcub16HIPCUB_304000_NS21CountingInputIteratorIllEEPS6_NSA_22TransformInputIteratorIb7NonZeroIiEPilEENS0_5tupleIJPlS6_EEENSJ_IJSD_SD_EEES6_SK_JS6_EEE10hipError_tPvRmT3_T4_T5_T6_T7_T9_mT8_P12ihipStream_tbDpT10_ENKUlT_T0_E_clISt17integral_constantIbLb0EES16_EEDaS11_S12_EUlS11_E_NS1_11comp_targetILNS1_3genE9ELNS1_11target_archE1100ELNS1_3gpuE3ELNS1_3repE0EEENS1_30default_config_static_selectorELNS0_4arch9wavefront6targetE1EEEvT1_,@function
_ZN7rocprim17ROCPRIM_400000_NS6detail17trampoline_kernelINS0_14default_configENS1_25partition_config_selectorILNS1_17partition_subalgoE5ElNS0_10empty_typeEbEEZZNS1_14partition_implILS5_5ELb0ES3_mN6hipcub16HIPCUB_304000_NS21CountingInputIteratorIllEEPS6_NSA_22TransformInputIteratorIb7NonZeroIiEPilEENS0_5tupleIJPlS6_EEENSJ_IJSD_SD_EEES6_SK_JS6_EEE10hipError_tPvRmT3_T4_T5_T6_T7_T9_mT8_P12ihipStream_tbDpT10_ENKUlT_T0_E_clISt17integral_constantIbLb0EES16_EEDaS11_S12_EUlS11_E_NS1_11comp_targetILNS1_3genE9ELNS1_11target_archE1100ELNS1_3gpuE3ELNS1_3repE0EEENS1_30default_config_static_selectorELNS0_4arch9wavefront6targetE1EEEvT1_: ; @_ZN7rocprim17ROCPRIM_400000_NS6detail17trampoline_kernelINS0_14default_configENS1_25partition_config_selectorILNS1_17partition_subalgoE5ElNS0_10empty_typeEbEEZZNS1_14partition_implILS5_5ELb0ES3_mN6hipcub16HIPCUB_304000_NS21CountingInputIteratorIllEEPS6_NSA_22TransformInputIteratorIb7NonZeroIiEPilEENS0_5tupleIJPlS6_EEENSJ_IJSD_SD_EEES6_SK_JS6_EEE10hipError_tPvRmT3_T4_T5_T6_T7_T9_mT8_P12ihipStream_tbDpT10_ENKUlT_T0_E_clISt17integral_constantIbLb0EES16_EEDaS11_S12_EUlS11_E_NS1_11comp_targetILNS1_3genE9ELNS1_11target_archE1100ELNS1_3gpuE3ELNS1_3repE0EEENS1_30default_config_static_selectorELNS0_4arch9wavefront6targetE1EEEvT1_
; %bb.0:
	.section	.rodata,"a",@progbits
	.p2align	6, 0x0
	.amdhsa_kernel _ZN7rocprim17ROCPRIM_400000_NS6detail17trampoline_kernelINS0_14default_configENS1_25partition_config_selectorILNS1_17partition_subalgoE5ElNS0_10empty_typeEbEEZZNS1_14partition_implILS5_5ELb0ES3_mN6hipcub16HIPCUB_304000_NS21CountingInputIteratorIllEEPS6_NSA_22TransformInputIteratorIb7NonZeroIiEPilEENS0_5tupleIJPlS6_EEENSJ_IJSD_SD_EEES6_SK_JS6_EEE10hipError_tPvRmT3_T4_T5_T6_T7_T9_mT8_P12ihipStream_tbDpT10_ENKUlT_T0_E_clISt17integral_constantIbLb0EES16_EEDaS11_S12_EUlS11_E_NS1_11comp_targetILNS1_3genE9ELNS1_11target_archE1100ELNS1_3gpuE3ELNS1_3repE0EEENS1_30default_config_static_selectorELNS0_4arch9wavefront6targetE1EEEvT1_
		.amdhsa_group_segment_fixed_size 0
		.amdhsa_private_segment_fixed_size 0
		.amdhsa_kernarg_size 120
		.amdhsa_user_sgpr_count 2
		.amdhsa_user_sgpr_dispatch_ptr 0
		.amdhsa_user_sgpr_queue_ptr 0
		.amdhsa_user_sgpr_kernarg_segment_ptr 1
		.amdhsa_user_sgpr_dispatch_id 0
		.amdhsa_user_sgpr_kernarg_preload_length 0
		.amdhsa_user_sgpr_kernarg_preload_offset 0
		.amdhsa_user_sgpr_private_segment_size 0
		.amdhsa_uses_dynamic_stack 0
		.amdhsa_enable_private_segment 0
		.amdhsa_system_sgpr_workgroup_id_x 1
		.amdhsa_system_sgpr_workgroup_id_y 0
		.amdhsa_system_sgpr_workgroup_id_z 0
		.amdhsa_system_sgpr_workgroup_info 0
		.amdhsa_system_vgpr_workitem_id 0
		.amdhsa_next_free_vgpr 1
		.amdhsa_next_free_sgpr 0
		.amdhsa_accum_offset 4
		.amdhsa_reserve_vcc 0
		.amdhsa_float_round_mode_32 0
		.amdhsa_float_round_mode_16_64 0
		.amdhsa_float_denorm_mode_32 3
		.amdhsa_float_denorm_mode_16_64 3
		.amdhsa_dx10_clamp 1
		.amdhsa_ieee_mode 1
		.amdhsa_fp16_overflow 0
		.amdhsa_tg_split 0
		.amdhsa_exception_fp_ieee_invalid_op 0
		.amdhsa_exception_fp_denorm_src 0
		.amdhsa_exception_fp_ieee_div_zero 0
		.amdhsa_exception_fp_ieee_overflow 0
		.amdhsa_exception_fp_ieee_underflow 0
		.amdhsa_exception_fp_ieee_inexact 0
		.amdhsa_exception_int_div_zero 0
	.end_amdhsa_kernel
	.section	.text._ZN7rocprim17ROCPRIM_400000_NS6detail17trampoline_kernelINS0_14default_configENS1_25partition_config_selectorILNS1_17partition_subalgoE5ElNS0_10empty_typeEbEEZZNS1_14partition_implILS5_5ELb0ES3_mN6hipcub16HIPCUB_304000_NS21CountingInputIteratorIllEEPS6_NSA_22TransformInputIteratorIb7NonZeroIiEPilEENS0_5tupleIJPlS6_EEENSJ_IJSD_SD_EEES6_SK_JS6_EEE10hipError_tPvRmT3_T4_T5_T6_T7_T9_mT8_P12ihipStream_tbDpT10_ENKUlT_T0_E_clISt17integral_constantIbLb0EES16_EEDaS11_S12_EUlS11_E_NS1_11comp_targetILNS1_3genE9ELNS1_11target_archE1100ELNS1_3gpuE3ELNS1_3repE0EEENS1_30default_config_static_selectorELNS0_4arch9wavefront6targetE1EEEvT1_,"axG",@progbits,_ZN7rocprim17ROCPRIM_400000_NS6detail17trampoline_kernelINS0_14default_configENS1_25partition_config_selectorILNS1_17partition_subalgoE5ElNS0_10empty_typeEbEEZZNS1_14partition_implILS5_5ELb0ES3_mN6hipcub16HIPCUB_304000_NS21CountingInputIteratorIllEEPS6_NSA_22TransformInputIteratorIb7NonZeroIiEPilEENS0_5tupleIJPlS6_EEENSJ_IJSD_SD_EEES6_SK_JS6_EEE10hipError_tPvRmT3_T4_T5_T6_T7_T9_mT8_P12ihipStream_tbDpT10_ENKUlT_T0_E_clISt17integral_constantIbLb0EES16_EEDaS11_S12_EUlS11_E_NS1_11comp_targetILNS1_3genE9ELNS1_11target_archE1100ELNS1_3gpuE3ELNS1_3repE0EEENS1_30default_config_static_selectorELNS0_4arch9wavefront6targetE1EEEvT1_,comdat
.Lfunc_end191:
	.size	_ZN7rocprim17ROCPRIM_400000_NS6detail17trampoline_kernelINS0_14default_configENS1_25partition_config_selectorILNS1_17partition_subalgoE5ElNS0_10empty_typeEbEEZZNS1_14partition_implILS5_5ELb0ES3_mN6hipcub16HIPCUB_304000_NS21CountingInputIteratorIllEEPS6_NSA_22TransformInputIteratorIb7NonZeroIiEPilEENS0_5tupleIJPlS6_EEENSJ_IJSD_SD_EEES6_SK_JS6_EEE10hipError_tPvRmT3_T4_T5_T6_T7_T9_mT8_P12ihipStream_tbDpT10_ENKUlT_T0_E_clISt17integral_constantIbLb0EES16_EEDaS11_S12_EUlS11_E_NS1_11comp_targetILNS1_3genE9ELNS1_11target_archE1100ELNS1_3gpuE3ELNS1_3repE0EEENS1_30default_config_static_selectorELNS0_4arch9wavefront6targetE1EEEvT1_, .Lfunc_end191-_ZN7rocprim17ROCPRIM_400000_NS6detail17trampoline_kernelINS0_14default_configENS1_25partition_config_selectorILNS1_17partition_subalgoE5ElNS0_10empty_typeEbEEZZNS1_14partition_implILS5_5ELb0ES3_mN6hipcub16HIPCUB_304000_NS21CountingInputIteratorIllEEPS6_NSA_22TransformInputIteratorIb7NonZeroIiEPilEENS0_5tupleIJPlS6_EEENSJ_IJSD_SD_EEES6_SK_JS6_EEE10hipError_tPvRmT3_T4_T5_T6_T7_T9_mT8_P12ihipStream_tbDpT10_ENKUlT_T0_E_clISt17integral_constantIbLb0EES16_EEDaS11_S12_EUlS11_E_NS1_11comp_targetILNS1_3genE9ELNS1_11target_archE1100ELNS1_3gpuE3ELNS1_3repE0EEENS1_30default_config_static_selectorELNS0_4arch9wavefront6targetE1EEEvT1_
                                        ; -- End function
	.set _ZN7rocprim17ROCPRIM_400000_NS6detail17trampoline_kernelINS0_14default_configENS1_25partition_config_selectorILNS1_17partition_subalgoE5ElNS0_10empty_typeEbEEZZNS1_14partition_implILS5_5ELb0ES3_mN6hipcub16HIPCUB_304000_NS21CountingInputIteratorIllEEPS6_NSA_22TransformInputIteratorIb7NonZeroIiEPilEENS0_5tupleIJPlS6_EEENSJ_IJSD_SD_EEES6_SK_JS6_EEE10hipError_tPvRmT3_T4_T5_T6_T7_T9_mT8_P12ihipStream_tbDpT10_ENKUlT_T0_E_clISt17integral_constantIbLb0EES16_EEDaS11_S12_EUlS11_E_NS1_11comp_targetILNS1_3genE9ELNS1_11target_archE1100ELNS1_3gpuE3ELNS1_3repE0EEENS1_30default_config_static_selectorELNS0_4arch9wavefront6targetE1EEEvT1_.num_vgpr, 0
	.set _ZN7rocprim17ROCPRIM_400000_NS6detail17trampoline_kernelINS0_14default_configENS1_25partition_config_selectorILNS1_17partition_subalgoE5ElNS0_10empty_typeEbEEZZNS1_14partition_implILS5_5ELb0ES3_mN6hipcub16HIPCUB_304000_NS21CountingInputIteratorIllEEPS6_NSA_22TransformInputIteratorIb7NonZeroIiEPilEENS0_5tupleIJPlS6_EEENSJ_IJSD_SD_EEES6_SK_JS6_EEE10hipError_tPvRmT3_T4_T5_T6_T7_T9_mT8_P12ihipStream_tbDpT10_ENKUlT_T0_E_clISt17integral_constantIbLb0EES16_EEDaS11_S12_EUlS11_E_NS1_11comp_targetILNS1_3genE9ELNS1_11target_archE1100ELNS1_3gpuE3ELNS1_3repE0EEENS1_30default_config_static_selectorELNS0_4arch9wavefront6targetE1EEEvT1_.num_agpr, 0
	.set _ZN7rocprim17ROCPRIM_400000_NS6detail17trampoline_kernelINS0_14default_configENS1_25partition_config_selectorILNS1_17partition_subalgoE5ElNS0_10empty_typeEbEEZZNS1_14partition_implILS5_5ELb0ES3_mN6hipcub16HIPCUB_304000_NS21CountingInputIteratorIllEEPS6_NSA_22TransformInputIteratorIb7NonZeroIiEPilEENS0_5tupleIJPlS6_EEENSJ_IJSD_SD_EEES6_SK_JS6_EEE10hipError_tPvRmT3_T4_T5_T6_T7_T9_mT8_P12ihipStream_tbDpT10_ENKUlT_T0_E_clISt17integral_constantIbLb0EES16_EEDaS11_S12_EUlS11_E_NS1_11comp_targetILNS1_3genE9ELNS1_11target_archE1100ELNS1_3gpuE3ELNS1_3repE0EEENS1_30default_config_static_selectorELNS0_4arch9wavefront6targetE1EEEvT1_.numbered_sgpr, 0
	.set _ZN7rocprim17ROCPRIM_400000_NS6detail17trampoline_kernelINS0_14default_configENS1_25partition_config_selectorILNS1_17partition_subalgoE5ElNS0_10empty_typeEbEEZZNS1_14partition_implILS5_5ELb0ES3_mN6hipcub16HIPCUB_304000_NS21CountingInputIteratorIllEEPS6_NSA_22TransformInputIteratorIb7NonZeroIiEPilEENS0_5tupleIJPlS6_EEENSJ_IJSD_SD_EEES6_SK_JS6_EEE10hipError_tPvRmT3_T4_T5_T6_T7_T9_mT8_P12ihipStream_tbDpT10_ENKUlT_T0_E_clISt17integral_constantIbLb0EES16_EEDaS11_S12_EUlS11_E_NS1_11comp_targetILNS1_3genE9ELNS1_11target_archE1100ELNS1_3gpuE3ELNS1_3repE0EEENS1_30default_config_static_selectorELNS0_4arch9wavefront6targetE1EEEvT1_.num_named_barrier, 0
	.set _ZN7rocprim17ROCPRIM_400000_NS6detail17trampoline_kernelINS0_14default_configENS1_25partition_config_selectorILNS1_17partition_subalgoE5ElNS0_10empty_typeEbEEZZNS1_14partition_implILS5_5ELb0ES3_mN6hipcub16HIPCUB_304000_NS21CountingInputIteratorIllEEPS6_NSA_22TransformInputIteratorIb7NonZeroIiEPilEENS0_5tupleIJPlS6_EEENSJ_IJSD_SD_EEES6_SK_JS6_EEE10hipError_tPvRmT3_T4_T5_T6_T7_T9_mT8_P12ihipStream_tbDpT10_ENKUlT_T0_E_clISt17integral_constantIbLb0EES16_EEDaS11_S12_EUlS11_E_NS1_11comp_targetILNS1_3genE9ELNS1_11target_archE1100ELNS1_3gpuE3ELNS1_3repE0EEENS1_30default_config_static_selectorELNS0_4arch9wavefront6targetE1EEEvT1_.private_seg_size, 0
	.set _ZN7rocprim17ROCPRIM_400000_NS6detail17trampoline_kernelINS0_14default_configENS1_25partition_config_selectorILNS1_17partition_subalgoE5ElNS0_10empty_typeEbEEZZNS1_14partition_implILS5_5ELb0ES3_mN6hipcub16HIPCUB_304000_NS21CountingInputIteratorIllEEPS6_NSA_22TransformInputIteratorIb7NonZeroIiEPilEENS0_5tupleIJPlS6_EEENSJ_IJSD_SD_EEES6_SK_JS6_EEE10hipError_tPvRmT3_T4_T5_T6_T7_T9_mT8_P12ihipStream_tbDpT10_ENKUlT_T0_E_clISt17integral_constantIbLb0EES16_EEDaS11_S12_EUlS11_E_NS1_11comp_targetILNS1_3genE9ELNS1_11target_archE1100ELNS1_3gpuE3ELNS1_3repE0EEENS1_30default_config_static_selectorELNS0_4arch9wavefront6targetE1EEEvT1_.uses_vcc, 0
	.set _ZN7rocprim17ROCPRIM_400000_NS6detail17trampoline_kernelINS0_14default_configENS1_25partition_config_selectorILNS1_17partition_subalgoE5ElNS0_10empty_typeEbEEZZNS1_14partition_implILS5_5ELb0ES3_mN6hipcub16HIPCUB_304000_NS21CountingInputIteratorIllEEPS6_NSA_22TransformInputIteratorIb7NonZeroIiEPilEENS0_5tupleIJPlS6_EEENSJ_IJSD_SD_EEES6_SK_JS6_EEE10hipError_tPvRmT3_T4_T5_T6_T7_T9_mT8_P12ihipStream_tbDpT10_ENKUlT_T0_E_clISt17integral_constantIbLb0EES16_EEDaS11_S12_EUlS11_E_NS1_11comp_targetILNS1_3genE9ELNS1_11target_archE1100ELNS1_3gpuE3ELNS1_3repE0EEENS1_30default_config_static_selectorELNS0_4arch9wavefront6targetE1EEEvT1_.uses_flat_scratch, 0
	.set _ZN7rocprim17ROCPRIM_400000_NS6detail17trampoline_kernelINS0_14default_configENS1_25partition_config_selectorILNS1_17partition_subalgoE5ElNS0_10empty_typeEbEEZZNS1_14partition_implILS5_5ELb0ES3_mN6hipcub16HIPCUB_304000_NS21CountingInputIteratorIllEEPS6_NSA_22TransformInputIteratorIb7NonZeroIiEPilEENS0_5tupleIJPlS6_EEENSJ_IJSD_SD_EEES6_SK_JS6_EEE10hipError_tPvRmT3_T4_T5_T6_T7_T9_mT8_P12ihipStream_tbDpT10_ENKUlT_T0_E_clISt17integral_constantIbLb0EES16_EEDaS11_S12_EUlS11_E_NS1_11comp_targetILNS1_3genE9ELNS1_11target_archE1100ELNS1_3gpuE3ELNS1_3repE0EEENS1_30default_config_static_selectorELNS0_4arch9wavefront6targetE1EEEvT1_.has_dyn_sized_stack, 0
	.set _ZN7rocprim17ROCPRIM_400000_NS6detail17trampoline_kernelINS0_14default_configENS1_25partition_config_selectorILNS1_17partition_subalgoE5ElNS0_10empty_typeEbEEZZNS1_14partition_implILS5_5ELb0ES3_mN6hipcub16HIPCUB_304000_NS21CountingInputIteratorIllEEPS6_NSA_22TransformInputIteratorIb7NonZeroIiEPilEENS0_5tupleIJPlS6_EEENSJ_IJSD_SD_EEES6_SK_JS6_EEE10hipError_tPvRmT3_T4_T5_T6_T7_T9_mT8_P12ihipStream_tbDpT10_ENKUlT_T0_E_clISt17integral_constantIbLb0EES16_EEDaS11_S12_EUlS11_E_NS1_11comp_targetILNS1_3genE9ELNS1_11target_archE1100ELNS1_3gpuE3ELNS1_3repE0EEENS1_30default_config_static_selectorELNS0_4arch9wavefront6targetE1EEEvT1_.has_recursion, 0
	.set _ZN7rocprim17ROCPRIM_400000_NS6detail17trampoline_kernelINS0_14default_configENS1_25partition_config_selectorILNS1_17partition_subalgoE5ElNS0_10empty_typeEbEEZZNS1_14partition_implILS5_5ELb0ES3_mN6hipcub16HIPCUB_304000_NS21CountingInputIteratorIllEEPS6_NSA_22TransformInputIteratorIb7NonZeroIiEPilEENS0_5tupleIJPlS6_EEENSJ_IJSD_SD_EEES6_SK_JS6_EEE10hipError_tPvRmT3_T4_T5_T6_T7_T9_mT8_P12ihipStream_tbDpT10_ENKUlT_T0_E_clISt17integral_constantIbLb0EES16_EEDaS11_S12_EUlS11_E_NS1_11comp_targetILNS1_3genE9ELNS1_11target_archE1100ELNS1_3gpuE3ELNS1_3repE0EEENS1_30default_config_static_selectorELNS0_4arch9wavefront6targetE1EEEvT1_.has_indirect_call, 0
	.section	.AMDGPU.csdata,"",@progbits
; Kernel info:
; codeLenInByte = 0
; TotalNumSgprs: 6
; NumVgprs: 0
; NumAgprs: 0
; TotalNumVgprs: 0
; ScratchSize: 0
; MemoryBound: 0
; FloatMode: 240
; IeeeMode: 1
; LDSByteSize: 0 bytes/workgroup (compile time only)
; SGPRBlocks: 0
; VGPRBlocks: 0
; NumSGPRsForWavesPerEU: 6
; NumVGPRsForWavesPerEU: 1
; AccumOffset: 4
; Occupancy: 8
; WaveLimiterHint : 0
; COMPUTE_PGM_RSRC2:SCRATCH_EN: 0
; COMPUTE_PGM_RSRC2:USER_SGPR: 2
; COMPUTE_PGM_RSRC2:TRAP_HANDLER: 0
; COMPUTE_PGM_RSRC2:TGID_X_EN: 1
; COMPUTE_PGM_RSRC2:TGID_Y_EN: 0
; COMPUTE_PGM_RSRC2:TGID_Z_EN: 0
; COMPUTE_PGM_RSRC2:TIDIG_COMP_CNT: 0
; COMPUTE_PGM_RSRC3_GFX90A:ACCUM_OFFSET: 0
; COMPUTE_PGM_RSRC3_GFX90A:TG_SPLIT: 0
	.section	.text._ZN7rocprim17ROCPRIM_400000_NS6detail17trampoline_kernelINS0_14default_configENS1_25partition_config_selectorILNS1_17partition_subalgoE5ElNS0_10empty_typeEbEEZZNS1_14partition_implILS5_5ELb0ES3_mN6hipcub16HIPCUB_304000_NS21CountingInputIteratorIllEEPS6_NSA_22TransformInputIteratorIb7NonZeroIiEPilEENS0_5tupleIJPlS6_EEENSJ_IJSD_SD_EEES6_SK_JS6_EEE10hipError_tPvRmT3_T4_T5_T6_T7_T9_mT8_P12ihipStream_tbDpT10_ENKUlT_T0_E_clISt17integral_constantIbLb0EES16_EEDaS11_S12_EUlS11_E_NS1_11comp_targetILNS1_3genE8ELNS1_11target_archE1030ELNS1_3gpuE2ELNS1_3repE0EEENS1_30default_config_static_selectorELNS0_4arch9wavefront6targetE1EEEvT1_,"axG",@progbits,_ZN7rocprim17ROCPRIM_400000_NS6detail17trampoline_kernelINS0_14default_configENS1_25partition_config_selectorILNS1_17partition_subalgoE5ElNS0_10empty_typeEbEEZZNS1_14partition_implILS5_5ELb0ES3_mN6hipcub16HIPCUB_304000_NS21CountingInputIteratorIllEEPS6_NSA_22TransformInputIteratorIb7NonZeroIiEPilEENS0_5tupleIJPlS6_EEENSJ_IJSD_SD_EEES6_SK_JS6_EEE10hipError_tPvRmT3_T4_T5_T6_T7_T9_mT8_P12ihipStream_tbDpT10_ENKUlT_T0_E_clISt17integral_constantIbLb0EES16_EEDaS11_S12_EUlS11_E_NS1_11comp_targetILNS1_3genE8ELNS1_11target_archE1030ELNS1_3gpuE2ELNS1_3repE0EEENS1_30default_config_static_selectorELNS0_4arch9wavefront6targetE1EEEvT1_,comdat
	.protected	_ZN7rocprim17ROCPRIM_400000_NS6detail17trampoline_kernelINS0_14default_configENS1_25partition_config_selectorILNS1_17partition_subalgoE5ElNS0_10empty_typeEbEEZZNS1_14partition_implILS5_5ELb0ES3_mN6hipcub16HIPCUB_304000_NS21CountingInputIteratorIllEEPS6_NSA_22TransformInputIteratorIb7NonZeroIiEPilEENS0_5tupleIJPlS6_EEENSJ_IJSD_SD_EEES6_SK_JS6_EEE10hipError_tPvRmT3_T4_T5_T6_T7_T9_mT8_P12ihipStream_tbDpT10_ENKUlT_T0_E_clISt17integral_constantIbLb0EES16_EEDaS11_S12_EUlS11_E_NS1_11comp_targetILNS1_3genE8ELNS1_11target_archE1030ELNS1_3gpuE2ELNS1_3repE0EEENS1_30default_config_static_selectorELNS0_4arch9wavefront6targetE1EEEvT1_ ; -- Begin function _ZN7rocprim17ROCPRIM_400000_NS6detail17trampoline_kernelINS0_14default_configENS1_25partition_config_selectorILNS1_17partition_subalgoE5ElNS0_10empty_typeEbEEZZNS1_14partition_implILS5_5ELb0ES3_mN6hipcub16HIPCUB_304000_NS21CountingInputIteratorIllEEPS6_NSA_22TransformInputIteratorIb7NonZeroIiEPilEENS0_5tupleIJPlS6_EEENSJ_IJSD_SD_EEES6_SK_JS6_EEE10hipError_tPvRmT3_T4_T5_T6_T7_T9_mT8_P12ihipStream_tbDpT10_ENKUlT_T0_E_clISt17integral_constantIbLb0EES16_EEDaS11_S12_EUlS11_E_NS1_11comp_targetILNS1_3genE8ELNS1_11target_archE1030ELNS1_3gpuE2ELNS1_3repE0EEENS1_30default_config_static_selectorELNS0_4arch9wavefront6targetE1EEEvT1_
	.globl	_ZN7rocprim17ROCPRIM_400000_NS6detail17trampoline_kernelINS0_14default_configENS1_25partition_config_selectorILNS1_17partition_subalgoE5ElNS0_10empty_typeEbEEZZNS1_14partition_implILS5_5ELb0ES3_mN6hipcub16HIPCUB_304000_NS21CountingInputIteratorIllEEPS6_NSA_22TransformInputIteratorIb7NonZeroIiEPilEENS0_5tupleIJPlS6_EEENSJ_IJSD_SD_EEES6_SK_JS6_EEE10hipError_tPvRmT3_T4_T5_T6_T7_T9_mT8_P12ihipStream_tbDpT10_ENKUlT_T0_E_clISt17integral_constantIbLb0EES16_EEDaS11_S12_EUlS11_E_NS1_11comp_targetILNS1_3genE8ELNS1_11target_archE1030ELNS1_3gpuE2ELNS1_3repE0EEENS1_30default_config_static_selectorELNS0_4arch9wavefront6targetE1EEEvT1_
	.p2align	8
	.type	_ZN7rocprim17ROCPRIM_400000_NS6detail17trampoline_kernelINS0_14default_configENS1_25partition_config_selectorILNS1_17partition_subalgoE5ElNS0_10empty_typeEbEEZZNS1_14partition_implILS5_5ELb0ES3_mN6hipcub16HIPCUB_304000_NS21CountingInputIteratorIllEEPS6_NSA_22TransformInputIteratorIb7NonZeroIiEPilEENS0_5tupleIJPlS6_EEENSJ_IJSD_SD_EEES6_SK_JS6_EEE10hipError_tPvRmT3_T4_T5_T6_T7_T9_mT8_P12ihipStream_tbDpT10_ENKUlT_T0_E_clISt17integral_constantIbLb0EES16_EEDaS11_S12_EUlS11_E_NS1_11comp_targetILNS1_3genE8ELNS1_11target_archE1030ELNS1_3gpuE2ELNS1_3repE0EEENS1_30default_config_static_selectorELNS0_4arch9wavefront6targetE1EEEvT1_,@function
_ZN7rocprim17ROCPRIM_400000_NS6detail17trampoline_kernelINS0_14default_configENS1_25partition_config_selectorILNS1_17partition_subalgoE5ElNS0_10empty_typeEbEEZZNS1_14partition_implILS5_5ELb0ES3_mN6hipcub16HIPCUB_304000_NS21CountingInputIteratorIllEEPS6_NSA_22TransformInputIteratorIb7NonZeroIiEPilEENS0_5tupleIJPlS6_EEENSJ_IJSD_SD_EEES6_SK_JS6_EEE10hipError_tPvRmT3_T4_T5_T6_T7_T9_mT8_P12ihipStream_tbDpT10_ENKUlT_T0_E_clISt17integral_constantIbLb0EES16_EEDaS11_S12_EUlS11_E_NS1_11comp_targetILNS1_3genE8ELNS1_11target_archE1030ELNS1_3gpuE2ELNS1_3repE0EEENS1_30default_config_static_selectorELNS0_4arch9wavefront6targetE1EEEvT1_: ; @_ZN7rocprim17ROCPRIM_400000_NS6detail17trampoline_kernelINS0_14default_configENS1_25partition_config_selectorILNS1_17partition_subalgoE5ElNS0_10empty_typeEbEEZZNS1_14partition_implILS5_5ELb0ES3_mN6hipcub16HIPCUB_304000_NS21CountingInputIteratorIllEEPS6_NSA_22TransformInputIteratorIb7NonZeroIiEPilEENS0_5tupleIJPlS6_EEENSJ_IJSD_SD_EEES6_SK_JS6_EEE10hipError_tPvRmT3_T4_T5_T6_T7_T9_mT8_P12ihipStream_tbDpT10_ENKUlT_T0_E_clISt17integral_constantIbLb0EES16_EEDaS11_S12_EUlS11_E_NS1_11comp_targetILNS1_3genE8ELNS1_11target_archE1030ELNS1_3gpuE2ELNS1_3repE0EEENS1_30default_config_static_selectorELNS0_4arch9wavefront6targetE1EEEvT1_
; %bb.0:
	.section	.rodata,"a",@progbits
	.p2align	6, 0x0
	.amdhsa_kernel _ZN7rocprim17ROCPRIM_400000_NS6detail17trampoline_kernelINS0_14default_configENS1_25partition_config_selectorILNS1_17partition_subalgoE5ElNS0_10empty_typeEbEEZZNS1_14partition_implILS5_5ELb0ES3_mN6hipcub16HIPCUB_304000_NS21CountingInputIteratorIllEEPS6_NSA_22TransformInputIteratorIb7NonZeroIiEPilEENS0_5tupleIJPlS6_EEENSJ_IJSD_SD_EEES6_SK_JS6_EEE10hipError_tPvRmT3_T4_T5_T6_T7_T9_mT8_P12ihipStream_tbDpT10_ENKUlT_T0_E_clISt17integral_constantIbLb0EES16_EEDaS11_S12_EUlS11_E_NS1_11comp_targetILNS1_3genE8ELNS1_11target_archE1030ELNS1_3gpuE2ELNS1_3repE0EEENS1_30default_config_static_selectorELNS0_4arch9wavefront6targetE1EEEvT1_
		.amdhsa_group_segment_fixed_size 0
		.amdhsa_private_segment_fixed_size 0
		.amdhsa_kernarg_size 120
		.amdhsa_user_sgpr_count 2
		.amdhsa_user_sgpr_dispatch_ptr 0
		.amdhsa_user_sgpr_queue_ptr 0
		.amdhsa_user_sgpr_kernarg_segment_ptr 1
		.amdhsa_user_sgpr_dispatch_id 0
		.amdhsa_user_sgpr_kernarg_preload_length 0
		.amdhsa_user_sgpr_kernarg_preload_offset 0
		.amdhsa_user_sgpr_private_segment_size 0
		.amdhsa_uses_dynamic_stack 0
		.amdhsa_enable_private_segment 0
		.amdhsa_system_sgpr_workgroup_id_x 1
		.amdhsa_system_sgpr_workgroup_id_y 0
		.amdhsa_system_sgpr_workgroup_id_z 0
		.amdhsa_system_sgpr_workgroup_info 0
		.amdhsa_system_vgpr_workitem_id 0
		.amdhsa_next_free_vgpr 1
		.amdhsa_next_free_sgpr 0
		.amdhsa_accum_offset 4
		.amdhsa_reserve_vcc 0
		.amdhsa_float_round_mode_32 0
		.amdhsa_float_round_mode_16_64 0
		.amdhsa_float_denorm_mode_32 3
		.amdhsa_float_denorm_mode_16_64 3
		.amdhsa_dx10_clamp 1
		.amdhsa_ieee_mode 1
		.amdhsa_fp16_overflow 0
		.amdhsa_tg_split 0
		.amdhsa_exception_fp_ieee_invalid_op 0
		.amdhsa_exception_fp_denorm_src 0
		.amdhsa_exception_fp_ieee_div_zero 0
		.amdhsa_exception_fp_ieee_overflow 0
		.amdhsa_exception_fp_ieee_underflow 0
		.amdhsa_exception_fp_ieee_inexact 0
		.amdhsa_exception_int_div_zero 0
	.end_amdhsa_kernel
	.section	.text._ZN7rocprim17ROCPRIM_400000_NS6detail17trampoline_kernelINS0_14default_configENS1_25partition_config_selectorILNS1_17partition_subalgoE5ElNS0_10empty_typeEbEEZZNS1_14partition_implILS5_5ELb0ES3_mN6hipcub16HIPCUB_304000_NS21CountingInputIteratorIllEEPS6_NSA_22TransformInputIteratorIb7NonZeroIiEPilEENS0_5tupleIJPlS6_EEENSJ_IJSD_SD_EEES6_SK_JS6_EEE10hipError_tPvRmT3_T4_T5_T6_T7_T9_mT8_P12ihipStream_tbDpT10_ENKUlT_T0_E_clISt17integral_constantIbLb0EES16_EEDaS11_S12_EUlS11_E_NS1_11comp_targetILNS1_3genE8ELNS1_11target_archE1030ELNS1_3gpuE2ELNS1_3repE0EEENS1_30default_config_static_selectorELNS0_4arch9wavefront6targetE1EEEvT1_,"axG",@progbits,_ZN7rocprim17ROCPRIM_400000_NS6detail17trampoline_kernelINS0_14default_configENS1_25partition_config_selectorILNS1_17partition_subalgoE5ElNS0_10empty_typeEbEEZZNS1_14partition_implILS5_5ELb0ES3_mN6hipcub16HIPCUB_304000_NS21CountingInputIteratorIllEEPS6_NSA_22TransformInputIteratorIb7NonZeroIiEPilEENS0_5tupleIJPlS6_EEENSJ_IJSD_SD_EEES6_SK_JS6_EEE10hipError_tPvRmT3_T4_T5_T6_T7_T9_mT8_P12ihipStream_tbDpT10_ENKUlT_T0_E_clISt17integral_constantIbLb0EES16_EEDaS11_S12_EUlS11_E_NS1_11comp_targetILNS1_3genE8ELNS1_11target_archE1030ELNS1_3gpuE2ELNS1_3repE0EEENS1_30default_config_static_selectorELNS0_4arch9wavefront6targetE1EEEvT1_,comdat
.Lfunc_end192:
	.size	_ZN7rocprim17ROCPRIM_400000_NS6detail17trampoline_kernelINS0_14default_configENS1_25partition_config_selectorILNS1_17partition_subalgoE5ElNS0_10empty_typeEbEEZZNS1_14partition_implILS5_5ELb0ES3_mN6hipcub16HIPCUB_304000_NS21CountingInputIteratorIllEEPS6_NSA_22TransformInputIteratorIb7NonZeroIiEPilEENS0_5tupleIJPlS6_EEENSJ_IJSD_SD_EEES6_SK_JS6_EEE10hipError_tPvRmT3_T4_T5_T6_T7_T9_mT8_P12ihipStream_tbDpT10_ENKUlT_T0_E_clISt17integral_constantIbLb0EES16_EEDaS11_S12_EUlS11_E_NS1_11comp_targetILNS1_3genE8ELNS1_11target_archE1030ELNS1_3gpuE2ELNS1_3repE0EEENS1_30default_config_static_selectorELNS0_4arch9wavefront6targetE1EEEvT1_, .Lfunc_end192-_ZN7rocprim17ROCPRIM_400000_NS6detail17trampoline_kernelINS0_14default_configENS1_25partition_config_selectorILNS1_17partition_subalgoE5ElNS0_10empty_typeEbEEZZNS1_14partition_implILS5_5ELb0ES3_mN6hipcub16HIPCUB_304000_NS21CountingInputIteratorIllEEPS6_NSA_22TransformInputIteratorIb7NonZeroIiEPilEENS0_5tupleIJPlS6_EEENSJ_IJSD_SD_EEES6_SK_JS6_EEE10hipError_tPvRmT3_T4_T5_T6_T7_T9_mT8_P12ihipStream_tbDpT10_ENKUlT_T0_E_clISt17integral_constantIbLb0EES16_EEDaS11_S12_EUlS11_E_NS1_11comp_targetILNS1_3genE8ELNS1_11target_archE1030ELNS1_3gpuE2ELNS1_3repE0EEENS1_30default_config_static_selectorELNS0_4arch9wavefront6targetE1EEEvT1_
                                        ; -- End function
	.set _ZN7rocprim17ROCPRIM_400000_NS6detail17trampoline_kernelINS0_14default_configENS1_25partition_config_selectorILNS1_17partition_subalgoE5ElNS0_10empty_typeEbEEZZNS1_14partition_implILS5_5ELb0ES3_mN6hipcub16HIPCUB_304000_NS21CountingInputIteratorIllEEPS6_NSA_22TransformInputIteratorIb7NonZeroIiEPilEENS0_5tupleIJPlS6_EEENSJ_IJSD_SD_EEES6_SK_JS6_EEE10hipError_tPvRmT3_T4_T5_T6_T7_T9_mT8_P12ihipStream_tbDpT10_ENKUlT_T0_E_clISt17integral_constantIbLb0EES16_EEDaS11_S12_EUlS11_E_NS1_11comp_targetILNS1_3genE8ELNS1_11target_archE1030ELNS1_3gpuE2ELNS1_3repE0EEENS1_30default_config_static_selectorELNS0_4arch9wavefront6targetE1EEEvT1_.num_vgpr, 0
	.set _ZN7rocprim17ROCPRIM_400000_NS6detail17trampoline_kernelINS0_14default_configENS1_25partition_config_selectorILNS1_17partition_subalgoE5ElNS0_10empty_typeEbEEZZNS1_14partition_implILS5_5ELb0ES3_mN6hipcub16HIPCUB_304000_NS21CountingInputIteratorIllEEPS6_NSA_22TransformInputIteratorIb7NonZeroIiEPilEENS0_5tupleIJPlS6_EEENSJ_IJSD_SD_EEES6_SK_JS6_EEE10hipError_tPvRmT3_T4_T5_T6_T7_T9_mT8_P12ihipStream_tbDpT10_ENKUlT_T0_E_clISt17integral_constantIbLb0EES16_EEDaS11_S12_EUlS11_E_NS1_11comp_targetILNS1_3genE8ELNS1_11target_archE1030ELNS1_3gpuE2ELNS1_3repE0EEENS1_30default_config_static_selectorELNS0_4arch9wavefront6targetE1EEEvT1_.num_agpr, 0
	.set _ZN7rocprim17ROCPRIM_400000_NS6detail17trampoline_kernelINS0_14default_configENS1_25partition_config_selectorILNS1_17partition_subalgoE5ElNS0_10empty_typeEbEEZZNS1_14partition_implILS5_5ELb0ES3_mN6hipcub16HIPCUB_304000_NS21CountingInputIteratorIllEEPS6_NSA_22TransformInputIteratorIb7NonZeroIiEPilEENS0_5tupleIJPlS6_EEENSJ_IJSD_SD_EEES6_SK_JS6_EEE10hipError_tPvRmT3_T4_T5_T6_T7_T9_mT8_P12ihipStream_tbDpT10_ENKUlT_T0_E_clISt17integral_constantIbLb0EES16_EEDaS11_S12_EUlS11_E_NS1_11comp_targetILNS1_3genE8ELNS1_11target_archE1030ELNS1_3gpuE2ELNS1_3repE0EEENS1_30default_config_static_selectorELNS0_4arch9wavefront6targetE1EEEvT1_.numbered_sgpr, 0
	.set _ZN7rocprim17ROCPRIM_400000_NS6detail17trampoline_kernelINS0_14default_configENS1_25partition_config_selectorILNS1_17partition_subalgoE5ElNS0_10empty_typeEbEEZZNS1_14partition_implILS5_5ELb0ES3_mN6hipcub16HIPCUB_304000_NS21CountingInputIteratorIllEEPS6_NSA_22TransformInputIteratorIb7NonZeroIiEPilEENS0_5tupleIJPlS6_EEENSJ_IJSD_SD_EEES6_SK_JS6_EEE10hipError_tPvRmT3_T4_T5_T6_T7_T9_mT8_P12ihipStream_tbDpT10_ENKUlT_T0_E_clISt17integral_constantIbLb0EES16_EEDaS11_S12_EUlS11_E_NS1_11comp_targetILNS1_3genE8ELNS1_11target_archE1030ELNS1_3gpuE2ELNS1_3repE0EEENS1_30default_config_static_selectorELNS0_4arch9wavefront6targetE1EEEvT1_.num_named_barrier, 0
	.set _ZN7rocprim17ROCPRIM_400000_NS6detail17trampoline_kernelINS0_14default_configENS1_25partition_config_selectorILNS1_17partition_subalgoE5ElNS0_10empty_typeEbEEZZNS1_14partition_implILS5_5ELb0ES3_mN6hipcub16HIPCUB_304000_NS21CountingInputIteratorIllEEPS6_NSA_22TransformInputIteratorIb7NonZeroIiEPilEENS0_5tupleIJPlS6_EEENSJ_IJSD_SD_EEES6_SK_JS6_EEE10hipError_tPvRmT3_T4_T5_T6_T7_T9_mT8_P12ihipStream_tbDpT10_ENKUlT_T0_E_clISt17integral_constantIbLb0EES16_EEDaS11_S12_EUlS11_E_NS1_11comp_targetILNS1_3genE8ELNS1_11target_archE1030ELNS1_3gpuE2ELNS1_3repE0EEENS1_30default_config_static_selectorELNS0_4arch9wavefront6targetE1EEEvT1_.private_seg_size, 0
	.set _ZN7rocprim17ROCPRIM_400000_NS6detail17trampoline_kernelINS0_14default_configENS1_25partition_config_selectorILNS1_17partition_subalgoE5ElNS0_10empty_typeEbEEZZNS1_14partition_implILS5_5ELb0ES3_mN6hipcub16HIPCUB_304000_NS21CountingInputIteratorIllEEPS6_NSA_22TransformInputIteratorIb7NonZeroIiEPilEENS0_5tupleIJPlS6_EEENSJ_IJSD_SD_EEES6_SK_JS6_EEE10hipError_tPvRmT3_T4_T5_T6_T7_T9_mT8_P12ihipStream_tbDpT10_ENKUlT_T0_E_clISt17integral_constantIbLb0EES16_EEDaS11_S12_EUlS11_E_NS1_11comp_targetILNS1_3genE8ELNS1_11target_archE1030ELNS1_3gpuE2ELNS1_3repE0EEENS1_30default_config_static_selectorELNS0_4arch9wavefront6targetE1EEEvT1_.uses_vcc, 0
	.set _ZN7rocprim17ROCPRIM_400000_NS6detail17trampoline_kernelINS0_14default_configENS1_25partition_config_selectorILNS1_17partition_subalgoE5ElNS0_10empty_typeEbEEZZNS1_14partition_implILS5_5ELb0ES3_mN6hipcub16HIPCUB_304000_NS21CountingInputIteratorIllEEPS6_NSA_22TransformInputIteratorIb7NonZeroIiEPilEENS0_5tupleIJPlS6_EEENSJ_IJSD_SD_EEES6_SK_JS6_EEE10hipError_tPvRmT3_T4_T5_T6_T7_T9_mT8_P12ihipStream_tbDpT10_ENKUlT_T0_E_clISt17integral_constantIbLb0EES16_EEDaS11_S12_EUlS11_E_NS1_11comp_targetILNS1_3genE8ELNS1_11target_archE1030ELNS1_3gpuE2ELNS1_3repE0EEENS1_30default_config_static_selectorELNS0_4arch9wavefront6targetE1EEEvT1_.uses_flat_scratch, 0
	.set _ZN7rocprim17ROCPRIM_400000_NS6detail17trampoline_kernelINS0_14default_configENS1_25partition_config_selectorILNS1_17partition_subalgoE5ElNS0_10empty_typeEbEEZZNS1_14partition_implILS5_5ELb0ES3_mN6hipcub16HIPCUB_304000_NS21CountingInputIteratorIllEEPS6_NSA_22TransformInputIteratorIb7NonZeroIiEPilEENS0_5tupleIJPlS6_EEENSJ_IJSD_SD_EEES6_SK_JS6_EEE10hipError_tPvRmT3_T4_T5_T6_T7_T9_mT8_P12ihipStream_tbDpT10_ENKUlT_T0_E_clISt17integral_constantIbLb0EES16_EEDaS11_S12_EUlS11_E_NS1_11comp_targetILNS1_3genE8ELNS1_11target_archE1030ELNS1_3gpuE2ELNS1_3repE0EEENS1_30default_config_static_selectorELNS0_4arch9wavefront6targetE1EEEvT1_.has_dyn_sized_stack, 0
	.set _ZN7rocprim17ROCPRIM_400000_NS6detail17trampoline_kernelINS0_14default_configENS1_25partition_config_selectorILNS1_17partition_subalgoE5ElNS0_10empty_typeEbEEZZNS1_14partition_implILS5_5ELb0ES3_mN6hipcub16HIPCUB_304000_NS21CountingInputIteratorIllEEPS6_NSA_22TransformInputIteratorIb7NonZeroIiEPilEENS0_5tupleIJPlS6_EEENSJ_IJSD_SD_EEES6_SK_JS6_EEE10hipError_tPvRmT3_T4_T5_T6_T7_T9_mT8_P12ihipStream_tbDpT10_ENKUlT_T0_E_clISt17integral_constantIbLb0EES16_EEDaS11_S12_EUlS11_E_NS1_11comp_targetILNS1_3genE8ELNS1_11target_archE1030ELNS1_3gpuE2ELNS1_3repE0EEENS1_30default_config_static_selectorELNS0_4arch9wavefront6targetE1EEEvT1_.has_recursion, 0
	.set _ZN7rocprim17ROCPRIM_400000_NS6detail17trampoline_kernelINS0_14default_configENS1_25partition_config_selectorILNS1_17partition_subalgoE5ElNS0_10empty_typeEbEEZZNS1_14partition_implILS5_5ELb0ES3_mN6hipcub16HIPCUB_304000_NS21CountingInputIteratorIllEEPS6_NSA_22TransformInputIteratorIb7NonZeroIiEPilEENS0_5tupleIJPlS6_EEENSJ_IJSD_SD_EEES6_SK_JS6_EEE10hipError_tPvRmT3_T4_T5_T6_T7_T9_mT8_P12ihipStream_tbDpT10_ENKUlT_T0_E_clISt17integral_constantIbLb0EES16_EEDaS11_S12_EUlS11_E_NS1_11comp_targetILNS1_3genE8ELNS1_11target_archE1030ELNS1_3gpuE2ELNS1_3repE0EEENS1_30default_config_static_selectorELNS0_4arch9wavefront6targetE1EEEvT1_.has_indirect_call, 0
	.section	.AMDGPU.csdata,"",@progbits
; Kernel info:
; codeLenInByte = 0
; TotalNumSgprs: 6
; NumVgprs: 0
; NumAgprs: 0
; TotalNumVgprs: 0
; ScratchSize: 0
; MemoryBound: 0
; FloatMode: 240
; IeeeMode: 1
; LDSByteSize: 0 bytes/workgroup (compile time only)
; SGPRBlocks: 0
; VGPRBlocks: 0
; NumSGPRsForWavesPerEU: 6
; NumVGPRsForWavesPerEU: 1
; AccumOffset: 4
; Occupancy: 8
; WaveLimiterHint : 0
; COMPUTE_PGM_RSRC2:SCRATCH_EN: 0
; COMPUTE_PGM_RSRC2:USER_SGPR: 2
; COMPUTE_PGM_RSRC2:TRAP_HANDLER: 0
; COMPUTE_PGM_RSRC2:TGID_X_EN: 1
; COMPUTE_PGM_RSRC2:TGID_Y_EN: 0
; COMPUTE_PGM_RSRC2:TGID_Z_EN: 0
; COMPUTE_PGM_RSRC2:TIDIG_COMP_CNT: 0
; COMPUTE_PGM_RSRC3_GFX90A:ACCUM_OFFSET: 0
; COMPUTE_PGM_RSRC3_GFX90A:TG_SPLIT: 0
	.section	.text._ZN7rocprim17ROCPRIM_400000_NS6detail17trampoline_kernelINS0_14default_configENS1_25partition_config_selectorILNS1_17partition_subalgoE5ElNS0_10empty_typeEbEEZZNS1_14partition_implILS5_5ELb0ES3_mN6hipcub16HIPCUB_304000_NS21CountingInputIteratorIllEEPS6_NSA_22TransformInputIteratorIb7NonZeroIiEPilEENS0_5tupleIJPlS6_EEENSJ_IJSD_SD_EEES6_SK_JS6_EEE10hipError_tPvRmT3_T4_T5_T6_T7_T9_mT8_P12ihipStream_tbDpT10_ENKUlT_T0_E_clISt17integral_constantIbLb1EES16_EEDaS11_S12_EUlS11_E_NS1_11comp_targetILNS1_3genE0ELNS1_11target_archE4294967295ELNS1_3gpuE0ELNS1_3repE0EEENS1_30default_config_static_selectorELNS0_4arch9wavefront6targetE1EEEvT1_,"axG",@progbits,_ZN7rocprim17ROCPRIM_400000_NS6detail17trampoline_kernelINS0_14default_configENS1_25partition_config_selectorILNS1_17partition_subalgoE5ElNS0_10empty_typeEbEEZZNS1_14partition_implILS5_5ELb0ES3_mN6hipcub16HIPCUB_304000_NS21CountingInputIteratorIllEEPS6_NSA_22TransformInputIteratorIb7NonZeroIiEPilEENS0_5tupleIJPlS6_EEENSJ_IJSD_SD_EEES6_SK_JS6_EEE10hipError_tPvRmT3_T4_T5_T6_T7_T9_mT8_P12ihipStream_tbDpT10_ENKUlT_T0_E_clISt17integral_constantIbLb1EES16_EEDaS11_S12_EUlS11_E_NS1_11comp_targetILNS1_3genE0ELNS1_11target_archE4294967295ELNS1_3gpuE0ELNS1_3repE0EEENS1_30default_config_static_selectorELNS0_4arch9wavefront6targetE1EEEvT1_,comdat
	.protected	_ZN7rocprim17ROCPRIM_400000_NS6detail17trampoline_kernelINS0_14default_configENS1_25partition_config_selectorILNS1_17partition_subalgoE5ElNS0_10empty_typeEbEEZZNS1_14partition_implILS5_5ELb0ES3_mN6hipcub16HIPCUB_304000_NS21CountingInputIteratorIllEEPS6_NSA_22TransformInputIteratorIb7NonZeroIiEPilEENS0_5tupleIJPlS6_EEENSJ_IJSD_SD_EEES6_SK_JS6_EEE10hipError_tPvRmT3_T4_T5_T6_T7_T9_mT8_P12ihipStream_tbDpT10_ENKUlT_T0_E_clISt17integral_constantIbLb1EES16_EEDaS11_S12_EUlS11_E_NS1_11comp_targetILNS1_3genE0ELNS1_11target_archE4294967295ELNS1_3gpuE0ELNS1_3repE0EEENS1_30default_config_static_selectorELNS0_4arch9wavefront6targetE1EEEvT1_ ; -- Begin function _ZN7rocprim17ROCPRIM_400000_NS6detail17trampoline_kernelINS0_14default_configENS1_25partition_config_selectorILNS1_17partition_subalgoE5ElNS0_10empty_typeEbEEZZNS1_14partition_implILS5_5ELb0ES3_mN6hipcub16HIPCUB_304000_NS21CountingInputIteratorIllEEPS6_NSA_22TransformInputIteratorIb7NonZeroIiEPilEENS0_5tupleIJPlS6_EEENSJ_IJSD_SD_EEES6_SK_JS6_EEE10hipError_tPvRmT3_T4_T5_T6_T7_T9_mT8_P12ihipStream_tbDpT10_ENKUlT_T0_E_clISt17integral_constantIbLb1EES16_EEDaS11_S12_EUlS11_E_NS1_11comp_targetILNS1_3genE0ELNS1_11target_archE4294967295ELNS1_3gpuE0ELNS1_3repE0EEENS1_30default_config_static_selectorELNS0_4arch9wavefront6targetE1EEEvT1_
	.globl	_ZN7rocprim17ROCPRIM_400000_NS6detail17trampoline_kernelINS0_14default_configENS1_25partition_config_selectorILNS1_17partition_subalgoE5ElNS0_10empty_typeEbEEZZNS1_14partition_implILS5_5ELb0ES3_mN6hipcub16HIPCUB_304000_NS21CountingInputIteratorIllEEPS6_NSA_22TransformInputIteratorIb7NonZeroIiEPilEENS0_5tupleIJPlS6_EEENSJ_IJSD_SD_EEES6_SK_JS6_EEE10hipError_tPvRmT3_T4_T5_T6_T7_T9_mT8_P12ihipStream_tbDpT10_ENKUlT_T0_E_clISt17integral_constantIbLb1EES16_EEDaS11_S12_EUlS11_E_NS1_11comp_targetILNS1_3genE0ELNS1_11target_archE4294967295ELNS1_3gpuE0ELNS1_3repE0EEENS1_30default_config_static_selectorELNS0_4arch9wavefront6targetE1EEEvT1_
	.p2align	8
	.type	_ZN7rocprim17ROCPRIM_400000_NS6detail17trampoline_kernelINS0_14default_configENS1_25partition_config_selectorILNS1_17partition_subalgoE5ElNS0_10empty_typeEbEEZZNS1_14partition_implILS5_5ELb0ES3_mN6hipcub16HIPCUB_304000_NS21CountingInputIteratorIllEEPS6_NSA_22TransformInputIteratorIb7NonZeroIiEPilEENS0_5tupleIJPlS6_EEENSJ_IJSD_SD_EEES6_SK_JS6_EEE10hipError_tPvRmT3_T4_T5_T6_T7_T9_mT8_P12ihipStream_tbDpT10_ENKUlT_T0_E_clISt17integral_constantIbLb1EES16_EEDaS11_S12_EUlS11_E_NS1_11comp_targetILNS1_3genE0ELNS1_11target_archE4294967295ELNS1_3gpuE0ELNS1_3repE0EEENS1_30default_config_static_selectorELNS0_4arch9wavefront6targetE1EEEvT1_,@function
_ZN7rocprim17ROCPRIM_400000_NS6detail17trampoline_kernelINS0_14default_configENS1_25partition_config_selectorILNS1_17partition_subalgoE5ElNS0_10empty_typeEbEEZZNS1_14partition_implILS5_5ELb0ES3_mN6hipcub16HIPCUB_304000_NS21CountingInputIteratorIllEEPS6_NSA_22TransformInputIteratorIb7NonZeroIiEPilEENS0_5tupleIJPlS6_EEENSJ_IJSD_SD_EEES6_SK_JS6_EEE10hipError_tPvRmT3_T4_T5_T6_T7_T9_mT8_P12ihipStream_tbDpT10_ENKUlT_T0_E_clISt17integral_constantIbLb1EES16_EEDaS11_S12_EUlS11_E_NS1_11comp_targetILNS1_3genE0ELNS1_11target_archE4294967295ELNS1_3gpuE0ELNS1_3repE0EEENS1_30default_config_static_selectorELNS0_4arch9wavefront6targetE1EEEvT1_: ; @_ZN7rocprim17ROCPRIM_400000_NS6detail17trampoline_kernelINS0_14default_configENS1_25partition_config_selectorILNS1_17partition_subalgoE5ElNS0_10empty_typeEbEEZZNS1_14partition_implILS5_5ELb0ES3_mN6hipcub16HIPCUB_304000_NS21CountingInputIteratorIllEEPS6_NSA_22TransformInputIteratorIb7NonZeroIiEPilEENS0_5tupleIJPlS6_EEENSJ_IJSD_SD_EEES6_SK_JS6_EEE10hipError_tPvRmT3_T4_T5_T6_T7_T9_mT8_P12ihipStream_tbDpT10_ENKUlT_T0_E_clISt17integral_constantIbLb1EES16_EEDaS11_S12_EUlS11_E_NS1_11comp_targetILNS1_3genE0ELNS1_11target_archE4294967295ELNS1_3gpuE0ELNS1_3repE0EEENS1_30default_config_static_selectorELNS0_4arch9wavefront6targetE1EEEvT1_
; %bb.0:
	s_endpgm
	.section	.rodata,"a",@progbits
	.p2align	6, 0x0
	.amdhsa_kernel _ZN7rocprim17ROCPRIM_400000_NS6detail17trampoline_kernelINS0_14default_configENS1_25partition_config_selectorILNS1_17partition_subalgoE5ElNS0_10empty_typeEbEEZZNS1_14partition_implILS5_5ELb0ES3_mN6hipcub16HIPCUB_304000_NS21CountingInputIteratorIllEEPS6_NSA_22TransformInputIteratorIb7NonZeroIiEPilEENS0_5tupleIJPlS6_EEENSJ_IJSD_SD_EEES6_SK_JS6_EEE10hipError_tPvRmT3_T4_T5_T6_T7_T9_mT8_P12ihipStream_tbDpT10_ENKUlT_T0_E_clISt17integral_constantIbLb1EES16_EEDaS11_S12_EUlS11_E_NS1_11comp_targetILNS1_3genE0ELNS1_11target_archE4294967295ELNS1_3gpuE0ELNS1_3repE0EEENS1_30default_config_static_selectorELNS0_4arch9wavefront6targetE1EEEvT1_
		.amdhsa_group_segment_fixed_size 0
		.amdhsa_private_segment_fixed_size 0
		.amdhsa_kernarg_size 136
		.amdhsa_user_sgpr_count 2
		.amdhsa_user_sgpr_dispatch_ptr 0
		.amdhsa_user_sgpr_queue_ptr 0
		.amdhsa_user_sgpr_kernarg_segment_ptr 1
		.amdhsa_user_sgpr_dispatch_id 0
		.amdhsa_user_sgpr_kernarg_preload_length 0
		.amdhsa_user_sgpr_kernarg_preload_offset 0
		.amdhsa_user_sgpr_private_segment_size 0
		.amdhsa_uses_dynamic_stack 0
		.amdhsa_enable_private_segment 0
		.amdhsa_system_sgpr_workgroup_id_x 1
		.amdhsa_system_sgpr_workgroup_id_y 0
		.amdhsa_system_sgpr_workgroup_id_z 0
		.amdhsa_system_sgpr_workgroup_info 0
		.amdhsa_system_vgpr_workitem_id 0
		.amdhsa_next_free_vgpr 1
		.amdhsa_next_free_sgpr 0
		.amdhsa_accum_offset 4
		.amdhsa_reserve_vcc 0
		.amdhsa_float_round_mode_32 0
		.amdhsa_float_round_mode_16_64 0
		.amdhsa_float_denorm_mode_32 3
		.amdhsa_float_denorm_mode_16_64 3
		.amdhsa_dx10_clamp 1
		.amdhsa_ieee_mode 1
		.amdhsa_fp16_overflow 0
		.amdhsa_tg_split 0
		.amdhsa_exception_fp_ieee_invalid_op 0
		.amdhsa_exception_fp_denorm_src 0
		.amdhsa_exception_fp_ieee_div_zero 0
		.amdhsa_exception_fp_ieee_overflow 0
		.amdhsa_exception_fp_ieee_underflow 0
		.amdhsa_exception_fp_ieee_inexact 0
		.amdhsa_exception_int_div_zero 0
	.end_amdhsa_kernel
	.section	.text._ZN7rocprim17ROCPRIM_400000_NS6detail17trampoline_kernelINS0_14default_configENS1_25partition_config_selectorILNS1_17partition_subalgoE5ElNS0_10empty_typeEbEEZZNS1_14partition_implILS5_5ELb0ES3_mN6hipcub16HIPCUB_304000_NS21CountingInputIteratorIllEEPS6_NSA_22TransformInputIteratorIb7NonZeroIiEPilEENS0_5tupleIJPlS6_EEENSJ_IJSD_SD_EEES6_SK_JS6_EEE10hipError_tPvRmT3_T4_T5_T6_T7_T9_mT8_P12ihipStream_tbDpT10_ENKUlT_T0_E_clISt17integral_constantIbLb1EES16_EEDaS11_S12_EUlS11_E_NS1_11comp_targetILNS1_3genE0ELNS1_11target_archE4294967295ELNS1_3gpuE0ELNS1_3repE0EEENS1_30default_config_static_selectorELNS0_4arch9wavefront6targetE1EEEvT1_,"axG",@progbits,_ZN7rocprim17ROCPRIM_400000_NS6detail17trampoline_kernelINS0_14default_configENS1_25partition_config_selectorILNS1_17partition_subalgoE5ElNS0_10empty_typeEbEEZZNS1_14partition_implILS5_5ELb0ES3_mN6hipcub16HIPCUB_304000_NS21CountingInputIteratorIllEEPS6_NSA_22TransformInputIteratorIb7NonZeroIiEPilEENS0_5tupleIJPlS6_EEENSJ_IJSD_SD_EEES6_SK_JS6_EEE10hipError_tPvRmT3_T4_T5_T6_T7_T9_mT8_P12ihipStream_tbDpT10_ENKUlT_T0_E_clISt17integral_constantIbLb1EES16_EEDaS11_S12_EUlS11_E_NS1_11comp_targetILNS1_3genE0ELNS1_11target_archE4294967295ELNS1_3gpuE0ELNS1_3repE0EEENS1_30default_config_static_selectorELNS0_4arch9wavefront6targetE1EEEvT1_,comdat
.Lfunc_end193:
	.size	_ZN7rocprim17ROCPRIM_400000_NS6detail17trampoline_kernelINS0_14default_configENS1_25partition_config_selectorILNS1_17partition_subalgoE5ElNS0_10empty_typeEbEEZZNS1_14partition_implILS5_5ELb0ES3_mN6hipcub16HIPCUB_304000_NS21CountingInputIteratorIllEEPS6_NSA_22TransformInputIteratorIb7NonZeroIiEPilEENS0_5tupleIJPlS6_EEENSJ_IJSD_SD_EEES6_SK_JS6_EEE10hipError_tPvRmT3_T4_T5_T6_T7_T9_mT8_P12ihipStream_tbDpT10_ENKUlT_T0_E_clISt17integral_constantIbLb1EES16_EEDaS11_S12_EUlS11_E_NS1_11comp_targetILNS1_3genE0ELNS1_11target_archE4294967295ELNS1_3gpuE0ELNS1_3repE0EEENS1_30default_config_static_selectorELNS0_4arch9wavefront6targetE1EEEvT1_, .Lfunc_end193-_ZN7rocprim17ROCPRIM_400000_NS6detail17trampoline_kernelINS0_14default_configENS1_25partition_config_selectorILNS1_17partition_subalgoE5ElNS0_10empty_typeEbEEZZNS1_14partition_implILS5_5ELb0ES3_mN6hipcub16HIPCUB_304000_NS21CountingInputIteratorIllEEPS6_NSA_22TransformInputIteratorIb7NonZeroIiEPilEENS0_5tupleIJPlS6_EEENSJ_IJSD_SD_EEES6_SK_JS6_EEE10hipError_tPvRmT3_T4_T5_T6_T7_T9_mT8_P12ihipStream_tbDpT10_ENKUlT_T0_E_clISt17integral_constantIbLb1EES16_EEDaS11_S12_EUlS11_E_NS1_11comp_targetILNS1_3genE0ELNS1_11target_archE4294967295ELNS1_3gpuE0ELNS1_3repE0EEENS1_30default_config_static_selectorELNS0_4arch9wavefront6targetE1EEEvT1_
                                        ; -- End function
	.set _ZN7rocprim17ROCPRIM_400000_NS6detail17trampoline_kernelINS0_14default_configENS1_25partition_config_selectorILNS1_17partition_subalgoE5ElNS0_10empty_typeEbEEZZNS1_14partition_implILS5_5ELb0ES3_mN6hipcub16HIPCUB_304000_NS21CountingInputIteratorIllEEPS6_NSA_22TransformInputIteratorIb7NonZeroIiEPilEENS0_5tupleIJPlS6_EEENSJ_IJSD_SD_EEES6_SK_JS6_EEE10hipError_tPvRmT3_T4_T5_T6_T7_T9_mT8_P12ihipStream_tbDpT10_ENKUlT_T0_E_clISt17integral_constantIbLb1EES16_EEDaS11_S12_EUlS11_E_NS1_11comp_targetILNS1_3genE0ELNS1_11target_archE4294967295ELNS1_3gpuE0ELNS1_3repE0EEENS1_30default_config_static_selectorELNS0_4arch9wavefront6targetE1EEEvT1_.num_vgpr, 0
	.set _ZN7rocprim17ROCPRIM_400000_NS6detail17trampoline_kernelINS0_14default_configENS1_25partition_config_selectorILNS1_17partition_subalgoE5ElNS0_10empty_typeEbEEZZNS1_14partition_implILS5_5ELb0ES3_mN6hipcub16HIPCUB_304000_NS21CountingInputIteratorIllEEPS6_NSA_22TransformInputIteratorIb7NonZeroIiEPilEENS0_5tupleIJPlS6_EEENSJ_IJSD_SD_EEES6_SK_JS6_EEE10hipError_tPvRmT3_T4_T5_T6_T7_T9_mT8_P12ihipStream_tbDpT10_ENKUlT_T0_E_clISt17integral_constantIbLb1EES16_EEDaS11_S12_EUlS11_E_NS1_11comp_targetILNS1_3genE0ELNS1_11target_archE4294967295ELNS1_3gpuE0ELNS1_3repE0EEENS1_30default_config_static_selectorELNS0_4arch9wavefront6targetE1EEEvT1_.num_agpr, 0
	.set _ZN7rocprim17ROCPRIM_400000_NS6detail17trampoline_kernelINS0_14default_configENS1_25partition_config_selectorILNS1_17partition_subalgoE5ElNS0_10empty_typeEbEEZZNS1_14partition_implILS5_5ELb0ES3_mN6hipcub16HIPCUB_304000_NS21CountingInputIteratorIllEEPS6_NSA_22TransformInputIteratorIb7NonZeroIiEPilEENS0_5tupleIJPlS6_EEENSJ_IJSD_SD_EEES6_SK_JS6_EEE10hipError_tPvRmT3_T4_T5_T6_T7_T9_mT8_P12ihipStream_tbDpT10_ENKUlT_T0_E_clISt17integral_constantIbLb1EES16_EEDaS11_S12_EUlS11_E_NS1_11comp_targetILNS1_3genE0ELNS1_11target_archE4294967295ELNS1_3gpuE0ELNS1_3repE0EEENS1_30default_config_static_selectorELNS0_4arch9wavefront6targetE1EEEvT1_.numbered_sgpr, 0
	.set _ZN7rocprim17ROCPRIM_400000_NS6detail17trampoline_kernelINS0_14default_configENS1_25partition_config_selectorILNS1_17partition_subalgoE5ElNS0_10empty_typeEbEEZZNS1_14partition_implILS5_5ELb0ES3_mN6hipcub16HIPCUB_304000_NS21CountingInputIteratorIllEEPS6_NSA_22TransformInputIteratorIb7NonZeroIiEPilEENS0_5tupleIJPlS6_EEENSJ_IJSD_SD_EEES6_SK_JS6_EEE10hipError_tPvRmT3_T4_T5_T6_T7_T9_mT8_P12ihipStream_tbDpT10_ENKUlT_T0_E_clISt17integral_constantIbLb1EES16_EEDaS11_S12_EUlS11_E_NS1_11comp_targetILNS1_3genE0ELNS1_11target_archE4294967295ELNS1_3gpuE0ELNS1_3repE0EEENS1_30default_config_static_selectorELNS0_4arch9wavefront6targetE1EEEvT1_.num_named_barrier, 0
	.set _ZN7rocprim17ROCPRIM_400000_NS6detail17trampoline_kernelINS0_14default_configENS1_25partition_config_selectorILNS1_17partition_subalgoE5ElNS0_10empty_typeEbEEZZNS1_14partition_implILS5_5ELb0ES3_mN6hipcub16HIPCUB_304000_NS21CountingInputIteratorIllEEPS6_NSA_22TransformInputIteratorIb7NonZeroIiEPilEENS0_5tupleIJPlS6_EEENSJ_IJSD_SD_EEES6_SK_JS6_EEE10hipError_tPvRmT3_T4_T5_T6_T7_T9_mT8_P12ihipStream_tbDpT10_ENKUlT_T0_E_clISt17integral_constantIbLb1EES16_EEDaS11_S12_EUlS11_E_NS1_11comp_targetILNS1_3genE0ELNS1_11target_archE4294967295ELNS1_3gpuE0ELNS1_3repE0EEENS1_30default_config_static_selectorELNS0_4arch9wavefront6targetE1EEEvT1_.private_seg_size, 0
	.set _ZN7rocprim17ROCPRIM_400000_NS6detail17trampoline_kernelINS0_14default_configENS1_25partition_config_selectorILNS1_17partition_subalgoE5ElNS0_10empty_typeEbEEZZNS1_14partition_implILS5_5ELb0ES3_mN6hipcub16HIPCUB_304000_NS21CountingInputIteratorIllEEPS6_NSA_22TransformInputIteratorIb7NonZeroIiEPilEENS0_5tupleIJPlS6_EEENSJ_IJSD_SD_EEES6_SK_JS6_EEE10hipError_tPvRmT3_T4_T5_T6_T7_T9_mT8_P12ihipStream_tbDpT10_ENKUlT_T0_E_clISt17integral_constantIbLb1EES16_EEDaS11_S12_EUlS11_E_NS1_11comp_targetILNS1_3genE0ELNS1_11target_archE4294967295ELNS1_3gpuE0ELNS1_3repE0EEENS1_30default_config_static_selectorELNS0_4arch9wavefront6targetE1EEEvT1_.uses_vcc, 0
	.set _ZN7rocprim17ROCPRIM_400000_NS6detail17trampoline_kernelINS0_14default_configENS1_25partition_config_selectorILNS1_17partition_subalgoE5ElNS0_10empty_typeEbEEZZNS1_14partition_implILS5_5ELb0ES3_mN6hipcub16HIPCUB_304000_NS21CountingInputIteratorIllEEPS6_NSA_22TransformInputIteratorIb7NonZeroIiEPilEENS0_5tupleIJPlS6_EEENSJ_IJSD_SD_EEES6_SK_JS6_EEE10hipError_tPvRmT3_T4_T5_T6_T7_T9_mT8_P12ihipStream_tbDpT10_ENKUlT_T0_E_clISt17integral_constantIbLb1EES16_EEDaS11_S12_EUlS11_E_NS1_11comp_targetILNS1_3genE0ELNS1_11target_archE4294967295ELNS1_3gpuE0ELNS1_3repE0EEENS1_30default_config_static_selectorELNS0_4arch9wavefront6targetE1EEEvT1_.uses_flat_scratch, 0
	.set _ZN7rocprim17ROCPRIM_400000_NS6detail17trampoline_kernelINS0_14default_configENS1_25partition_config_selectorILNS1_17partition_subalgoE5ElNS0_10empty_typeEbEEZZNS1_14partition_implILS5_5ELb0ES3_mN6hipcub16HIPCUB_304000_NS21CountingInputIteratorIllEEPS6_NSA_22TransformInputIteratorIb7NonZeroIiEPilEENS0_5tupleIJPlS6_EEENSJ_IJSD_SD_EEES6_SK_JS6_EEE10hipError_tPvRmT3_T4_T5_T6_T7_T9_mT8_P12ihipStream_tbDpT10_ENKUlT_T0_E_clISt17integral_constantIbLb1EES16_EEDaS11_S12_EUlS11_E_NS1_11comp_targetILNS1_3genE0ELNS1_11target_archE4294967295ELNS1_3gpuE0ELNS1_3repE0EEENS1_30default_config_static_selectorELNS0_4arch9wavefront6targetE1EEEvT1_.has_dyn_sized_stack, 0
	.set _ZN7rocprim17ROCPRIM_400000_NS6detail17trampoline_kernelINS0_14default_configENS1_25partition_config_selectorILNS1_17partition_subalgoE5ElNS0_10empty_typeEbEEZZNS1_14partition_implILS5_5ELb0ES3_mN6hipcub16HIPCUB_304000_NS21CountingInputIteratorIllEEPS6_NSA_22TransformInputIteratorIb7NonZeroIiEPilEENS0_5tupleIJPlS6_EEENSJ_IJSD_SD_EEES6_SK_JS6_EEE10hipError_tPvRmT3_T4_T5_T6_T7_T9_mT8_P12ihipStream_tbDpT10_ENKUlT_T0_E_clISt17integral_constantIbLb1EES16_EEDaS11_S12_EUlS11_E_NS1_11comp_targetILNS1_3genE0ELNS1_11target_archE4294967295ELNS1_3gpuE0ELNS1_3repE0EEENS1_30default_config_static_selectorELNS0_4arch9wavefront6targetE1EEEvT1_.has_recursion, 0
	.set _ZN7rocprim17ROCPRIM_400000_NS6detail17trampoline_kernelINS0_14default_configENS1_25partition_config_selectorILNS1_17partition_subalgoE5ElNS0_10empty_typeEbEEZZNS1_14partition_implILS5_5ELb0ES3_mN6hipcub16HIPCUB_304000_NS21CountingInputIteratorIllEEPS6_NSA_22TransformInputIteratorIb7NonZeroIiEPilEENS0_5tupleIJPlS6_EEENSJ_IJSD_SD_EEES6_SK_JS6_EEE10hipError_tPvRmT3_T4_T5_T6_T7_T9_mT8_P12ihipStream_tbDpT10_ENKUlT_T0_E_clISt17integral_constantIbLb1EES16_EEDaS11_S12_EUlS11_E_NS1_11comp_targetILNS1_3genE0ELNS1_11target_archE4294967295ELNS1_3gpuE0ELNS1_3repE0EEENS1_30default_config_static_selectorELNS0_4arch9wavefront6targetE1EEEvT1_.has_indirect_call, 0
	.section	.AMDGPU.csdata,"",@progbits
; Kernel info:
; codeLenInByte = 4
; TotalNumSgprs: 6
; NumVgprs: 0
; NumAgprs: 0
; TotalNumVgprs: 0
; ScratchSize: 0
; MemoryBound: 0
; FloatMode: 240
; IeeeMode: 1
; LDSByteSize: 0 bytes/workgroup (compile time only)
; SGPRBlocks: 0
; VGPRBlocks: 0
; NumSGPRsForWavesPerEU: 6
; NumVGPRsForWavesPerEU: 1
; AccumOffset: 4
; Occupancy: 8
; WaveLimiterHint : 0
; COMPUTE_PGM_RSRC2:SCRATCH_EN: 0
; COMPUTE_PGM_RSRC2:USER_SGPR: 2
; COMPUTE_PGM_RSRC2:TRAP_HANDLER: 0
; COMPUTE_PGM_RSRC2:TGID_X_EN: 1
; COMPUTE_PGM_RSRC2:TGID_Y_EN: 0
; COMPUTE_PGM_RSRC2:TGID_Z_EN: 0
; COMPUTE_PGM_RSRC2:TIDIG_COMP_CNT: 0
; COMPUTE_PGM_RSRC3_GFX90A:ACCUM_OFFSET: 0
; COMPUTE_PGM_RSRC3_GFX90A:TG_SPLIT: 0
	.section	.text._ZN7rocprim17ROCPRIM_400000_NS6detail17trampoline_kernelINS0_14default_configENS1_25partition_config_selectorILNS1_17partition_subalgoE5ElNS0_10empty_typeEbEEZZNS1_14partition_implILS5_5ELb0ES3_mN6hipcub16HIPCUB_304000_NS21CountingInputIteratorIllEEPS6_NSA_22TransformInputIteratorIb7NonZeroIiEPilEENS0_5tupleIJPlS6_EEENSJ_IJSD_SD_EEES6_SK_JS6_EEE10hipError_tPvRmT3_T4_T5_T6_T7_T9_mT8_P12ihipStream_tbDpT10_ENKUlT_T0_E_clISt17integral_constantIbLb1EES16_EEDaS11_S12_EUlS11_E_NS1_11comp_targetILNS1_3genE5ELNS1_11target_archE942ELNS1_3gpuE9ELNS1_3repE0EEENS1_30default_config_static_selectorELNS0_4arch9wavefront6targetE1EEEvT1_,"axG",@progbits,_ZN7rocprim17ROCPRIM_400000_NS6detail17trampoline_kernelINS0_14default_configENS1_25partition_config_selectorILNS1_17partition_subalgoE5ElNS0_10empty_typeEbEEZZNS1_14partition_implILS5_5ELb0ES3_mN6hipcub16HIPCUB_304000_NS21CountingInputIteratorIllEEPS6_NSA_22TransformInputIteratorIb7NonZeroIiEPilEENS0_5tupleIJPlS6_EEENSJ_IJSD_SD_EEES6_SK_JS6_EEE10hipError_tPvRmT3_T4_T5_T6_T7_T9_mT8_P12ihipStream_tbDpT10_ENKUlT_T0_E_clISt17integral_constantIbLb1EES16_EEDaS11_S12_EUlS11_E_NS1_11comp_targetILNS1_3genE5ELNS1_11target_archE942ELNS1_3gpuE9ELNS1_3repE0EEENS1_30default_config_static_selectorELNS0_4arch9wavefront6targetE1EEEvT1_,comdat
	.protected	_ZN7rocprim17ROCPRIM_400000_NS6detail17trampoline_kernelINS0_14default_configENS1_25partition_config_selectorILNS1_17partition_subalgoE5ElNS0_10empty_typeEbEEZZNS1_14partition_implILS5_5ELb0ES3_mN6hipcub16HIPCUB_304000_NS21CountingInputIteratorIllEEPS6_NSA_22TransformInputIteratorIb7NonZeroIiEPilEENS0_5tupleIJPlS6_EEENSJ_IJSD_SD_EEES6_SK_JS6_EEE10hipError_tPvRmT3_T4_T5_T6_T7_T9_mT8_P12ihipStream_tbDpT10_ENKUlT_T0_E_clISt17integral_constantIbLb1EES16_EEDaS11_S12_EUlS11_E_NS1_11comp_targetILNS1_3genE5ELNS1_11target_archE942ELNS1_3gpuE9ELNS1_3repE0EEENS1_30default_config_static_selectorELNS0_4arch9wavefront6targetE1EEEvT1_ ; -- Begin function _ZN7rocprim17ROCPRIM_400000_NS6detail17trampoline_kernelINS0_14default_configENS1_25partition_config_selectorILNS1_17partition_subalgoE5ElNS0_10empty_typeEbEEZZNS1_14partition_implILS5_5ELb0ES3_mN6hipcub16HIPCUB_304000_NS21CountingInputIteratorIllEEPS6_NSA_22TransformInputIteratorIb7NonZeroIiEPilEENS0_5tupleIJPlS6_EEENSJ_IJSD_SD_EEES6_SK_JS6_EEE10hipError_tPvRmT3_T4_T5_T6_T7_T9_mT8_P12ihipStream_tbDpT10_ENKUlT_T0_E_clISt17integral_constantIbLb1EES16_EEDaS11_S12_EUlS11_E_NS1_11comp_targetILNS1_3genE5ELNS1_11target_archE942ELNS1_3gpuE9ELNS1_3repE0EEENS1_30default_config_static_selectorELNS0_4arch9wavefront6targetE1EEEvT1_
	.globl	_ZN7rocprim17ROCPRIM_400000_NS6detail17trampoline_kernelINS0_14default_configENS1_25partition_config_selectorILNS1_17partition_subalgoE5ElNS0_10empty_typeEbEEZZNS1_14partition_implILS5_5ELb0ES3_mN6hipcub16HIPCUB_304000_NS21CountingInputIteratorIllEEPS6_NSA_22TransformInputIteratorIb7NonZeroIiEPilEENS0_5tupleIJPlS6_EEENSJ_IJSD_SD_EEES6_SK_JS6_EEE10hipError_tPvRmT3_T4_T5_T6_T7_T9_mT8_P12ihipStream_tbDpT10_ENKUlT_T0_E_clISt17integral_constantIbLb1EES16_EEDaS11_S12_EUlS11_E_NS1_11comp_targetILNS1_3genE5ELNS1_11target_archE942ELNS1_3gpuE9ELNS1_3repE0EEENS1_30default_config_static_selectorELNS0_4arch9wavefront6targetE1EEEvT1_
	.p2align	8
	.type	_ZN7rocprim17ROCPRIM_400000_NS6detail17trampoline_kernelINS0_14default_configENS1_25partition_config_selectorILNS1_17partition_subalgoE5ElNS0_10empty_typeEbEEZZNS1_14partition_implILS5_5ELb0ES3_mN6hipcub16HIPCUB_304000_NS21CountingInputIteratorIllEEPS6_NSA_22TransformInputIteratorIb7NonZeroIiEPilEENS0_5tupleIJPlS6_EEENSJ_IJSD_SD_EEES6_SK_JS6_EEE10hipError_tPvRmT3_T4_T5_T6_T7_T9_mT8_P12ihipStream_tbDpT10_ENKUlT_T0_E_clISt17integral_constantIbLb1EES16_EEDaS11_S12_EUlS11_E_NS1_11comp_targetILNS1_3genE5ELNS1_11target_archE942ELNS1_3gpuE9ELNS1_3repE0EEENS1_30default_config_static_selectorELNS0_4arch9wavefront6targetE1EEEvT1_,@function
_ZN7rocprim17ROCPRIM_400000_NS6detail17trampoline_kernelINS0_14default_configENS1_25partition_config_selectorILNS1_17partition_subalgoE5ElNS0_10empty_typeEbEEZZNS1_14partition_implILS5_5ELb0ES3_mN6hipcub16HIPCUB_304000_NS21CountingInputIteratorIllEEPS6_NSA_22TransformInputIteratorIb7NonZeroIiEPilEENS0_5tupleIJPlS6_EEENSJ_IJSD_SD_EEES6_SK_JS6_EEE10hipError_tPvRmT3_T4_T5_T6_T7_T9_mT8_P12ihipStream_tbDpT10_ENKUlT_T0_E_clISt17integral_constantIbLb1EES16_EEDaS11_S12_EUlS11_E_NS1_11comp_targetILNS1_3genE5ELNS1_11target_archE942ELNS1_3gpuE9ELNS1_3repE0EEENS1_30default_config_static_selectorELNS0_4arch9wavefront6targetE1EEEvT1_: ; @_ZN7rocprim17ROCPRIM_400000_NS6detail17trampoline_kernelINS0_14default_configENS1_25partition_config_selectorILNS1_17partition_subalgoE5ElNS0_10empty_typeEbEEZZNS1_14partition_implILS5_5ELb0ES3_mN6hipcub16HIPCUB_304000_NS21CountingInputIteratorIllEEPS6_NSA_22TransformInputIteratorIb7NonZeroIiEPilEENS0_5tupleIJPlS6_EEENSJ_IJSD_SD_EEES6_SK_JS6_EEE10hipError_tPvRmT3_T4_T5_T6_T7_T9_mT8_P12ihipStream_tbDpT10_ENKUlT_T0_E_clISt17integral_constantIbLb1EES16_EEDaS11_S12_EUlS11_E_NS1_11comp_targetILNS1_3genE5ELNS1_11target_archE942ELNS1_3gpuE9ELNS1_3repE0EEENS1_30default_config_static_selectorELNS0_4arch9wavefront6targetE1EEEvT1_
; %bb.0:
	.section	.rodata,"a",@progbits
	.p2align	6, 0x0
	.amdhsa_kernel _ZN7rocprim17ROCPRIM_400000_NS6detail17trampoline_kernelINS0_14default_configENS1_25partition_config_selectorILNS1_17partition_subalgoE5ElNS0_10empty_typeEbEEZZNS1_14partition_implILS5_5ELb0ES3_mN6hipcub16HIPCUB_304000_NS21CountingInputIteratorIllEEPS6_NSA_22TransformInputIteratorIb7NonZeroIiEPilEENS0_5tupleIJPlS6_EEENSJ_IJSD_SD_EEES6_SK_JS6_EEE10hipError_tPvRmT3_T4_T5_T6_T7_T9_mT8_P12ihipStream_tbDpT10_ENKUlT_T0_E_clISt17integral_constantIbLb1EES16_EEDaS11_S12_EUlS11_E_NS1_11comp_targetILNS1_3genE5ELNS1_11target_archE942ELNS1_3gpuE9ELNS1_3repE0EEENS1_30default_config_static_selectorELNS0_4arch9wavefront6targetE1EEEvT1_
		.amdhsa_group_segment_fixed_size 0
		.amdhsa_private_segment_fixed_size 0
		.amdhsa_kernarg_size 136
		.amdhsa_user_sgpr_count 2
		.amdhsa_user_sgpr_dispatch_ptr 0
		.amdhsa_user_sgpr_queue_ptr 0
		.amdhsa_user_sgpr_kernarg_segment_ptr 1
		.amdhsa_user_sgpr_dispatch_id 0
		.amdhsa_user_sgpr_kernarg_preload_length 0
		.amdhsa_user_sgpr_kernarg_preload_offset 0
		.amdhsa_user_sgpr_private_segment_size 0
		.amdhsa_uses_dynamic_stack 0
		.amdhsa_enable_private_segment 0
		.amdhsa_system_sgpr_workgroup_id_x 1
		.amdhsa_system_sgpr_workgroup_id_y 0
		.amdhsa_system_sgpr_workgroup_id_z 0
		.amdhsa_system_sgpr_workgroup_info 0
		.amdhsa_system_vgpr_workitem_id 0
		.amdhsa_next_free_vgpr 1
		.amdhsa_next_free_sgpr 0
		.amdhsa_accum_offset 4
		.amdhsa_reserve_vcc 0
		.amdhsa_float_round_mode_32 0
		.amdhsa_float_round_mode_16_64 0
		.amdhsa_float_denorm_mode_32 3
		.amdhsa_float_denorm_mode_16_64 3
		.amdhsa_dx10_clamp 1
		.amdhsa_ieee_mode 1
		.amdhsa_fp16_overflow 0
		.amdhsa_tg_split 0
		.amdhsa_exception_fp_ieee_invalid_op 0
		.amdhsa_exception_fp_denorm_src 0
		.amdhsa_exception_fp_ieee_div_zero 0
		.amdhsa_exception_fp_ieee_overflow 0
		.amdhsa_exception_fp_ieee_underflow 0
		.amdhsa_exception_fp_ieee_inexact 0
		.amdhsa_exception_int_div_zero 0
	.end_amdhsa_kernel
	.section	.text._ZN7rocprim17ROCPRIM_400000_NS6detail17trampoline_kernelINS0_14default_configENS1_25partition_config_selectorILNS1_17partition_subalgoE5ElNS0_10empty_typeEbEEZZNS1_14partition_implILS5_5ELb0ES3_mN6hipcub16HIPCUB_304000_NS21CountingInputIteratorIllEEPS6_NSA_22TransformInputIteratorIb7NonZeroIiEPilEENS0_5tupleIJPlS6_EEENSJ_IJSD_SD_EEES6_SK_JS6_EEE10hipError_tPvRmT3_T4_T5_T6_T7_T9_mT8_P12ihipStream_tbDpT10_ENKUlT_T0_E_clISt17integral_constantIbLb1EES16_EEDaS11_S12_EUlS11_E_NS1_11comp_targetILNS1_3genE5ELNS1_11target_archE942ELNS1_3gpuE9ELNS1_3repE0EEENS1_30default_config_static_selectorELNS0_4arch9wavefront6targetE1EEEvT1_,"axG",@progbits,_ZN7rocprim17ROCPRIM_400000_NS6detail17trampoline_kernelINS0_14default_configENS1_25partition_config_selectorILNS1_17partition_subalgoE5ElNS0_10empty_typeEbEEZZNS1_14partition_implILS5_5ELb0ES3_mN6hipcub16HIPCUB_304000_NS21CountingInputIteratorIllEEPS6_NSA_22TransformInputIteratorIb7NonZeroIiEPilEENS0_5tupleIJPlS6_EEENSJ_IJSD_SD_EEES6_SK_JS6_EEE10hipError_tPvRmT3_T4_T5_T6_T7_T9_mT8_P12ihipStream_tbDpT10_ENKUlT_T0_E_clISt17integral_constantIbLb1EES16_EEDaS11_S12_EUlS11_E_NS1_11comp_targetILNS1_3genE5ELNS1_11target_archE942ELNS1_3gpuE9ELNS1_3repE0EEENS1_30default_config_static_selectorELNS0_4arch9wavefront6targetE1EEEvT1_,comdat
.Lfunc_end194:
	.size	_ZN7rocprim17ROCPRIM_400000_NS6detail17trampoline_kernelINS0_14default_configENS1_25partition_config_selectorILNS1_17partition_subalgoE5ElNS0_10empty_typeEbEEZZNS1_14partition_implILS5_5ELb0ES3_mN6hipcub16HIPCUB_304000_NS21CountingInputIteratorIllEEPS6_NSA_22TransformInputIteratorIb7NonZeroIiEPilEENS0_5tupleIJPlS6_EEENSJ_IJSD_SD_EEES6_SK_JS6_EEE10hipError_tPvRmT3_T4_T5_T6_T7_T9_mT8_P12ihipStream_tbDpT10_ENKUlT_T0_E_clISt17integral_constantIbLb1EES16_EEDaS11_S12_EUlS11_E_NS1_11comp_targetILNS1_3genE5ELNS1_11target_archE942ELNS1_3gpuE9ELNS1_3repE0EEENS1_30default_config_static_selectorELNS0_4arch9wavefront6targetE1EEEvT1_, .Lfunc_end194-_ZN7rocprim17ROCPRIM_400000_NS6detail17trampoline_kernelINS0_14default_configENS1_25partition_config_selectorILNS1_17partition_subalgoE5ElNS0_10empty_typeEbEEZZNS1_14partition_implILS5_5ELb0ES3_mN6hipcub16HIPCUB_304000_NS21CountingInputIteratorIllEEPS6_NSA_22TransformInputIteratorIb7NonZeroIiEPilEENS0_5tupleIJPlS6_EEENSJ_IJSD_SD_EEES6_SK_JS6_EEE10hipError_tPvRmT3_T4_T5_T6_T7_T9_mT8_P12ihipStream_tbDpT10_ENKUlT_T0_E_clISt17integral_constantIbLb1EES16_EEDaS11_S12_EUlS11_E_NS1_11comp_targetILNS1_3genE5ELNS1_11target_archE942ELNS1_3gpuE9ELNS1_3repE0EEENS1_30default_config_static_selectorELNS0_4arch9wavefront6targetE1EEEvT1_
                                        ; -- End function
	.set _ZN7rocprim17ROCPRIM_400000_NS6detail17trampoline_kernelINS0_14default_configENS1_25partition_config_selectorILNS1_17partition_subalgoE5ElNS0_10empty_typeEbEEZZNS1_14partition_implILS5_5ELb0ES3_mN6hipcub16HIPCUB_304000_NS21CountingInputIteratorIllEEPS6_NSA_22TransformInputIteratorIb7NonZeroIiEPilEENS0_5tupleIJPlS6_EEENSJ_IJSD_SD_EEES6_SK_JS6_EEE10hipError_tPvRmT3_T4_T5_T6_T7_T9_mT8_P12ihipStream_tbDpT10_ENKUlT_T0_E_clISt17integral_constantIbLb1EES16_EEDaS11_S12_EUlS11_E_NS1_11comp_targetILNS1_3genE5ELNS1_11target_archE942ELNS1_3gpuE9ELNS1_3repE0EEENS1_30default_config_static_selectorELNS0_4arch9wavefront6targetE1EEEvT1_.num_vgpr, 0
	.set _ZN7rocprim17ROCPRIM_400000_NS6detail17trampoline_kernelINS0_14default_configENS1_25partition_config_selectorILNS1_17partition_subalgoE5ElNS0_10empty_typeEbEEZZNS1_14partition_implILS5_5ELb0ES3_mN6hipcub16HIPCUB_304000_NS21CountingInputIteratorIllEEPS6_NSA_22TransformInputIteratorIb7NonZeroIiEPilEENS0_5tupleIJPlS6_EEENSJ_IJSD_SD_EEES6_SK_JS6_EEE10hipError_tPvRmT3_T4_T5_T6_T7_T9_mT8_P12ihipStream_tbDpT10_ENKUlT_T0_E_clISt17integral_constantIbLb1EES16_EEDaS11_S12_EUlS11_E_NS1_11comp_targetILNS1_3genE5ELNS1_11target_archE942ELNS1_3gpuE9ELNS1_3repE0EEENS1_30default_config_static_selectorELNS0_4arch9wavefront6targetE1EEEvT1_.num_agpr, 0
	.set _ZN7rocprim17ROCPRIM_400000_NS6detail17trampoline_kernelINS0_14default_configENS1_25partition_config_selectorILNS1_17partition_subalgoE5ElNS0_10empty_typeEbEEZZNS1_14partition_implILS5_5ELb0ES3_mN6hipcub16HIPCUB_304000_NS21CountingInputIteratorIllEEPS6_NSA_22TransformInputIteratorIb7NonZeroIiEPilEENS0_5tupleIJPlS6_EEENSJ_IJSD_SD_EEES6_SK_JS6_EEE10hipError_tPvRmT3_T4_T5_T6_T7_T9_mT8_P12ihipStream_tbDpT10_ENKUlT_T0_E_clISt17integral_constantIbLb1EES16_EEDaS11_S12_EUlS11_E_NS1_11comp_targetILNS1_3genE5ELNS1_11target_archE942ELNS1_3gpuE9ELNS1_3repE0EEENS1_30default_config_static_selectorELNS0_4arch9wavefront6targetE1EEEvT1_.numbered_sgpr, 0
	.set _ZN7rocprim17ROCPRIM_400000_NS6detail17trampoline_kernelINS0_14default_configENS1_25partition_config_selectorILNS1_17partition_subalgoE5ElNS0_10empty_typeEbEEZZNS1_14partition_implILS5_5ELb0ES3_mN6hipcub16HIPCUB_304000_NS21CountingInputIteratorIllEEPS6_NSA_22TransformInputIteratorIb7NonZeroIiEPilEENS0_5tupleIJPlS6_EEENSJ_IJSD_SD_EEES6_SK_JS6_EEE10hipError_tPvRmT3_T4_T5_T6_T7_T9_mT8_P12ihipStream_tbDpT10_ENKUlT_T0_E_clISt17integral_constantIbLb1EES16_EEDaS11_S12_EUlS11_E_NS1_11comp_targetILNS1_3genE5ELNS1_11target_archE942ELNS1_3gpuE9ELNS1_3repE0EEENS1_30default_config_static_selectorELNS0_4arch9wavefront6targetE1EEEvT1_.num_named_barrier, 0
	.set _ZN7rocprim17ROCPRIM_400000_NS6detail17trampoline_kernelINS0_14default_configENS1_25partition_config_selectorILNS1_17partition_subalgoE5ElNS0_10empty_typeEbEEZZNS1_14partition_implILS5_5ELb0ES3_mN6hipcub16HIPCUB_304000_NS21CountingInputIteratorIllEEPS6_NSA_22TransformInputIteratorIb7NonZeroIiEPilEENS0_5tupleIJPlS6_EEENSJ_IJSD_SD_EEES6_SK_JS6_EEE10hipError_tPvRmT3_T4_T5_T6_T7_T9_mT8_P12ihipStream_tbDpT10_ENKUlT_T0_E_clISt17integral_constantIbLb1EES16_EEDaS11_S12_EUlS11_E_NS1_11comp_targetILNS1_3genE5ELNS1_11target_archE942ELNS1_3gpuE9ELNS1_3repE0EEENS1_30default_config_static_selectorELNS0_4arch9wavefront6targetE1EEEvT1_.private_seg_size, 0
	.set _ZN7rocprim17ROCPRIM_400000_NS6detail17trampoline_kernelINS0_14default_configENS1_25partition_config_selectorILNS1_17partition_subalgoE5ElNS0_10empty_typeEbEEZZNS1_14partition_implILS5_5ELb0ES3_mN6hipcub16HIPCUB_304000_NS21CountingInputIteratorIllEEPS6_NSA_22TransformInputIteratorIb7NonZeroIiEPilEENS0_5tupleIJPlS6_EEENSJ_IJSD_SD_EEES6_SK_JS6_EEE10hipError_tPvRmT3_T4_T5_T6_T7_T9_mT8_P12ihipStream_tbDpT10_ENKUlT_T0_E_clISt17integral_constantIbLb1EES16_EEDaS11_S12_EUlS11_E_NS1_11comp_targetILNS1_3genE5ELNS1_11target_archE942ELNS1_3gpuE9ELNS1_3repE0EEENS1_30default_config_static_selectorELNS0_4arch9wavefront6targetE1EEEvT1_.uses_vcc, 0
	.set _ZN7rocprim17ROCPRIM_400000_NS6detail17trampoline_kernelINS0_14default_configENS1_25partition_config_selectorILNS1_17partition_subalgoE5ElNS0_10empty_typeEbEEZZNS1_14partition_implILS5_5ELb0ES3_mN6hipcub16HIPCUB_304000_NS21CountingInputIteratorIllEEPS6_NSA_22TransformInputIteratorIb7NonZeroIiEPilEENS0_5tupleIJPlS6_EEENSJ_IJSD_SD_EEES6_SK_JS6_EEE10hipError_tPvRmT3_T4_T5_T6_T7_T9_mT8_P12ihipStream_tbDpT10_ENKUlT_T0_E_clISt17integral_constantIbLb1EES16_EEDaS11_S12_EUlS11_E_NS1_11comp_targetILNS1_3genE5ELNS1_11target_archE942ELNS1_3gpuE9ELNS1_3repE0EEENS1_30default_config_static_selectorELNS0_4arch9wavefront6targetE1EEEvT1_.uses_flat_scratch, 0
	.set _ZN7rocprim17ROCPRIM_400000_NS6detail17trampoline_kernelINS0_14default_configENS1_25partition_config_selectorILNS1_17partition_subalgoE5ElNS0_10empty_typeEbEEZZNS1_14partition_implILS5_5ELb0ES3_mN6hipcub16HIPCUB_304000_NS21CountingInputIteratorIllEEPS6_NSA_22TransformInputIteratorIb7NonZeroIiEPilEENS0_5tupleIJPlS6_EEENSJ_IJSD_SD_EEES6_SK_JS6_EEE10hipError_tPvRmT3_T4_T5_T6_T7_T9_mT8_P12ihipStream_tbDpT10_ENKUlT_T0_E_clISt17integral_constantIbLb1EES16_EEDaS11_S12_EUlS11_E_NS1_11comp_targetILNS1_3genE5ELNS1_11target_archE942ELNS1_3gpuE9ELNS1_3repE0EEENS1_30default_config_static_selectorELNS0_4arch9wavefront6targetE1EEEvT1_.has_dyn_sized_stack, 0
	.set _ZN7rocprim17ROCPRIM_400000_NS6detail17trampoline_kernelINS0_14default_configENS1_25partition_config_selectorILNS1_17partition_subalgoE5ElNS0_10empty_typeEbEEZZNS1_14partition_implILS5_5ELb0ES3_mN6hipcub16HIPCUB_304000_NS21CountingInputIteratorIllEEPS6_NSA_22TransformInputIteratorIb7NonZeroIiEPilEENS0_5tupleIJPlS6_EEENSJ_IJSD_SD_EEES6_SK_JS6_EEE10hipError_tPvRmT3_T4_T5_T6_T7_T9_mT8_P12ihipStream_tbDpT10_ENKUlT_T0_E_clISt17integral_constantIbLb1EES16_EEDaS11_S12_EUlS11_E_NS1_11comp_targetILNS1_3genE5ELNS1_11target_archE942ELNS1_3gpuE9ELNS1_3repE0EEENS1_30default_config_static_selectorELNS0_4arch9wavefront6targetE1EEEvT1_.has_recursion, 0
	.set _ZN7rocprim17ROCPRIM_400000_NS6detail17trampoline_kernelINS0_14default_configENS1_25partition_config_selectorILNS1_17partition_subalgoE5ElNS0_10empty_typeEbEEZZNS1_14partition_implILS5_5ELb0ES3_mN6hipcub16HIPCUB_304000_NS21CountingInputIteratorIllEEPS6_NSA_22TransformInputIteratorIb7NonZeroIiEPilEENS0_5tupleIJPlS6_EEENSJ_IJSD_SD_EEES6_SK_JS6_EEE10hipError_tPvRmT3_T4_T5_T6_T7_T9_mT8_P12ihipStream_tbDpT10_ENKUlT_T0_E_clISt17integral_constantIbLb1EES16_EEDaS11_S12_EUlS11_E_NS1_11comp_targetILNS1_3genE5ELNS1_11target_archE942ELNS1_3gpuE9ELNS1_3repE0EEENS1_30default_config_static_selectorELNS0_4arch9wavefront6targetE1EEEvT1_.has_indirect_call, 0
	.section	.AMDGPU.csdata,"",@progbits
; Kernel info:
; codeLenInByte = 0
; TotalNumSgprs: 6
; NumVgprs: 0
; NumAgprs: 0
; TotalNumVgprs: 0
; ScratchSize: 0
; MemoryBound: 0
; FloatMode: 240
; IeeeMode: 1
; LDSByteSize: 0 bytes/workgroup (compile time only)
; SGPRBlocks: 0
; VGPRBlocks: 0
; NumSGPRsForWavesPerEU: 6
; NumVGPRsForWavesPerEU: 1
; AccumOffset: 4
; Occupancy: 8
; WaveLimiterHint : 0
; COMPUTE_PGM_RSRC2:SCRATCH_EN: 0
; COMPUTE_PGM_RSRC2:USER_SGPR: 2
; COMPUTE_PGM_RSRC2:TRAP_HANDLER: 0
; COMPUTE_PGM_RSRC2:TGID_X_EN: 1
; COMPUTE_PGM_RSRC2:TGID_Y_EN: 0
; COMPUTE_PGM_RSRC2:TGID_Z_EN: 0
; COMPUTE_PGM_RSRC2:TIDIG_COMP_CNT: 0
; COMPUTE_PGM_RSRC3_GFX90A:ACCUM_OFFSET: 0
; COMPUTE_PGM_RSRC3_GFX90A:TG_SPLIT: 0
	.section	.text._ZN7rocprim17ROCPRIM_400000_NS6detail17trampoline_kernelINS0_14default_configENS1_25partition_config_selectorILNS1_17partition_subalgoE5ElNS0_10empty_typeEbEEZZNS1_14partition_implILS5_5ELb0ES3_mN6hipcub16HIPCUB_304000_NS21CountingInputIteratorIllEEPS6_NSA_22TransformInputIteratorIb7NonZeroIiEPilEENS0_5tupleIJPlS6_EEENSJ_IJSD_SD_EEES6_SK_JS6_EEE10hipError_tPvRmT3_T4_T5_T6_T7_T9_mT8_P12ihipStream_tbDpT10_ENKUlT_T0_E_clISt17integral_constantIbLb1EES16_EEDaS11_S12_EUlS11_E_NS1_11comp_targetILNS1_3genE4ELNS1_11target_archE910ELNS1_3gpuE8ELNS1_3repE0EEENS1_30default_config_static_selectorELNS0_4arch9wavefront6targetE1EEEvT1_,"axG",@progbits,_ZN7rocprim17ROCPRIM_400000_NS6detail17trampoline_kernelINS0_14default_configENS1_25partition_config_selectorILNS1_17partition_subalgoE5ElNS0_10empty_typeEbEEZZNS1_14partition_implILS5_5ELb0ES3_mN6hipcub16HIPCUB_304000_NS21CountingInputIteratorIllEEPS6_NSA_22TransformInputIteratorIb7NonZeroIiEPilEENS0_5tupleIJPlS6_EEENSJ_IJSD_SD_EEES6_SK_JS6_EEE10hipError_tPvRmT3_T4_T5_T6_T7_T9_mT8_P12ihipStream_tbDpT10_ENKUlT_T0_E_clISt17integral_constantIbLb1EES16_EEDaS11_S12_EUlS11_E_NS1_11comp_targetILNS1_3genE4ELNS1_11target_archE910ELNS1_3gpuE8ELNS1_3repE0EEENS1_30default_config_static_selectorELNS0_4arch9wavefront6targetE1EEEvT1_,comdat
	.protected	_ZN7rocprim17ROCPRIM_400000_NS6detail17trampoline_kernelINS0_14default_configENS1_25partition_config_selectorILNS1_17partition_subalgoE5ElNS0_10empty_typeEbEEZZNS1_14partition_implILS5_5ELb0ES3_mN6hipcub16HIPCUB_304000_NS21CountingInputIteratorIllEEPS6_NSA_22TransformInputIteratorIb7NonZeroIiEPilEENS0_5tupleIJPlS6_EEENSJ_IJSD_SD_EEES6_SK_JS6_EEE10hipError_tPvRmT3_T4_T5_T6_T7_T9_mT8_P12ihipStream_tbDpT10_ENKUlT_T0_E_clISt17integral_constantIbLb1EES16_EEDaS11_S12_EUlS11_E_NS1_11comp_targetILNS1_3genE4ELNS1_11target_archE910ELNS1_3gpuE8ELNS1_3repE0EEENS1_30default_config_static_selectorELNS0_4arch9wavefront6targetE1EEEvT1_ ; -- Begin function _ZN7rocprim17ROCPRIM_400000_NS6detail17trampoline_kernelINS0_14default_configENS1_25partition_config_selectorILNS1_17partition_subalgoE5ElNS0_10empty_typeEbEEZZNS1_14partition_implILS5_5ELb0ES3_mN6hipcub16HIPCUB_304000_NS21CountingInputIteratorIllEEPS6_NSA_22TransformInputIteratorIb7NonZeroIiEPilEENS0_5tupleIJPlS6_EEENSJ_IJSD_SD_EEES6_SK_JS6_EEE10hipError_tPvRmT3_T4_T5_T6_T7_T9_mT8_P12ihipStream_tbDpT10_ENKUlT_T0_E_clISt17integral_constantIbLb1EES16_EEDaS11_S12_EUlS11_E_NS1_11comp_targetILNS1_3genE4ELNS1_11target_archE910ELNS1_3gpuE8ELNS1_3repE0EEENS1_30default_config_static_selectorELNS0_4arch9wavefront6targetE1EEEvT1_
	.globl	_ZN7rocprim17ROCPRIM_400000_NS6detail17trampoline_kernelINS0_14default_configENS1_25partition_config_selectorILNS1_17partition_subalgoE5ElNS0_10empty_typeEbEEZZNS1_14partition_implILS5_5ELb0ES3_mN6hipcub16HIPCUB_304000_NS21CountingInputIteratorIllEEPS6_NSA_22TransformInputIteratorIb7NonZeroIiEPilEENS0_5tupleIJPlS6_EEENSJ_IJSD_SD_EEES6_SK_JS6_EEE10hipError_tPvRmT3_T4_T5_T6_T7_T9_mT8_P12ihipStream_tbDpT10_ENKUlT_T0_E_clISt17integral_constantIbLb1EES16_EEDaS11_S12_EUlS11_E_NS1_11comp_targetILNS1_3genE4ELNS1_11target_archE910ELNS1_3gpuE8ELNS1_3repE0EEENS1_30default_config_static_selectorELNS0_4arch9wavefront6targetE1EEEvT1_
	.p2align	8
	.type	_ZN7rocprim17ROCPRIM_400000_NS6detail17trampoline_kernelINS0_14default_configENS1_25partition_config_selectorILNS1_17partition_subalgoE5ElNS0_10empty_typeEbEEZZNS1_14partition_implILS5_5ELb0ES3_mN6hipcub16HIPCUB_304000_NS21CountingInputIteratorIllEEPS6_NSA_22TransformInputIteratorIb7NonZeroIiEPilEENS0_5tupleIJPlS6_EEENSJ_IJSD_SD_EEES6_SK_JS6_EEE10hipError_tPvRmT3_T4_T5_T6_T7_T9_mT8_P12ihipStream_tbDpT10_ENKUlT_T0_E_clISt17integral_constantIbLb1EES16_EEDaS11_S12_EUlS11_E_NS1_11comp_targetILNS1_3genE4ELNS1_11target_archE910ELNS1_3gpuE8ELNS1_3repE0EEENS1_30default_config_static_selectorELNS0_4arch9wavefront6targetE1EEEvT1_,@function
_ZN7rocprim17ROCPRIM_400000_NS6detail17trampoline_kernelINS0_14default_configENS1_25partition_config_selectorILNS1_17partition_subalgoE5ElNS0_10empty_typeEbEEZZNS1_14partition_implILS5_5ELb0ES3_mN6hipcub16HIPCUB_304000_NS21CountingInputIteratorIllEEPS6_NSA_22TransformInputIteratorIb7NonZeroIiEPilEENS0_5tupleIJPlS6_EEENSJ_IJSD_SD_EEES6_SK_JS6_EEE10hipError_tPvRmT3_T4_T5_T6_T7_T9_mT8_P12ihipStream_tbDpT10_ENKUlT_T0_E_clISt17integral_constantIbLb1EES16_EEDaS11_S12_EUlS11_E_NS1_11comp_targetILNS1_3genE4ELNS1_11target_archE910ELNS1_3gpuE8ELNS1_3repE0EEENS1_30default_config_static_selectorELNS0_4arch9wavefront6targetE1EEEvT1_: ; @_ZN7rocprim17ROCPRIM_400000_NS6detail17trampoline_kernelINS0_14default_configENS1_25partition_config_selectorILNS1_17partition_subalgoE5ElNS0_10empty_typeEbEEZZNS1_14partition_implILS5_5ELb0ES3_mN6hipcub16HIPCUB_304000_NS21CountingInputIteratorIllEEPS6_NSA_22TransformInputIteratorIb7NonZeroIiEPilEENS0_5tupleIJPlS6_EEENSJ_IJSD_SD_EEES6_SK_JS6_EEE10hipError_tPvRmT3_T4_T5_T6_T7_T9_mT8_P12ihipStream_tbDpT10_ENKUlT_T0_E_clISt17integral_constantIbLb1EES16_EEDaS11_S12_EUlS11_E_NS1_11comp_targetILNS1_3genE4ELNS1_11target_archE910ELNS1_3gpuE8ELNS1_3repE0EEENS1_30default_config_static_selectorELNS0_4arch9wavefront6targetE1EEEvT1_
; %bb.0:
	.section	.rodata,"a",@progbits
	.p2align	6, 0x0
	.amdhsa_kernel _ZN7rocprim17ROCPRIM_400000_NS6detail17trampoline_kernelINS0_14default_configENS1_25partition_config_selectorILNS1_17partition_subalgoE5ElNS0_10empty_typeEbEEZZNS1_14partition_implILS5_5ELb0ES3_mN6hipcub16HIPCUB_304000_NS21CountingInputIteratorIllEEPS6_NSA_22TransformInputIteratorIb7NonZeroIiEPilEENS0_5tupleIJPlS6_EEENSJ_IJSD_SD_EEES6_SK_JS6_EEE10hipError_tPvRmT3_T4_T5_T6_T7_T9_mT8_P12ihipStream_tbDpT10_ENKUlT_T0_E_clISt17integral_constantIbLb1EES16_EEDaS11_S12_EUlS11_E_NS1_11comp_targetILNS1_3genE4ELNS1_11target_archE910ELNS1_3gpuE8ELNS1_3repE0EEENS1_30default_config_static_selectorELNS0_4arch9wavefront6targetE1EEEvT1_
		.amdhsa_group_segment_fixed_size 0
		.amdhsa_private_segment_fixed_size 0
		.amdhsa_kernarg_size 136
		.amdhsa_user_sgpr_count 2
		.amdhsa_user_sgpr_dispatch_ptr 0
		.amdhsa_user_sgpr_queue_ptr 0
		.amdhsa_user_sgpr_kernarg_segment_ptr 1
		.amdhsa_user_sgpr_dispatch_id 0
		.amdhsa_user_sgpr_kernarg_preload_length 0
		.amdhsa_user_sgpr_kernarg_preload_offset 0
		.amdhsa_user_sgpr_private_segment_size 0
		.amdhsa_uses_dynamic_stack 0
		.amdhsa_enable_private_segment 0
		.amdhsa_system_sgpr_workgroup_id_x 1
		.amdhsa_system_sgpr_workgroup_id_y 0
		.amdhsa_system_sgpr_workgroup_id_z 0
		.amdhsa_system_sgpr_workgroup_info 0
		.amdhsa_system_vgpr_workitem_id 0
		.amdhsa_next_free_vgpr 1
		.amdhsa_next_free_sgpr 0
		.amdhsa_accum_offset 4
		.amdhsa_reserve_vcc 0
		.amdhsa_float_round_mode_32 0
		.amdhsa_float_round_mode_16_64 0
		.amdhsa_float_denorm_mode_32 3
		.amdhsa_float_denorm_mode_16_64 3
		.amdhsa_dx10_clamp 1
		.amdhsa_ieee_mode 1
		.amdhsa_fp16_overflow 0
		.amdhsa_tg_split 0
		.amdhsa_exception_fp_ieee_invalid_op 0
		.amdhsa_exception_fp_denorm_src 0
		.amdhsa_exception_fp_ieee_div_zero 0
		.amdhsa_exception_fp_ieee_overflow 0
		.amdhsa_exception_fp_ieee_underflow 0
		.amdhsa_exception_fp_ieee_inexact 0
		.amdhsa_exception_int_div_zero 0
	.end_amdhsa_kernel
	.section	.text._ZN7rocprim17ROCPRIM_400000_NS6detail17trampoline_kernelINS0_14default_configENS1_25partition_config_selectorILNS1_17partition_subalgoE5ElNS0_10empty_typeEbEEZZNS1_14partition_implILS5_5ELb0ES3_mN6hipcub16HIPCUB_304000_NS21CountingInputIteratorIllEEPS6_NSA_22TransformInputIteratorIb7NonZeroIiEPilEENS0_5tupleIJPlS6_EEENSJ_IJSD_SD_EEES6_SK_JS6_EEE10hipError_tPvRmT3_T4_T5_T6_T7_T9_mT8_P12ihipStream_tbDpT10_ENKUlT_T0_E_clISt17integral_constantIbLb1EES16_EEDaS11_S12_EUlS11_E_NS1_11comp_targetILNS1_3genE4ELNS1_11target_archE910ELNS1_3gpuE8ELNS1_3repE0EEENS1_30default_config_static_selectorELNS0_4arch9wavefront6targetE1EEEvT1_,"axG",@progbits,_ZN7rocprim17ROCPRIM_400000_NS6detail17trampoline_kernelINS0_14default_configENS1_25partition_config_selectorILNS1_17partition_subalgoE5ElNS0_10empty_typeEbEEZZNS1_14partition_implILS5_5ELb0ES3_mN6hipcub16HIPCUB_304000_NS21CountingInputIteratorIllEEPS6_NSA_22TransformInputIteratorIb7NonZeroIiEPilEENS0_5tupleIJPlS6_EEENSJ_IJSD_SD_EEES6_SK_JS6_EEE10hipError_tPvRmT3_T4_T5_T6_T7_T9_mT8_P12ihipStream_tbDpT10_ENKUlT_T0_E_clISt17integral_constantIbLb1EES16_EEDaS11_S12_EUlS11_E_NS1_11comp_targetILNS1_3genE4ELNS1_11target_archE910ELNS1_3gpuE8ELNS1_3repE0EEENS1_30default_config_static_selectorELNS0_4arch9wavefront6targetE1EEEvT1_,comdat
.Lfunc_end195:
	.size	_ZN7rocprim17ROCPRIM_400000_NS6detail17trampoline_kernelINS0_14default_configENS1_25partition_config_selectorILNS1_17partition_subalgoE5ElNS0_10empty_typeEbEEZZNS1_14partition_implILS5_5ELb0ES3_mN6hipcub16HIPCUB_304000_NS21CountingInputIteratorIllEEPS6_NSA_22TransformInputIteratorIb7NonZeroIiEPilEENS0_5tupleIJPlS6_EEENSJ_IJSD_SD_EEES6_SK_JS6_EEE10hipError_tPvRmT3_T4_T5_T6_T7_T9_mT8_P12ihipStream_tbDpT10_ENKUlT_T0_E_clISt17integral_constantIbLb1EES16_EEDaS11_S12_EUlS11_E_NS1_11comp_targetILNS1_3genE4ELNS1_11target_archE910ELNS1_3gpuE8ELNS1_3repE0EEENS1_30default_config_static_selectorELNS0_4arch9wavefront6targetE1EEEvT1_, .Lfunc_end195-_ZN7rocprim17ROCPRIM_400000_NS6detail17trampoline_kernelINS0_14default_configENS1_25partition_config_selectorILNS1_17partition_subalgoE5ElNS0_10empty_typeEbEEZZNS1_14partition_implILS5_5ELb0ES3_mN6hipcub16HIPCUB_304000_NS21CountingInputIteratorIllEEPS6_NSA_22TransformInputIteratorIb7NonZeroIiEPilEENS0_5tupleIJPlS6_EEENSJ_IJSD_SD_EEES6_SK_JS6_EEE10hipError_tPvRmT3_T4_T5_T6_T7_T9_mT8_P12ihipStream_tbDpT10_ENKUlT_T0_E_clISt17integral_constantIbLb1EES16_EEDaS11_S12_EUlS11_E_NS1_11comp_targetILNS1_3genE4ELNS1_11target_archE910ELNS1_3gpuE8ELNS1_3repE0EEENS1_30default_config_static_selectorELNS0_4arch9wavefront6targetE1EEEvT1_
                                        ; -- End function
	.set _ZN7rocprim17ROCPRIM_400000_NS6detail17trampoline_kernelINS0_14default_configENS1_25partition_config_selectorILNS1_17partition_subalgoE5ElNS0_10empty_typeEbEEZZNS1_14partition_implILS5_5ELb0ES3_mN6hipcub16HIPCUB_304000_NS21CountingInputIteratorIllEEPS6_NSA_22TransformInputIteratorIb7NonZeroIiEPilEENS0_5tupleIJPlS6_EEENSJ_IJSD_SD_EEES6_SK_JS6_EEE10hipError_tPvRmT3_T4_T5_T6_T7_T9_mT8_P12ihipStream_tbDpT10_ENKUlT_T0_E_clISt17integral_constantIbLb1EES16_EEDaS11_S12_EUlS11_E_NS1_11comp_targetILNS1_3genE4ELNS1_11target_archE910ELNS1_3gpuE8ELNS1_3repE0EEENS1_30default_config_static_selectorELNS0_4arch9wavefront6targetE1EEEvT1_.num_vgpr, 0
	.set _ZN7rocprim17ROCPRIM_400000_NS6detail17trampoline_kernelINS0_14default_configENS1_25partition_config_selectorILNS1_17partition_subalgoE5ElNS0_10empty_typeEbEEZZNS1_14partition_implILS5_5ELb0ES3_mN6hipcub16HIPCUB_304000_NS21CountingInputIteratorIllEEPS6_NSA_22TransformInputIteratorIb7NonZeroIiEPilEENS0_5tupleIJPlS6_EEENSJ_IJSD_SD_EEES6_SK_JS6_EEE10hipError_tPvRmT3_T4_T5_T6_T7_T9_mT8_P12ihipStream_tbDpT10_ENKUlT_T0_E_clISt17integral_constantIbLb1EES16_EEDaS11_S12_EUlS11_E_NS1_11comp_targetILNS1_3genE4ELNS1_11target_archE910ELNS1_3gpuE8ELNS1_3repE0EEENS1_30default_config_static_selectorELNS0_4arch9wavefront6targetE1EEEvT1_.num_agpr, 0
	.set _ZN7rocprim17ROCPRIM_400000_NS6detail17trampoline_kernelINS0_14default_configENS1_25partition_config_selectorILNS1_17partition_subalgoE5ElNS0_10empty_typeEbEEZZNS1_14partition_implILS5_5ELb0ES3_mN6hipcub16HIPCUB_304000_NS21CountingInputIteratorIllEEPS6_NSA_22TransformInputIteratorIb7NonZeroIiEPilEENS0_5tupleIJPlS6_EEENSJ_IJSD_SD_EEES6_SK_JS6_EEE10hipError_tPvRmT3_T4_T5_T6_T7_T9_mT8_P12ihipStream_tbDpT10_ENKUlT_T0_E_clISt17integral_constantIbLb1EES16_EEDaS11_S12_EUlS11_E_NS1_11comp_targetILNS1_3genE4ELNS1_11target_archE910ELNS1_3gpuE8ELNS1_3repE0EEENS1_30default_config_static_selectorELNS0_4arch9wavefront6targetE1EEEvT1_.numbered_sgpr, 0
	.set _ZN7rocprim17ROCPRIM_400000_NS6detail17trampoline_kernelINS0_14default_configENS1_25partition_config_selectorILNS1_17partition_subalgoE5ElNS0_10empty_typeEbEEZZNS1_14partition_implILS5_5ELb0ES3_mN6hipcub16HIPCUB_304000_NS21CountingInputIteratorIllEEPS6_NSA_22TransformInputIteratorIb7NonZeroIiEPilEENS0_5tupleIJPlS6_EEENSJ_IJSD_SD_EEES6_SK_JS6_EEE10hipError_tPvRmT3_T4_T5_T6_T7_T9_mT8_P12ihipStream_tbDpT10_ENKUlT_T0_E_clISt17integral_constantIbLb1EES16_EEDaS11_S12_EUlS11_E_NS1_11comp_targetILNS1_3genE4ELNS1_11target_archE910ELNS1_3gpuE8ELNS1_3repE0EEENS1_30default_config_static_selectorELNS0_4arch9wavefront6targetE1EEEvT1_.num_named_barrier, 0
	.set _ZN7rocprim17ROCPRIM_400000_NS6detail17trampoline_kernelINS0_14default_configENS1_25partition_config_selectorILNS1_17partition_subalgoE5ElNS0_10empty_typeEbEEZZNS1_14partition_implILS5_5ELb0ES3_mN6hipcub16HIPCUB_304000_NS21CountingInputIteratorIllEEPS6_NSA_22TransformInputIteratorIb7NonZeroIiEPilEENS0_5tupleIJPlS6_EEENSJ_IJSD_SD_EEES6_SK_JS6_EEE10hipError_tPvRmT3_T4_T5_T6_T7_T9_mT8_P12ihipStream_tbDpT10_ENKUlT_T0_E_clISt17integral_constantIbLb1EES16_EEDaS11_S12_EUlS11_E_NS1_11comp_targetILNS1_3genE4ELNS1_11target_archE910ELNS1_3gpuE8ELNS1_3repE0EEENS1_30default_config_static_selectorELNS0_4arch9wavefront6targetE1EEEvT1_.private_seg_size, 0
	.set _ZN7rocprim17ROCPRIM_400000_NS6detail17trampoline_kernelINS0_14default_configENS1_25partition_config_selectorILNS1_17partition_subalgoE5ElNS0_10empty_typeEbEEZZNS1_14partition_implILS5_5ELb0ES3_mN6hipcub16HIPCUB_304000_NS21CountingInputIteratorIllEEPS6_NSA_22TransformInputIteratorIb7NonZeroIiEPilEENS0_5tupleIJPlS6_EEENSJ_IJSD_SD_EEES6_SK_JS6_EEE10hipError_tPvRmT3_T4_T5_T6_T7_T9_mT8_P12ihipStream_tbDpT10_ENKUlT_T0_E_clISt17integral_constantIbLb1EES16_EEDaS11_S12_EUlS11_E_NS1_11comp_targetILNS1_3genE4ELNS1_11target_archE910ELNS1_3gpuE8ELNS1_3repE0EEENS1_30default_config_static_selectorELNS0_4arch9wavefront6targetE1EEEvT1_.uses_vcc, 0
	.set _ZN7rocprim17ROCPRIM_400000_NS6detail17trampoline_kernelINS0_14default_configENS1_25partition_config_selectorILNS1_17partition_subalgoE5ElNS0_10empty_typeEbEEZZNS1_14partition_implILS5_5ELb0ES3_mN6hipcub16HIPCUB_304000_NS21CountingInputIteratorIllEEPS6_NSA_22TransformInputIteratorIb7NonZeroIiEPilEENS0_5tupleIJPlS6_EEENSJ_IJSD_SD_EEES6_SK_JS6_EEE10hipError_tPvRmT3_T4_T5_T6_T7_T9_mT8_P12ihipStream_tbDpT10_ENKUlT_T0_E_clISt17integral_constantIbLb1EES16_EEDaS11_S12_EUlS11_E_NS1_11comp_targetILNS1_3genE4ELNS1_11target_archE910ELNS1_3gpuE8ELNS1_3repE0EEENS1_30default_config_static_selectorELNS0_4arch9wavefront6targetE1EEEvT1_.uses_flat_scratch, 0
	.set _ZN7rocprim17ROCPRIM_400000_NS6detail17trampoline_kernelINS0_14default_configENS1_25partition_config_selectorILNS1_17partition_subalgoE5ElNS0_10empty_typeEbEEZZNS1_14partition_implILS5_5ELb0ES3_mN6hipcub16HIPCUB_304000_NS21CountingInputIteratorIllEEPS6_NSA_22TransformInputIteratorIb7NonZeroIiEPilEENS0_5tupleIJPlS6_EEENSJ_IJSD_SD_EEES6_SK_JS6_EEE10hipError_tPvRmT3_T4_T5_T6_T7_T9_mT8_P12ihipStream_tbDpT10_ENKUlT_T0_E_clISt17integral_constantIbLb1EES16_EEDaS11_S12_EUlS11_E_NS1_11comp_targetILNS1_3genE4ELNS1_11target_archE910ELNS1_3gpuE8ELNS1_3repE0EEENS1_30default_config_static_selectorELNS0_4arch9wavefront6targetE1EEEvT1_.has_dyn_sized_stack, 0
	.set _ZN7rocprim17ROCPRIM_400000_NS6detail17trampoline_kernelINS0_14default_configENS1_25partition_config_selectorILNS1_17partition_subalgoE5ElNS0_10empty_typeEbEEZZNS1_14partition_implILS5_5ELb0ES3_mN6hipcub16HIPCUB_304000_NS21CountingInputIteratorIllEEPS6_NSA_22TransformInputIteratorIb7NonZeroIiEPilEENS0_5tupleIJPlS6_EEENSJ_IJSD_SD_EEES6_SK_JS6_EEE10hipError_tPvRmT3_T4_T5_T6_T7_T9_mT8_P12ihipStream_tbDpT10_ENKUlT_T0_E_clISt17integral_constantIbLb1EES16_EEDaS11_S12_EUlS11_E_NS1_11comp_targetILNS1_3genE4ELNS1_11target_archE910ELNS1_3gpuE8ELNS1_3repE0EEENS1_30default_config_static_selectorELNS0_4arch9wavefront6targetE1EEEvT1_.has_recursion, 0
	.set _ZN7rocprim17ROCPRIM_400000_NS6detail17trampoline_kernelINS0_14default_configENS1_25partition_config_selectorILNS1_17partition_subalgoE5ElNS0_10empty_typeEbEEZZNS1_14partition_implILS5_5ELb0ES3_mN6hipcub16HIPCUB_304000_NS21CountingInputIteratorIllEEPS6_NSA_22TransformInputIteratorIb7NonZeroIiEPilEENS0_5tupleIJPlS6_EEENSJ_IJSD_SD_EEES6_SK_JS6_EEE10hipError_tPvRmT3_T4_T5_T6_T7_T9_mT8_P12ihipStream_tbDpT10_ENKUlT_T0_E_clISt17integral_constantIbLb1EES16_EEDaS11_S12_EUlS11_E_NS1_11comp_targetILNS1_3genE4ELNS1_11target_archE910ELNS1_3gpuE8ELNS1_3repE0EEENS1_30default_config_static_selectorELNS0_4arch9wavefront6targetE1EEEvT1_.has_indirect_call, 0
	.section	.AMDGPU.csdata,"",@progbits
; Kernel info:
; codeLenInByte = 0
; TotalNumSgprs: 6
; NumVgprs: 0
; NumAgprs: 0
; TotalNumVgprs: 0
; ScratchSize: 0
; MemoryBound: 0
; FloatMode: 240
; IeeeMode: 1
; LDSByteSize: 0 bytes/workgroup (compile time only)
; SGPRBlocks: 0
; VGPRBlocks: 0
; NumSGPRsForWavesPerEU: 6
; NumVGPRsForWavesPerEU: 1
; AccumOffset: 4
; Occupancy: 8
; WaveLimiterHint : 0
; COMPUTE_PGM_RSRC2:SCRATCH_EN: 0
; COMPUTE_PGM_RSRC2:USER_SGPR: 2
; COMPUTE_PGM_RSRC2:TRAP_HANDLER: 0
; COMPUTE_PGM_RSRC2:TGID_X_EN: 1
; COMPUTE_PGM_RSRC2:TGID_Y_EN: 0
; COMPUTE_PGM_RSRC2:TGID_Z_EN: 0
; COMPUTE_PGM_RSRC2:TIDIG_COMP_CNT: 0
; COMPUTE_PGM_RSRC3_GFX90A:ACCUM_OFFSET: 0
; COMPUTE_PGM_RSRC3_GFX90A:TG_SPLIT: 0
	.section	.text._ZN7rocprim17ROCPRIM_400000_NS6detail17trampoline_kernelINS0_14default_configENS1_25partition_config_selectorILNS1_17partition_subalgoE5ElNS0_10empty_typeEbEEZZNS1_14partition_implILS5_5ELb0ES3_mN6hipcub16HIPCUB_304000_NS21CountingInputIteratorIllEEPS6_NSA_22TransformInputIteratorIb7NonZeroIiEPilEENS0_5tupleIJPlS6_EEENSJ_IJSD_SD_EEES6_SK_JS6_EEE10hipError_tPvRmT3_T4_T5_T6_T7_T9_mT8_P12ihipStream_tbDpT10_ENKUlT_T0_E_clISt17integral_constantIbLb1EES16_EEDaS11_S12_EUlS11_E_NS1_11comp_targetILNS1_3genE3ELNS1_11target_archE908ELNS1_3gpuE7ELNS1_3repE0EEENS1_30default_config_static_selectorELNS0_4arch9wavefront6targetE1EEEvT1_,"axG",@progbits,_ZN7rocprim17ROCPRIM_400000_NS6detail17trampoline_kernelINS0_14default_configENS1_25partition_config_selectorILNS1_17partition_subalgoE5ElNS0_10empty_typeEbEEZZNS1_14partition_implILS5_5ELb0ES3_mN6hipcub16HIPCUB_304000_NS21CountingInputIteratorIllEEPS6_NSA_22TransformInputIteratorIb7NonZeroIiEPilEENS0_5tupleIJPlS6_EEENSJ_IJSD_SD_EEES6_SK_JS6_EEE10hipError_tPvRmT3_T4_T5_T6_T7_T9_mT8_P12ihipStream_tbDpT10_ENKUlT_T0_E_clISt17integral_constantIbLb1EES16_EEDaS11_S12_EUlS11_E_NS1_11comp_targetILNS1_3genE3ELNS1_11target_archE908ELNS1_3gpuE7ELNS1_3repE0EEENS1_30default_config_static_selectorELNS0_4arch9wavefront6targetE1EEEvT1_,comdat
	.protected	_ZN7rocprim17ROCPRIM_400000_NS6detail17trampoline_kernelINS0_14default_configENS1_25partition_config_selectorILNS1_17partition_subalgoE5ElNS0_10empty_typeEbEEZZNS1_14partition_implILS5_5ELb0ES3_mN6hipcub16HIPCUB_304000_NS21CountingInputIteratorIllEEPS6_NSA_22TransformInputIteratorIb7NonZeroIiEPilEENS0_5tupleIJPlS6_EEENSJ_IJSD_SD_EEES6_SK_JS6_EEE10hipError_tPvRmT3_T4_T5_T6_T7_T9_mT8_P12ihipStream_tbDpT10_ENKUlT_T0_E_clISt17integral_constantIbLb1EES16_EEDaS11_S12_EUlS11_E_NS1_11comp_targetILNS1_3genE3ELNS1_11target_archE908ELNS1_3gpuE7ELNS1_3repE0EEENS1_30default_config_static_selectorELNS0_4arch9wavefront6targetE1EEEvT1_ ; -- Begin function _ZN7rocprim17ROCPRIM_400000_NS6detail17trampoline_kernelINS0_14default_configENS1_25partition_config_selectorILNS1_17partition_subalgoE5ElNS0_10empty_typeEbEEZZNS1_14partition_implILS5_5ELb0ES3_mN6hipcub16HIPCUB_304000_NS21CountingInputIteratorIllEEPS6_NSA_22TransformInputIteratorIb7NonZeroIiEPilEENS0_5tupleIJPlS6_EEENSJ_IJSD_SD_EEES6_SK_JS6_EEE10hipError_tPvRmT3_T4_T5_T6_T7_T9_mT8_P12ihipStream_tbDpT10_ENKUlT_T0_E_clISt17integral_constantIbLb1EES16_EEDaS11_S12_EUlS11_E_NS1_11comp_targetILNS1_3genE3ELNS1_11target_archE908ELNS1_3gpuE7ELNS1_3repE0EEENS1_30default_config_static_selectorELNS0_4arch9wavefront6targetE1EEEvT1_
	.globl	_ZN7rocprim17ROCPRIM_400000_NS6detail17trampoline_kernelINS0_14default_configENS1_25partition_config_selectorILNS1_17partition_subalgoE5ElNS0_10empty_typeEbEEZZNS1_14partition_implILS5_5ELb0ES3_mN6hipcub16HIPCUB_304000_NS21CountingInputIteratorIllEEPS6_NSA_22TransformInputIteratorIb7NonZeroIiEPilEENS0_5tupleIJPlS6_EEENSJ_IJSD_SD_EEES6_SK_JS6_EEE10hipError_tPvRmT3_T4_T5_T6_T7_T9_mT8_P12ihipStream_tbDpT10_ENKUlT_T0_E_clISt17integral_constantIbLb1EES16_EEDaS11_S12_EUlS11_E_NS1_11comp_targetILNS1_3genE3ELNS1_11target_archE908ELNS1_3gpuE7ELNS1_3repE0EEENS1_30default_config_static_selectorELNS0_4arch9wavefront6targetE1EEEvT1_
	.p2align	8
	.type	_ZN7rocprim17ROCPRIM_400000_NS6detail17trampoline_kernelINS0_14default_configENS1_25partition_config_selectorILNS1_17partition_subalgoE5ElNS0_10empty_typeEbEEZZNS1_14partition_implILS5_5ELb0ES3_mN6hipcub16HIPCUB_304000_NS21CountingInputIteratorIllEEPS6_NSA_22TransformInputIteratorIb7NonZeroIiEPilEENS0_5tupleIJPlS6_EEENSJ_IJSD_SD_EEES6_SK_JS6_EEE10hipError_tPvRmT3_T4_T5_T6_T7_T9_mT8_P12ihipStream_tbDpT10_ENKUlT_T0_E_clISt17integral_constantIbLb1EES16_EEDaS11_S12_EUlS11_E_NS1_11comp_targetILNS1_3genE3ELNS1_11target_archE908ELNS1_3gpuE7ELNS1_3repE0EEENS1_30default_config_static_selectorELNS0_4arch9wavefront6targetE1EEEvT1_,@function
_ZN7rocprim17ROCPRIM_400000_NS6detail17trampoline_kernelINS0_14default_configENS1_25partition_config_selectorILNS1_17partition_subalgoE5ElNS0_10empty_typeEbEEZZNS1_14partition_implILS5_5ELb0ES3_mN6hipcub16HIPCUB_304000_NS21CountingInputIteratorIllEEPS6_NSA_22TransformInputIteratorIb7NonZeroIiEPilEENS0_5tupleIJPlS6_EEENSJ_IJSD_SD_EEES6_SK_JS6_EEE10hipError_tPvRmT3_T4_T5_T6_T7_T9_mT8_P12ihipStream_tbDpT10_ENKUlT_T0_E_clISt17integral_constantIbLb1EES16_EEDaS11_S12_EUlS11_E_NS1_11comp_targetILNS1_3genE3ELNS1_11target_archE908ELNS1_3gpuE7ELNS1_3repE0EEENS1_30default_config_static_selectorELNS0_4arch9wavefront6targetE1EEEvT1_: ; @_ZN7rocprim17ROCPRIM_400000_NS6detail17trampoline_kernelINS0_14default_configENS1_25partition_config_selectorILNS1_17partition_subalgoE5ElNS0_10empty_typeEbEEZZNS1_14partition_implILS5_5ELb0ES3_mN6hipcub16HIPCUB_304000_NS21CountingInputIteratorIllEEPS6_NSA_22TransformInputIteratorIb7NonZeroIiEPilEENS0_5tupleIJPlS6_EEENSJ_IJSD_SD_EEES6_SK_JS6_EEE10hipError_tPvRmT3_T4_T5_T6_T7_T9_mT8_P12ihipStream_tbDpT10_ENKUlT_T0_E_clISt17integral_constantIbLb1EES16_EEDaS11_S12_EUlS11_E_NS1_11comp_targetILNS1_3genE3ELNS1_11target_archE908ELNS1_3gpuE7ELNS1_3repE0EEENS1_30default_config_static_selectorELNS0_4arch9wavefront6targetE1EEEvT1_
; %bb.0:
	.section	.rodata,"a",@progbits
	.p2align	6, 0x0
	.amdhsa_kernel _ZN7rocprim17ROCPRIM_400000_NS6detail17trampoline_kernelINS0_14default_configENS1_25partition_config_selectorILNS1_17partition_subalgoE5ElNS0_10empty_typeEbEEZZNS1_14partition_implILS5_5ELb0ES3_mN6hipcub16HIPCUB_304000_NS21CountingInputIteratorIllEEPS6_NSA_22TransformInputIteratorIb7NonZeroIiEPilEENS0_5tupleIJPlS6_EEENSJ_IJSD_SD_EEES6_SK_JS6_EEE10hipError_tPvRmT3_T4_T5_T6_T7_T9_mT8_P12ihipStream_tbDpT10_ENKUlT_T0_E_clISt17integral_constantIbLb1EES16_EEDaS11_S12_EUlS11_E_NS1_11comp_targetILNS1_3genE3ELNS1_11target_archE908ELNS1_3gpuE7ELNS1_3repE0EEENS1_30default_config_static_selectorELNS0_4arch9wavefront6targetE1EEEvT1_
		.amdhsa_group_segment_fixed_size 0
		.amdhsa_private_segment_fixed_size 0
		.amdhsa_kernarg_size 136
		.amdhsa_user_sgpr_count 2
		.amdhsa_user_sgpr_dispatch_ptr 0
		.amdhsa_user_sgpr_queue_ptr 0
		.amdhsa_user_sgpr_kernarg_segment_ptr 1
		.amdhsa_user_sgpr_dispatch_id 0
		.amdhsa_user_sgpr_kernarg_preload_length 0
		.amdhsa_user_sgpr_kernarg_preload_offset 0
		.amdhsa_user_sgpr_private_segment_size 0
		.amdhsa_uses_dynamic_stack 0
		.amdhsa_enable_private_segment 0
		.amdhsa_system_sgpr_workgroup_id_x 1
		.amdhsa_system_sgpr_workgroup_id_y 0
		.amdhsa_system_sgpr_workgroup_id_z 0
		.amdhsa_system_sgpr_workgroup_info 0
		.amdhsa_system_vgpr_workitem_id 0
		.amdhsa_next_free_vgpr 1
		.amdhsa_next_free_sgpr 0
		.amdhsa_accum_offset 4
		.amdhsa_reserve_vcc 0
		.amdhsa_float_round_mode_32 0
		.amdhsa_float_round_mode_16_64 0
		.amdhsa_float_denorm_mode_32 3
		.amdhsa_float_denorm_mode_16_64 3
		.amdhsa_dx10_clamp 1
		.amdhsa_ieee_mode 1
		.amdhsa_fp16_overflow 0
		.amdhsa_tg_split 0
		.amdhsa_exception_fp_ieee_invalid_op 0
		.amdhsa_exception_fp_denorm_src 0
		.amdhsa_exception_fp_ieee_div_zero 0
		.amdhsa_exception_fp_ieee_overflow 0
		.amdhsa_exception_fp_ieee_underflow 0
		.amdhsa_exception_fp_ieee_inexact 0
		.amdhsa_exception_int_div_zero 0
	.end_amdhsa_kernel
	.section	.text._ZN7rocprim17ROCPRIM_400000_NS6detail17trampoline_kernelINS0_14default_configENS1_25partition_config_selectorILNS1_17partition_subalgoE5ElNS0_10empty_typeEbEEZZNS1_14partition_implILS5_5ELb0ES3_mN6hipcub16HIPCUB_304000_NS21CountingInputIteratorIllEEPS6_NSA_22TransformInputIteratorIb7NonZeroIiEPilEENS0_5tupleIJPlS6_EEENSJ_IJSD_SD_EEES6_SK_JS6_EEE10hipError_tPvRmT3_T4_T5_T6_T7_T9_mT8_P12ihipStream_tbDpT10_ENKUlT_T0_E_clISt17integral_constantIbLb1EES16_EEDaS11_S12_EUlS11_E_NS1_11comp_targetILNS1_3genE3ELNS1_11target_archE908ELNS1_3gpuE7ELNS1_3repE0EEENS1_30default_config_static_selectorELNS0_4arch9wavefront6targetE1EEEvT1_,"axG",@progbits,_ZN7rocprim17ROCPRIM_400000_NS6detail17trampoline_kernelINS0_14default_configENS1_25partition_config_selectorILNS1_17partition_subalgoE5ElNS0_10empty_typeEbEEZZNS1_14partition_implILS5_5ELb0ES3_mN6hipcub16HIPCUB_304000_NS21CountingInputIteratorIllEEPS6_NSA_22TransformInputIteratorIb7NonZeroIiEPilEENS0_5tupleIJPlS6_EEENSJ_IJSD_SD_EEES6_SK_JS6_EEE10hipError_tPvRmT3_T4_T5_T6_T7_T9_mT8_P12ihipStream_tbDpT10_ENKUlT_T0_E_clISt17integral_constantIbLb1EES16_EEDaS11_S12_EUlS11_E_NS1_11comp_targetILNS1_3genE3ELNS1_11target_archE908ELNS1_3gpuE7ELNS1_3repE0EEENS1_30default_config_static_selectorELNS0_4arch9wavefront6targetE1EEEvT1_,comdat
.Lfunc_end196:
	.size	_ZN7rocprim17ROCPRIM_400000_NS6detail17trampoline_kernelINS0_14default_configENS1_25partition_config_selectorILNS1_17partition_subalgoE5ElNS0_10empty_typeEbEEZZNS1_14partition_implILS5_5ELb0ES3_mN6hipcub16HIPCUB_304000_NS21CountingInputIteratorIllEEPS6_NSA_22TransformInputIteratorIb7NonZeroIiEPilEENS0_5tupleIJPlS6_EEENSJ_IJSD_SD_EEES6_SK_JS6_EEE10hipError_tPvRmT3_T4_T5_T6_T7_T9_mT8_P12ihipStream_tbDpT10_ENKUlT_T0_E_clISt17integral_constantIbLb1EES16_EEDaS11_S12_EUlS11_E_NS1_11comp_targetILNS1_3genE3ELNS1_11target_archE908ELNS1_3gpuE7ELNS1_3repE0EEENS1_30default_config_static_selectorELNS0_4arch9wavefront6targetE1EEEvT1_, .Lfunc_end196-_ZN7rocprim17ROCPRIM_400000_NS6detail17trampoline_kernelINS0_14default_configENS1_25partition_config_selectorILNS1_17partition_subalgoE5ElNS0_10empty_typeEbEEZZNS1_14partition_implILS5_5ELb0ES3_mN6hipcub16HIPCUB_304000_NS21CountingInputIteratorIllEEPS6_NSA_22TransformInputIteratorIb7NonZeroIiEPilEENS0_5tupleIJPlS6_EEENSJ_IJSD_SD_EEES6_SK_JS6_EEE10hipError_tPvRmT3_T4_T5_T6_T7_T9_mT8_P12ihipStream_tbDpT10_ENKUlT_T0_E_clISt17integral_constantIbLb1EES16_EEDaS11_S12_EUlS11_E_NS1_11comp_targetILNS1_3genE3ELNS1_11target_archE908ELNS1_3gpuE7ELNS1_3repE0EEENS1_30default_config_static_selectorELNS0_4arch9wavefront6targetE1EEEvT1_
                                        ; -- End function
	.set _ZN7rocprim17ROCPRIM_400000_NS6detail17trampoline_kernelINS0_14default_configENS1_25partition_config_selectorILNS1_17partition_subalgoE5ElNS0_10empty_typeEbEEZZNS1_14partition_implILS5_5ELb0ES3_mN6hipcub16HIPCUB_304000_NS21CountingInputIteratorIllEEPS6_NSA_22TransformInputIteratorIb7NonZeroIiEPilEENS0_5tupleIJPlS6_EEENSJ_IJSD_SD_EEES6_SK_JS6_EEE10hipError_tPvRmT3_T4_T5_T6_T7_T9_mT8_P12ihipStream_tbDpT10_ENKUlT_T0_E_clISt17integral_constantIbLb1EES16_EEDaS11_S12_EUlS11_E_NS1_11comp_targetILNS1_3genE3ELNS1_11target_archE908ELNS1_3gpuE7ELNS1_3repE0EEENS1_30default_config_static_selectorELNS0_4arch9wavefront6targetE1EEEvT1_.num_vgpr, 0
	.set _ZN7rocprim17ROCPRIM_400000_NS6detail17trampoline_kernelINS0_14default_configENS1_25partition_config_selectorILNS1_17partition_subalgoE5ElNS0_10empty_typeEbEEZZNS1_14partition_implILS5_5ELb0ES3_mN6hipcub16HIPCUB_304000_NS21CountingInputIteratorIllEEPS6_NSA_22TransformInputIteratorIb7NonZeroIiEPilEENS0_5tupleIJPlS6_EEENSJ_IJSD_SD_EEES6_SK_JS6_EEE10hipError_tPvRmT3_T4_T5_T6_T7_T9_mT8_P12ihipStream_tbDpT10_ENKUlT_T0_E_clISt17integral_constantIbLb1EES16_EEDaS11_S12_EUlS11_E_NS1_11comp_targetILNS1_3genE3ELNS1_11target_archE908ELNS1_3gpuE7ELNS1_3repE0EEENS1_30default_config_static_selectorELNS0_4arch9wavefront6targetE1EEEvT1_.num_agpr, 0
	.set _ZN7rocprim17ROCPRIM_400000_NS6detail17trampoline_kernelINS0_14default_configENS1_25partition_config_selectorILNS1_17partition_subalgoE5ElNS0_10empty_typeEbEEZZNS1_14partition_implILS5_5ELb0ES3_mN6hipcub16HIPCUB_304000_NS21CountingInputIteratorIllEEPS6_NSA_22TransformInputIteratorIb7NonZeroIiEPilEENS0_5tupleIJPlS6_EEENSJ_IJSD_SD_EEES6_SK_JS6_EEE10hipError_tPvRmT3_T4_T5_T6_T7_T9_mT8_P12ihipStream_tbDpT10_ENKUlT_T0_E_clISt17integral_constantIbLb1EES16_EEDaS11_S12_EUlS11_E_NS1_11comp_targetILNS1_3genE3ELNS1_11target_archE908ELNS1_3gpuE7ELNS1_3repE0EEENS1_30default_config_static_selectorELNS0_4arch9wavefront6targetE1EEEvT1_.numbered_sgpr, 0
	.set _ZN7rocprim17ROCPRIM_400000_NS6detail17trampoline_kernelINS0_14default_configENS1_25partition_config_selectorILNS1_17partition_subalgoE5ElNS0_10empty_typeEbEEZZNS1_14partition_implILS5_5ELb0ES3_mN6hipcub16HIPCUB_304000_NS21CountingInputIteratorIllEEPS6_NSA_22TransformInputIteratorIb7NonZeroIiEPilEENS0_5tupleIJPlS6_EEENSJ_IJSD_SD_EEES6_SK_JS6_EEE10hipError_tPvRmT3_T4_T5_T6_T7_T9_mT8_P12ihipStream_tbDpT10_ENKUlT_T0_E_clISt17integral_constantIbLb1EES16_EEDaS11_S12_EUlS11_E_NS1_11comp_targetILNS1_3genE3ELNS1_11target_archE908ELNS1_3gpuE7ELNS1_3repE0EEENS1_30default_config_static_selectorELNS0_4arch9wavefront6targetE1EEEvT1_.num_named_barrier, 0
	.set _ZN7rocprim17ROCPRIM_400000_NS6detail17trampoline_kernelINS0_14default_configENS1_25partition_config_selectorILNS1_17partition_subalgoE5ElNS0_10empty_typeEbEEZZNS1_14partition_implILS5_5ELb0ES3_mN6hipcub16HIPCUB_304000_NS21CountingInputIteratorIllEEPS6_NSA_22TransformInputIteratorIb7NonZeroIiEPilEENS0_5tupleIJPlS6_EEENSJ_IJSD_SD_EEES6_SK_JS6_EEE10hipError_tPvRmT3_T4_T5_T6_T7_T9_mT8_P12ihipStream_tbDpT10_ENKUlT_T0_E_clISt17integral_constantIbLb1EES16_EEDaS11_S12_EUlS11_E_NS1_11comp_targetILNS1_3genE3ELNS1_11target_archE908ELNS1_3gpuE7ELNS1_3repE0EEENS1_30default_config_static_selectorELNS0_4arch9wavefront6targetE1EEEvT1_.private_seg_size, 0
	.set _ZN7rocprim17ROCPRIM_400000_NS6detail17trampoline_kernelINS0_14default_configENS1_25partition_config_selectorILNS1_17partition_subalgoE5ElNS0_10empty_typeEbEEZZNS1_14partition_implILS5_5ELb0ES3_mN6hipcub16HIPCUB_304000_NS21CountingInputIteratorIllEEPS6_NSA_22TransformInputIteratorIb7NonZeroIiEPilEENS0_5tupleIJPlS6_EEENSJ_IJSD_SD_EEES6_SK_JS6_EEE10hipError_tPvRmT3_T4_T5_T6_T7_T9_mT8_P12ihipStream_tbDpT10_ENKUlT_T0_E_clISt17integral_constantIbLb1EES16_EEDaS11_S12_EUlS11_E_NS1_11comp_targetILNS1_3genE3ELNS1_11target_archE908ELNS1_3gpuE7ELNS1_3repE0EEENS1_30default_config_static_selectorELNS0_4arch9wavefront6targetE1EEEvT1_.uses_vcc, 0
	.set _ZN7rocprim17ROCPRIM_400000_NS6detail17trampoline_kernelINS0_14default_configENS1_25partition_config_selectorILNS1_17partition_subalgoE5ElNS0_10empty_typeEbEEZZNS1_14partition_implILS5_5ELb0ES3_mN6hipcub16HIPCUB_304000_NS21CountingInputIteratorIllEEPS6_NSA_22TransformInputIteratorIb7NonZeroIiEPilEENS0_5tupleIJPlS6_EEENSJ_IJSD_SD_EEES6_SK_JS6_EEE10hipError_tPvRmT3_T4_T5_T6_T7_T9_mT8_P12ihipStream_tbDpT10_ENKUlT_T0_E_clISt17integral_constantIbLb1EES16_EEDaS11_S12_EUlS11_E_NS1_11comp_targetILNS1_3genE3ELNS1_11target_archE908ELNS1_3gpuE7ELNS1_3repE0EEENS1_30default_config_static_selectorELNS0_4arch9wavefront6targetE1EEEvT1_.uses_flat_scratch, 0
	.set _ZN7rocprim17ROCPRIM_400000_NS6detail17trampoline_kernelINS0_14default_configENS1_25partition_config_selectorILNS1_17partition_subalgoE5ElNS0_10empty_typeEbEEZZNS1_14partition_implILS5_5ELb0ES3_mN6hipcub16HIPCUB_304000_NS21CountingInputIteratorIllEEPS6_NSA_22TransformInputIteratorIb7NonZeroIiEPilEENS0_5tupleIJPlS6_EEENSJ_IJSD_SD_EEES6_SK_JS6_EEE10hipError_tPvRmT3_T4_T5_T6_T7_T9_mT8_P12ihipStream_tbDpT10_ENKUlT_T0_E_clISt17integral_constantIbLb1EES16_EEDaS11_S12_EUlS11_E_NS1_11comp_targetILNS1_3genE3ELNS1_11target_archE908ELNS1_3gpuE7ELNS1_3repE0EEENS1_30default_config_static_selectorELNS0_4arch9wavefront6targetE1EEEvT1_.has_dyn_sized_stack, 0
	.set _ZN7rocprim17ROCPRIM_400000_NS6detail17trampoline_kernelINS0_14default_configENS1_25partition_config_selectorILNS1_17partition_subalgoE5ElNS0_10empty_typeEbEEZZNS1_14partition_implILS5_5ELb0ES3_mN6hipcub16HIPCUB_304000_NS21CountingInputIteratorIllEEPS6_NSA_22TransformInputIteratorIb7NonZeroIiEPilEENS0_5tupleIJPlS6_EEENSJ_IJSD_SD_EEES6_SK_JS6_EEE10hipError_tPvRmT3_T4_T5_T6_T7_T9_mT8_P12ihipStream_tbDpT10_ENKUlT_T0_E_clISt17integral_constantIbLb1EES16_EEDaS11_S12_EUlS11_E_NS1_11comp_targetILNS1_3genE3ELNS1_11target_archE908ELNS1_3gpuE7ELNS1_3repE0EEENS1_30default_config_static_selectorELNS0_4arch9wavefront6targetE1EEEvT1_.has_recursion, 0
	.set _ZN7rocprim17ROCPRIM_400000_NS6detail17trampoline_kernelINS0_14default_configENS1_25partition_config_selectorILNS1_17partition_subalgoE5ElNS0_10empty_typeEbEEZZNS1_14partition_implILS5_5ELb0ES3_mN6hipcub16HIPCUB_304000_NS21CountingInputIteratorIllEEPS6_NSA_22TransformInputIteratorIb7NonZeroIiEPilEENS0_5tupleIJPlS6_EEENSJ_IJSD_SD_EEES6_SK_JS6_EEE10hipError_tPvRmT3_T4_T5_T6_T7_T9_mT8_P12ihipStream_tbDpT10_ENKUlT_T0_E_clISt17integral_constantIbLb1EES16_EEDaS11_S12_EUlS11_E_NS1_11comp_targetILNS1_3genE3ELNS1_11target_archE908ELNS1_3gpuE7ELNS1_3repE0EEENS1_30default_config_static_selectorELNS0_4arch9wavefront6targetE1EEEvT1_.has_indirect_call, 0
	.section	.AMDGPU.csdata,"",@progbits
; Kernel info:
; codeLenInByte = 0
; TotalNumSgprs: 6
; NumVgprs: 0
; NumAgprs: 0
; TotalNumVgprs: 0
; ScratchSize: 0
; MemoryBound: 0
; FloatMode: 240
; IeeeMode: 1
; LDSByteSize: 0 bytes/workgroup (compile time only)
; SGPRBlocks: 0
; VGPRBlocks: 0
; NumSGPRsForWavesPerEU: 6
; NumVGPRsForWavesPerEU: 1
; AccumOffset: 4
; Occupancy: 8
; WaveLimiterHint : 0
; COMPUTE_PGM_RSRC2:SCRATCH_EN: 0
; COMPUTE_PGM_RSRC2:USER_SGPR: 2
; COMPUTE_PGM_RSRC2:TRAP_HANDLER: 0
; COMPUTE_PGM_RSRC2:TGID_X_EN: 1
; COMPUTE_PGM_RSRC2:TGID_Y_EN: 0
; COMPUTE_PGM_RSRC2:TGID_Z_EN: 0
; COMPUTE_PGM_RSRC2:TIDIG_COMP_CNT: 0
; COMPUTE_PGM_RSRC3_GFX90A:ACCUM_OFFSET: 0
; COMPUTE_PGM_RSRC3_GFX90A:TG_SPLIT: 0
	.section	.text._ZN7rocprim17ROCPRIM_400000_NS6detail17trampoline_kernelINS0_14default_configENS1_25partition_config_selectorILNS1_17partition_subalgoE5ElNS0_10empty_typeEbEEZZNS1_14partition_implILS5_5ELb0ES3_mN6hipcub16HIPCUB_304000_NS21CountingInputIteratorIllEEPS6_NSA_22TransformInputIteratorIb7NonZeroIiEPilEENS0_5tupleIJPlS6_EEENSJ_IJSD_SD_EEES6_SK_JS6_EEE10hipError_tPvRmT3_T4_T5_T6_T7_T9_mT8_P12ihipStream_tbDpT10_ENKUlT_T0_E_clISt17integral_constantIbLb1EES16_EEDaS11_S12_EUlS11_E_NS1_11comp_targetILNS1_3genE2ELNS1_11target_archE906ELNS1_3gpuE6ELNS1_3repE0EEENS1_30default_config_static_selectorELNS0_4arch9wavefront6targetE1EEEvT1_,"axG",@progbits,_ZN7rocprim17ROCPRIM_400000_NS6detail17trampoline_kernelINS0_14default_configENS1_25partition_config_selectorILNS1_17partition_subalgoE5ElNS0_10empty_typeEbEEZZNS1_14partition_implILS5_5ELb0ES3_mN6hipcub16HIPCUB_304000_NS21CountingInputIteratorIllEEPS6_NSA_22TransformInputIteratorIb7NonZeroIiEPilEENS0_5tupleIJPlS6_EEENSJ_IJSD_SD_EEES6_SK_JS6_EEE10hipError_tPvRmT3_T4_T5_T6_T7_T9_mT8_P12ihipStream_tbDpT10_ENKUlT_T0_E_clISt17integral_constantIbLb1EES16_EEDaS11_S12_EUlS11_E_NS1_11comp_targetILNS1_3genE2ELNS1_11target_archE906ELNS1_3gpuE6ELNS1_3repE0EEENS1_30default_config_static_selectorELNS0_4arch9wavefront6targetE1EEEvT1_,comdat
	.protected	_ZN7rocprim17ROCPRIM_400000_NS6detail17trampoline_kernelINS0_14default_configENS1_25partition_config_selectorILNS1_17partition_subalgoE5ElNS0_10empty_typeEbEEZZNS1_14partition_implILS5_5ELb0ES3_mN6hipcub16HIPCUB_304000_NS21CountingInputIteratorIllEEPS6_NSA_22TransformInputIteratorIb7NonZeroIiEPilEENS0_5tupleIJPlS6_EEENSJ_IJSD_SD_EEES6_SK_JS6_EEE10hipError_tPvRmT3_T4_T5_T6_T7_T9_mT8_P12ihipStream_tbDpT10_ENKUlT_T0_E_clISt17integral_constantIbLb1EES16_EEDaS11_S12_EUlS11_E_NS1_11comp_targetILNS1_3genE2ELNS1_11target_archE906ELNS1_3gpuE6ELNS1_3repE0EEENS1_30default_config_static_selectorELNS0_4arch9wavefront6targetE1EEEvT1_ ; -- Begin function _ZN7rocprim17ROCPRIM_400000_NS6detail17trampoline_kernelINS0_14default_configENS1_25partition_config_selectorILNS1_17partition_subalgoE5ElNS0_10empty_typeEbEEZZNS1_14partition_implILS5_5ELb0ES3_mN6hipcub16HIPCUB_304000_NS21CountingInputIteratorIllEEPS6_NSA_22TransformInputIteratorIb7NonZeroIiEPilEENS0_5tupleIJPlS6_EEENSJ_IJSD_SD_EEES6_SK_JS6_EEE10hipError_tPvRmT3_T4_T5_T6_T7_T9_mT8_P12ihipStream_tbDpT10_ENKUlT_T0_E_clISt17integral_constantIbLb1EES16_EEDaS11_S12_EUlS11_E_NS1_11comp_targetILNS1_3genE2ELNS1_11target_archE906ELNS1_3gpuE6ELNS1_3repE0EEENS1_30default_config_static_selectorELNS0_4arch9wavefront6targetE1EEEvT1_
	.globl	_ZN7rocprim17ROCPRIM_400000_NS6detail17trampoline_kernelINS0_14default_configENS1_25partition_config_selectorILNS1_17partition_subalgoE5ElNS0_10empty_typeEbEEZZNS1_14partition_implILS5_5ELb0ES3_mN6hipcub16HIPCUB_304000_NS21CountingInputIteratorIllEEPS6_NSA_22TransformInputIteratorIb7NonZeroIiEPilEENS0_5tupleIJPlS6_EEENSJ_IJSD_SD_EEES6_SK_JS6_EEE10hipError_tPvRmT3_T4_T5_T6_T7_T9_mT8_P12ihipStream_tbDpT10_ENKUlT_T0_E_clISt17integral_constantIbLb1EES16_EEDaS11_S12_EUlS11_E_NS1_11comp_targetILNS1_3genE2ELNS1_11target_archE906ELNS1_3gpuE6ELNS1_3repE0EEENS1_30default_config_static_selectorELNS0_4arch9wavefront6targetE1EEEvT1_
	.p2align	8
	.type	_ZN7rocprim17ROCPRIM_400000_NS6detail17trampoline_kernelINS0_14default_configENS1_25partition_config_selectorILNS1_17partition_subalgoE5ElNS0_10empty_typeEbEEZZNS1_14partition_implILS5_5ELb0ES3_mN6hipcub16HIPCUB_304000_NS21CountingInputIteratorIllEEPS6_NSA_22TransformInputIteratorIb7NonZeroIiEPilEENS0_5tupleIJPlS6_EEENSJ_IJSD_SD_EEES6_SK_JS6_EEE10hipError_tPvRmT3_T4_T5_T6_T7_T9_mT8_P12ihipStream_tbDpT10_ENKUlT_T0_E_clISt17integral_constantIbLb1EES16_EEDaS11_S12_EUlS11_E_NS1_11comp_targetILNS1_3genE2ELNS1_11target_archE906ELNS1_3gpuE6ELNS1_3repE0EEENS1_30default_config_static_selectorELNS0_4arch9wavefront6targetE1EEEvT1_,@function
_ZN7rocprim17ROCPRIM_400000_NS6detail17trampoline_kernelINS0_14default_configENS1_25partition_config_selectorILNS1_17partition_subalgoE5ElNS0_10empty_typeEbEEZZNS1_14partition_implILS5_5ELb0ES3_mN6hipcub16HIPCUB_304000_NS21CountingInputIteratorIllEEPS6_NSA_22TransformInputIteratorIb7NonZeroIiEPilEENS0_5tupleIJPlS6_EEENSJ_IJSD_SD_EEES6_SK_JS6_EEE10hipError_tPvRmT3_T4_T5_T6_T7_T9_mT8_P12ihipStream_tbDpT10_ENKUlT_T0_E_clISt17integral_constantIbLb1EES16_EEDaS11_S12_EUlS11_E_NS1_11comp_targetILNS1_3genE2ELNS1_11target_archE906ELNS1_3gpuE6ELNS1_3repE0EEENS1_30default_config_static_selectorELNS0_4arch9wavefront6targetE1EEEvT1_: ; @_ZN7rocprim17ROCPRIM_400000_NS6detail17trampoline_kernelINS0_14default_configENS1_25partition_config_selectorILNS1_17partition_subalgoE5ElNS0_10empty_typeEbEEZZNS1_14partition_implILS5_5ELb0ES3_mN6hipcub16HIPCUB_304000_NS21CountingInputIteratorIllEEPS6_NSA_22TransformInputIteratorIb7NonZeroIiEPilEENS0_5tupleIJPlS6_EEENSJ_IJSD_SD_EEES6_SK_JS6_EEE10hipError_tPvRmT3_T4_T5_T6_T7_T9_mT8_P12ihipStream_tbDpT10_ENKUlT_T0_E_clISt17integral_constantIbLb1EES16_EEDaS11_S12_EUlS11_E_NS1_11comp_targetILNS1_3genE2ELNS1_11target_archE906ELNS1_3gpuE6ELNS1_3repE0EEENS1_30default_config_static_selectorELNS0_4arch9wavefront6targetE1EEEvT1_
; %bb.0:
	.section	.rodata,"a",@progbits
	.p2align	6, 0x0
	.amdhsa_kernel _ZN7rocprim17ROCPRIM_400000_NS6detail17trampoline_kernelINS0_14default_configENS1_25partition_config_selectorILNS1_17partition_subalgoE5ElNS0_10empty_typeEbEEZZNS1_14partition_implILS5_5ELb0ES3_mN6hipcub16HIPCUB_304000_NS21CountingInputIteratorIllEEPS6_NSA_22TransformInputIteratorIb7NonZeroIiEPilEENS0_5tupleIJPlS6_EEENSJ_IJSD_SD_EEES6_SK_JS6_EEE10hipError_tPvRmT3_T4_T5_T6_T7_T9_mT8_P12ihipStream_tbDpT10_ENKUlT_T0_E_clISt17integral_constantIbLb1EES16_EEDaS11_S12_EUlS11_E_NS1_11comp_targetILNS1_3genE2ELNS1_11target_archE906ELNS1_3gpuE6ELNS1_3repE0EEENS1_30default_config_static_selectorELNS0_4arch9wavefront6targetE1EEEvT1_
		.amdhsa_group_segment_fixed_size 0
		.amdhsa_private_segment_fixed_size 0
		.amdhsa_kernarg_size 136
		.amdhsa_user_sgpr_count 2
		.amdhsa_user_sgpr_dispatch_ptr 0
		.amdhsa_user_sgpr_queue_ptr 0
		.amdhsa_user_sgpr_kernarg_segment_ptr 1
		.amdhsa_user_sgpr_dispatch_id 0
		.amdhsa_user_sgpr_kernarg_preload_length 0
		.amdhsa_user_sgpr_kernarg_preload_offset 0
		.amdhsa_user_sgpr_private_segment_size 0
		.amdhsa_uses_dynamic_stack 0
		.amdhsa_enable_private_segment 0
		.amdhsa_system_sgpr_workgroup_id_x 1
		.amdhsa_system_sgpr_workgroup_id_y 0
		.amdhsa_system_sgpr_workgroup_id_z 0
		.amdhsa_system_sgpr_workgroup_info 0
		.amdhsa_system_vgpr_workitem_id 0
		.amdhsa_next_free_vgpr 1
		.amdhsa_next_free_sgpr 0
		.amdhsa_accum_offset 4
		.amdhsa_reserve_vcc 0
		.amdhsa_float_round_mode_32 0
		.amdhsa_float_round_mode_16_64 0
		.amdhsa_float_denorm_mode_32 3
		.amdhsa_float_denorm_mode_16_64 3
		.amdhsa_dx10_clamp 1
		.amdhsa_ieee_mode 1
		.amdhsa_fp16_overflow 0
		.amdhsa_tg_split 0
		.amdhsa_exception_fp_ieee_invalid_op 0
		.amdhsa_exception_fp_denorm_src 0
		.amdhsa_exception_fp_ieee_div_zero 0
		.amdhsa_exception_fp_ieee_overflow 0
		.amdhsa_exception_fp_ieee_underflow 0
		.amdhsa_exception_fp_ieee_inexact 0
		.amdhsa_exception_int_div_zero 0
	.end_amdhsa_kernel
	.section	.text._ZN7rocprim17ROCPRIM_400000_NS6detail17trampoline_kernelINS0_14default_configENS1_25partition_config_selectorILNS1_17partition_subalgoE5ElNS0_10empty_typeEbEEZZNS1_14partition_implILS5_5ELb0ES3_mN6hipcub16HIPCUB_304000_NS21CountingInputIteratorIllEEPS6_NSA_22TransformInputIteratorIb7NonZeroIiEPilEENS0_5tupleIJPlS6_EEENSJ_IJSD_SD_EEES6_SK_JS6_EEE10hipError_tPvRmT3_T4_T5_T6_T7_T9_mT8_P12ihipStream_tbDpT10_ENKUlT_T0_E_clISt17integral_constantIbLb1EES16_EEDaS11_S12_EUlS11_E_NS1_11comp_targetILNS1_3genE2ELNS1_11target_archE906ELNS1_3gpuE6ELNS1_3repE0EEENS1_30default_config_static_selectorELNS0_4arch9wavefront6targetE1EEEvT1_,"axG",@progbits,_ZN7rocprim17ROCPRIM_400000_NS6detail17trampoline_kernelINS0_14default_configENS1_25partition_config_selectorILNS1_17partition_subalgoE5ElNS0_10empty_typeEbEEZZNS1_14partition_implILS5_5ELb0ES3_mN6hipcub16HIPCUB_304000_NS21CountingInputIteratorIllEEPS6_NSA_22TransformInputIteratorIb7NonZeroIiEPilEENS0_5tupleIJPlS6_EEENSJ_IJSD_SD_EEES6_SK_JS6_EEE10hipError_tPvRmT3_T4_T5_T6_T7_T9_mT8_P12ihipStream_tbDpT10_ENKUlT_T0_E_clISt17integral_constantIbLb1EES16_EEDaS11_S12_EUlS11_E_NS1_11comp_targetILNS1_3genE2ELNS1_11target_archE906ELNS1_3gpuE6ELNS1_3repE0EEENS1_30default_config_static_selectorELNS0_4arch9wavefront6targetE1EEEvT1_,comdat
.Lfunc_end197:
	.size	_ZN7rocprim17ROCPRIM_400000_NS6detail17trampoline_kernelINS0_14default_configENS1_25partition_config_selectorILNS1_17partition_subalgoE5ElNS0_10empty_typeEbEEZZNS1_14partition_implILS5_5ELb0ES3_mN6hipcub16HIPCUB_304000_NS21CountingInputIteratorIllEEPS6_NSA_22TransformInputIteratorIb7NonZeroIiEPilEENS0_5tupleIJPlS6_EEENSJ_IJSD_SD_EEES6_SK_JS6_EEE10hipError_tPvRmT3_T4_T5_T6_T7_T9_mT8_P12ihipStream_tbDpT10_ENKUlT_T0_E_clISt17integral_constantIbLb1EES16_EEDaS11_S12_EUlS11_E_NS1_11comp_targetILNS1_3genE2ELNS1_11target_archE906ELNS1_3gpuE6ELNS1_3repE0EEENS1_30default_config_static_selectorELNS0_4arch9wavefront6targetE1EEEvT1_, .Lfunc_end197-_ZN7rocprim17ROCPRIM_400000_NS6detail17trampoline_kernelINS0_14default_configENS1_25partition_config_selectorILNS1_17partition_subalgoE5ElNS0_10empty_typeEbEEZZNS1_14partition_implILS5_5ELb0ES3_mN6hipcub16HIPCUB_304000_NS21CountingInputIteratorIllEEPS6_NSA_22TransformInputIteratorIb7NonZeroIiEPilEENS0_5tupleIJPlS6_EEENSJ_IJSD_SD_EEES6_SK_JS6_EEE10hipError_tPvRmT3_T4_T5_T6_T7_T9_mT8_P12ihipStream_tbDpT10_ENKUlT_T0_E_clISt17integral_constantIbLb1EES16_EEDaS11_S12_EUlS11_E_NS1_11comp_targetILNS1_3genE2ELNS1_11target_archE906ELNS1_3gpuE6ELNS1_3repE0EEENS1_30default_config_static_selectorELNS0_4arch9wavefront6targetE1EEEvT1_
                                        ; -- End function
	.set _ZN7rocprim17ROCPRIM_400000_NS6detail17trampoline_kernelINS0_14default_configENS1_25partition_config_selectorILNS1_17partition_subalgoE5ElNS0_10empty_typeEbEEZZNS1_14partition_implILS5_5ELb0ES3_mN6hipcub16HIPCUB_304000_NS21CountingInputIteratorIllEEPS6_NSA_22TransformInputIteratorIb7NonZeroIiEPilEENS0_5tupleIJPlS6_EEENSJ_IJSD_SD_EEES6_SK_JS6_EEE10hipError_tPvRmT3_T4_T5_T6_T7_T9_mT8_P12ihipStream_tbDpT10_ENKUlT_T0_E_clISt17integral_constantIbLb1EES16_EEDaS11_S12_EUlS11_E_NS1_11comp_targetILNS1_3genE2ELNS1_11target_archE906ELNS1_3gpuE6ELNS1_3repE0EEENS1_30default_config_static_selectorELNS0_4arch9wavefront6targetE1EEEvT1_.num_vgpr, 0
	.set _ZN7rocprim17ROCPRIM_400000_NS6detail17trampoline_kernelINS0_14default_configENS1_25partition_config_selectorILNS1_17partition_subalgoE5ElNS0_10empty_typeEbEEZZNS1_14partition_implILS5_5ELb0ES3_mN6hipcub16HIPCUB_304000_NS21CountingInputIteratorIllEEPS6_NSA_22TransformInputIteratorIb7NonZeroIiEPilEENS0_5tupleIJPlS6_EEENSJ_IJSD_SD_EEES6_SK_JS6_EEE10hipError_tPvRmT3_T4_T5_T6_T7_T9_mT8_P12ihipStream_tbDpT10_ENKUlT_T0_E_clISt17integral_constantIbLb1EES16_EEDaS11_S12_EUlS11_E_NS1_11comp_targetILNS1_3genE2ELNS1_11target_archE906ELNS1_3gpuE6ELNS1_3repE0EEENS1_30default_config_static_selectorELNS0_4arch9wavefront6targetE1EEEvT1_.num_agpr, 0
	.set _ZN7rocprim17ROCPRIM_400000_NS6detail17trampoline_kernelINS0_14default_configENS1_25partition_config_selectorILNS1_17partition_subalgoE5ElNS0_10empty_typeEbEEZZNS1_14partition_implILS5_5ELb0ES3_mN6hipcub16HIPCUB_304000_NS21CountingInputIteratorIllEEPS6_NSA_22TransformInputIteratorIb7NonZeroIiEPilEENS0_5tupleIJPlS6_EEENSJ_IJSD_SD_EEES6_SK_JS6_EEE10hipError_tPvRmT3_T4_T5_T6_T7_T9_mT8_P12ihipStream_tbDpT10_ENKUlT_T0_E_clISt17integral_constantIbLb1EES16_EEDaS11_S12_EUlS11_E_NS1_11comp_targetILNS1_3genE2ELNS1_11target_archE906ELNS1_3gpuE6ELNS1_3repE0EEENS1_30default_config_static_selectorELNS0_4arch9wavefront6targetE1EEEvT1_.numbered_sgpr, 0
	.set _ZN7rocprim17ROCPRIM_400000_NS6detail17trampoline_kernelINS0_14default_configENS1_25partition_config_selectorILNS1_17partition_subalgoE5ElNS0_10empty_typeEbEEZZNS1_14partition_implILS5_5ELb0ES3_mN6hipcub16HIPCUB_304000_NS21CountingInputIteratorIllEEPS6_NSA_22TransformInputIteratorIb7NonZeroIiEPilEENS0_5tupleIJPlS6_EEENSJ_IJSD_SD_EEES6_SK_JS6_EEE10hipError_tPvRmT3_T4_T5_T6_T7_T9_mT8_P12ihipStream_tbDpT10_ENKUlT_T0_E_clISt17integral_constantIbLb1EES16_EEDaS11_S12_EUlS11_E_NS1_11comp_targetILNS1_3genE2ELNS1_11target_archE906ELNS1_3gpuE6ELNS1_3repE0EEENS1_30default_config_static_selectorELNS0_4arch9wavefront6targetE1EEEvT1_.num_named_barrier, 0
	.set _ZN7rocprim17ROCPRIM_400000_NS6detail17trampoline_kernelINS0_14default_configENS1_25partition_config_selectorILNS1_17partition_subalgoE5ElNS0_10empty_typeEbEEZZNS1_14partition_implILS5_5ELb0ES3_mN6hipcub16HIPCUB_304000_NS21CountingInputIteratorIllEEPS6_NSA_22TransformInputIteratorIb7NonZeroIiEPilEENS0_5tupleIJPlS6_EEENSJ_IJSD_SD_EEES6_SK_JS6_EEE10hipError_tPvRmT3_T4_T5_T6_T7_T9_mT8_P12ihipStream_tbDpT10_ENKUlT_T0_E_clISt17integral_constantIbLb1EES16_EEDaS11_S12_EUlS11_E_NS1_11comp_targetILNS1_3genE2ELNS1_11target_archE906ELNS1_3gpuE6ELNS1_3repE0EEENS1_30default_config_static_selectorELNS0_4arch9wavefront6targetE1EEEvT1_.private_seg_size, 0
	.set _ZN7rocprim17ROCPRIM_400000_NS6detail17trampoline_kernelINS0_14default_configENS1_25partition_config_selectorILNS1_17partition_subalgoE5ElNS0_10empty_typeEbEEZZNS1_14partition_implILS5_5ELb0ES3_mN6hipcub16HIPCUB_304000_NS21CountingInputIteratorIllEEPS6_NSA_22TransformInputIteratorIb7NonZeroIiEPilEENS0_5tupleIJPlS6_EEENSJ_IJSD_SD_EEES6_SK_JS6_EEE10hipError_tPvRmT3_T4_T5_T6_T7_T9_mT8_P12ihipStream_tbDpT10_ENKUlT_T0_E_clISt17integral_constantIbLb1EES16_EEDaS11_S12_EUlS11_E_NS1_11comp_targetILNS1_3genE2ELNS1_11target_archE906ELNS1_3gpuE6ELNS1_3repE0EEENS1_30default_config_static_selectorELNS0_4arch9wavefront6targetE1EEEvT1_.uses_vcc, 0
	.set _ZN7rocprim17ROCPRIM_400000_NS6detail17trampoline_kernelINS0_14default_configENS1_25partition_config_selectorILNS1_17partition_subalgoE5ElNS0_10empty_typeEbEEZZNS1_14partition_implILS5_5ELb0ES3_mN6hipcub16HIPCUB_304000_NS21CountingInputIteratorIllEEPS6_NSA_22TransformInputIteratorIb7NonZeroIiEPilEENS0_5tupleIJPlS6_EEENSJ_IJSD_SD_EEES6_SK_JS6_EEE10hipError_tPvRmT3_T4_T5_T6_T7_T9_mT8_P12ihipStream_tbDpT10_ENKUlT_T0_E_clISt17integral_constantIbLb1EES16_EEDaS11_S12_EUlS11_E_NS1_11comp_targetILNS1_3genE2ELNS1_11target_archE906ELNS1_3gpuE6ELNS1_3repE0EEENS1_30default_config_static_selectorELNS0_4arch9wavefront6targetE1EEEvT1_.uses_flat_scratch, 0
	.set _ZN7rocprim17ROCPRIM_400000_NS6detail17trampoline_kernelINS0_14default_configENS1_25partition_config_selectorILNS1_17partition_subalgoE5ElNS0_10empty_typeEbEEZZNS1_14partition_implILS5_5ELb0ES3_mN6hipcub16HIPCUB_304000_NS21CountingInputIteratorIllEEPS6_NSA_22TransformInputIteratorIb7NonZeroIiEPilEENS0_5tupleIJPlS6_EEENSJ_IJSD_SD_EEES6_SK_JS6_EEE10hipError_tPvRmT3_T4_T5_T6_T7_T9_mT8_P12ihipStream_tbDpT10_ENKUlT_T0_E_clISt17integral_constantIbLb1EES16_EEDaS11_S12_EUlS11_E_NS1_11comp_targetILNS1_3genE2ELNS1_11target_archE906ELNS1_3gpuE6ELNS1_3repE0EEENS1_30default_config_static_selectorELNS0_4arch9wavefront6targetE1EEEvT1_.has_dyn_sized_stack, 0
	.set _ZN7rocprim17ROCPRIM_400000_NS6detail17trampoline_kernelINS0_14default_configENS1_25partition_config_selectorILNS1_17partition_subalgoE5ElNS0_10empty_typeEbEEZZNS1_14partition_implILS5_5ELb0ES3_mN6hipcub16HIPCUB_304000_NS21CountingInputIteratorIllEEPS6_NSA_22TransformInputIteratorIb7NonZeroIiEPilEENS0_5tupleIJPlS6_EEENSJ_IJSD_SD_EEES6_SK_JS6_EEE10hipError_tPvRmT3_T4_T5_T6_T7_T9_mT8_P12ihipStream_tbDpT10_ENKUlT_T0_E_clISt17integral_constantIbLb1EES16_EEDaS11_S12_EUlS11_E_NS1_11comp_targetILNS1_3genE2ELNS1_11target_archE906ELNS1_3gpuE6ELNS1_3repE0EEENS1_30default_config_static_selectorELNS0_4arch9wavefront6targetE1EEEvT1_.has_recursion, 0
	.set _ZN7rocprim17ROCPRIM_400000_NS6detail17trampoline_kernelINS0_14default_configENS1_25partition_config_selectorILNS1_17partition_subalgoE5ElNS0_10empty_typeEbEEZZNS1_14partition_implILS5_5ELb0ES3_mN6hipcub16HIPCUB_304000_NS21CountingInputIteratorIllEEPS6_NSA_22TransformInputIteratorIb7NonZeroIiEPilEENS0_5tupleIJPlS6_EEENSJ_IJSD_SD_EEES6_SK_JS6_EEE10hipError_tPvRmT3_T4_T5_T6_T7_T9_mT8_P12ihipStream_tbDpT10_ENKUlT_T0_E_clISt17integral_constantIbLb1EES16_EEDaS11_S12_EUlS11_E_NS1_11comp_targetILNS1_3genE2ELNS1_11target_archE906ELNS1_3gpuE6ELNS1_3repE0EEENS1_30default_config_static_selectorELNS0_4arch9wavefront6targetE1EEEvT1_.has_indirect_call, 0
	.section	.AMDGPU.csdata,"",@progbits
; Kernel info:
; codeLenInByte = 0
; TotalNumSgprs: 6
; NumVgprs: 0
; NumAgprs: 0
; TotalNumVgprs: 0
; ScratchSize: 0
; MemoryBound: 0
; FloatMode: 240
; IeeeMode: 1
; LDSByteSize: 0 bytes/workgroup (compile time only)
; SGPRBlocks: 0
; VGPRBlocks: 0
; NumSGPRsForWavesPerEU: 6
; NumVGPRsForWavesPerEU: 1
; AccumOffset: 4
; Occupancy: 8
; WaveLimiterHint : 0
; COMPUTE_PGM_RSRC2:SCRATCH_EN: 0
; COMPUTE_PGM_RSRC2:USER_SGPR: 2
; COMPUTE_PGM_RSRC2:TRAP_HANDLER: 0
; COMPUTE_PGM_RSRC2:TGID_X_EN: 1
; COMPUTE_PGM_RSRC2:TGID_Y_EN: 0
; COMPUTE_PGM_RSRC2:TGID_Z_EN: 0
; COMPUTE_PGM_RSRC2:TIDIG_COMP_CNT: 0
; COMPUTE_PGM_RSRC3_GFX90A:ACCUM_OFFSET: 0
; COMPUTE_PGM_RSRC3_GFX90A:TG_SPLIT: 0
	.section	.text._ZN7rocprim17ROCPRIM_400000_NS6detail17trampoline_kernelINS0_14default_configENS1_25partition_config_selectorILNS1_17partition_subalgoE5ElNS0_10empty_typeEbEEZZNS1_14partition_implILS5_5ELb0ES3_mN6hipcub16HIPCUB_304000_NS21CountingInputIteratorIllEEPS6_NSA_22TransformInputIteratorIb7NonZeroIiEPilEENS0_5tupleIJPlS6_EEENSJ_IJSD_SD_EEES6_SK_JS6_EEE10hipError_tPvRmT3_T4_T5_T6_T7_T9_mT8_P12ihipStream_tbDpT10_ENKUlT_T0_E_clISt17integral_constantIbLb1EES16_EEDaS11_S12_EUlS11_E_NS1_11comp_targetILNS1_3genE10ELNS1_11target_archE1200ELNS1_3gpuE4ELNS1_3repE0EEENS1_30default_config_static_selectorELNS0_4arch9wavefront6targetE1EEEvT1_,"axG",@progbits,_ZN7rocprim17ROCPRIM_400000_NS6detail17trampoline_kernelINS0_14default_configENS1_25partition_config_selectorILNS1_17partition_subalgoE5ElNS0_10empty_typeEbEEZZNS1_14partition_implILS5_5ELb0ES3_mN6hipcub16HIPCUB_304000_NS21CountingInputIteratorIllEEPS6_NSA_22TransformInputIteratorIb7NonZeroIiEPilEENS0_5tupleIJPlS6_EEENSJ_IJSD_SD_EEES6_SK_JS6_EEE10hipError_tPvRmT3_T4_T5_T6_T7_T9_mT8_P12ihipStream_tbDpT10_ENKUlT_T0_E_clISt17integral_constantIbLb1EES16_EEDaS11_S12_EUlS11_E_NS1_11comp_targetILNS1_3genE10ELNS1_11target_archE1200ELNS1_3gpuE4ELNS1_3repE0EEENS1_30default_config_static_selectorELNS0_4arch9wavefront6targetE1EEEvT1_,comdat
	.protected	_ZN7rocprim17ROCPRIM_400000_NS6detail17trampoline_kernelINS0_14default_configENS1_25partition_config_selectorILNS1_17partition_subalgoE5ElNS0_10empty_typeEbEEZZNS1_14partition_implILS5_5ELb0ES3_mN6hipcub16HIPCUB_304000_NS21CountingInputIteratorIllEEPS6_NSA_22TransformInputIteratorIb7NonZeroIiEPilEENS0_5tupleIJPlS6_EEENSJ_IJSD_SD_EEES6_SK_JS6_EEE10hipError_tPvRmT3_T4_T5_T6_T7_T9_mT8_P12ihipStream_tbDpT10_ENKUlT_T0_E_clISt17integral_constantIbLb1EES16_EEDaS11_S12_EUlS11_E_NS1_11comp_targetILNS1_3genE10ELNS1_11target_archE1200ELNS1_3gpuE4ELNS1_3repE0EEENS1_30default_config_static_selectorELNS0_4arch9wavefront6targetE1EEEvT1_ ; -- Begin function _ZN7rocprim17ROCPRIM_400000_NS6detail17trampoline_kernelINS0_14default_configENS1_25partition_config_selectorILNS1_17partition_subalgoE5ElNS0_10empty_typeEbEEZZNS1_14partition_implILS5_5ELb0ES3_mN6hipcub16HIPCUB_304000_NS21CountingInputIteratorIllEEPS6_NSA_22TransformInputIteratorIb7NonZeroIiEPilEENS0_5tupleIJPlS6_EEENSJ_IJSD_SD_EEES6_SK_JS6_EEE10hipError_tPvRmT3_T4_T5_T6_T7_T9_mT8_P12ihipStream_tbDpT10_ENKUlT_T0_E_clISt17integral_constantIbLb1EES16_EEDaS11_S12_EUlS11_E_NS1_11comp_targetILNS1_3genE10ELNS1_11target_archE1200ELNS1_3gpuE4ELNS1_3repE0EEENS1_30default_config_static_selectorELNS0_4arch9wavefront6targetE1EEEvT1_
	.globl	_ZN7rocprim17ROCPRIM_400000_NS6detail17trampoline_kernelINS0_14default_configENS1_25partition_config_selectorILNS1_17partition_subalgoE5ElNS0_10empty_typeEbEEZZNS1_14partition_implILS5_5ELb0ES3_mN6hipcub16HIPCUB_304000_NS21CountingInputIteratorIllEEPS6_NSA_22TransformInputIteratorIb7NonZeroIiEPilEENS0_5tupleIJPlS6_EEENSJ_IJSD_SD_EEES6_SK_JS6_EEE10hipError_tPvRmT3_T4_T5_T6_T7_T9_mT8_P12ihipStream_tbDpT10_ENKUlT_T0_E_clISt17integral_constantIbLb1EES16_EEDaS11_S12_EUlS11_E_NS1_11comp_targetILNS1_3genE10ELNS1_11target_archE1200ELNS1_3gpuE4ELNS1_3repE0EEENS1_30default_config_static_selectorELNS0_4arch9wavefront6targetE1EEEvT1_
	.p2align	8
	.type	_ZN7rocprim17ROCPRIM_400000_NS6detail17trampoline_kernelINS0_14default_configENS1_25partition_config_selectorILNS1_17partition_subalgoE5ElNS0_10empty_typeEbEEZZNS1_14partition_implILS5_5ELb0ES3_mN6hipcub16HIPCUB_304000_NS21CountingInputIteratorIllEEPS6_NSA_22TransformInputIteratorIb7NonZeroIiEPilEENS0_5tupleIJPlS6_EEENSJ_IJSD_SD_EEES6_SK_JS6_EEE10hipError_tPvRmT3_T4_T5_T6_T7_T9_mT8_P12ihipStream_tbDpT10_ENKUlT_T0_E_clISt17integral_constantIbLb1EES16_EEDaS11_S12_EUlS11_E_NS1_11comp_targetILNS1_3genE10ELNS1_11target_archE1200ELNS1_3gpuE4ELNS1_3repE0EEENS1_30default_config_static_selectorELNS0_4arch9wavefront6targetE1EEEvT1_,@function
_ZN7rocprim17ROCPRIM_400000_NS6detail17trampoline_kernelINS0_14default_configENS1_25partition_config_selectorILNS1_17partition_subalgoE5ElNS0_10empty_typeEbEEZZNS1_14partition_implILS5_5ELb0ES3_mN6hipcub16HIPCUB_304000_NS21CountingInputIteratorIllEEPS6_NSA_22TransformInputIteratorIb7NonZeroIiEPilEENS0_5tupleIJPlS6_EEENSJ_IJSD_SD_EEES6_SK_JS6_EEE10hipError_tPvRmT3_T4_T5_T6_T7_T9_mT8_P12ihipStream_tbDpT10_ENKUlT_T0_E_clISt17integral_constantIbLb1EES16_EEDaS11_S12_EUlS11_E_NS1_11comp_targetILNS1_3genE10ELNS1_11target_archE1200ELNS1_3gpuE4ELNS1_3repE0EEENS1_30default_config_static_selectorELNS0_4arch9wavefront6targetE1EEEvT1_: ; @_ZN7rocprim17ROCPRIM_400000_NS6detail17trampoline_kernelINS0_14default_configENS1_25partition_config_selectorILNS1_17partition_subalgoE5ElNS0_10empty_typeEbEEZZNS1_14partition_implILS5_5ELb0ES3_mN6hipcub16HIPCUB_304000_NS21CountingInputIteratorIllEEPS6_NSA_22TransformInputIteratorIb7NonZeroIiEPilEENS0_5tupleIJPlS6_EEENSJ_IJSD_SD_EEES6_SK_JS6_EEE10hipError_tPvRmT3_T4_T5_T6_T7_T9_mT8_P12ihipStream_tbDpT10_ENKUlT_T0_E_clISt17integral_constantIbLb1EES16_EEDaS11_S12_EUlS11_E_NS1_11comp_targetILNS1_3genE10ELNS1_11target_archE1200ELNS1_3gpuE4ELNS1_3repE0EEENS1_30default_config_static_selectorELNS0_4arch9wavefront6targetE1EEEvT1_
; %bb.0:
	.section	.rodata,"a",@progbits
	.p2align	6, 0x0
	.amdhsa_kernel _ZN7rocprim17ROCPRIM_400000_NS6detail17trampoline_kernelINS0_14default_configENS1_25partition_config_selectorILNS1_17partition_subalgoE5ElNS0_10empty_typeEbEEZZNS1_14partition_implILS5_5ELb0ES3_mN6hipcub16HIPCUB_304000_NS21CountingInputIteratorIllEEPS6_NSA_22TransformInputIteratorIb7NonZeroIiEPilEENS0_5tupleIJPlS6_EEENSJ_IJSD_SD_EEES6_SK_JS6_EEE10hipError_tPvRmT3_T4_T5_T6_T7_T9_mT8_P12ihipStream_tbDpT10_ENKUlT_T0_E_clISt17integral_constantIbLb1EES16_EEDaS11_S12_EUlS11_E_NS1_11comp_targetILNS1_3genE10ELNS1_11target_archE1200ELNS1_3gpuE4ELNS1_3repE0EEENS1_30default_config_static_selectorELNS0_4arch9wavefront6targetE1EEEvT1_
		.amdhsa_group_segment_fixed_size 0
		.amdhsa_private_segment_fixed_size 0
		.amdhsa_kernarg_size 136
		.amdhsa_user_sgpr_count 2
		.amdhsa_user_sgpr_dispatch_ptr 0
		.amdhsa_user_sgpr_queue_ptr 0
		.amdhsa_user_sgpr_kernarg_segment_ptr 1
		.amdhsa_user_sgpr_dispatch_id 0
		.amdhsa_user_sgpr_kernarg_preload_length 0
		.amdhsa_user_sgpr_kernarg_preload_offset 0
		.amdhsa_user_sgpr_private_segment_size 0
		.amdhsa_uses_dynamic_stack 0
		.amdhsa_enable_private_segment 0
		.amdhsa_system_sgpr_workgroup_id_x 1
		.amdhsa_system_sgpr_workgroup_id_y 0
		.amdhsa_system_sgpr_workgroup_id_z 0
		.amdhsa_system_sgpr_workgroup_info 0
		.amdhsa_system_vgpr_workitem_id 0
		.amdhsa_next_free_vgpr 1
		.amdhsa_next_free_sgpr 0
		.amdhsa_accum_offset 4
		.amdhsa_reserve_vcc 0
		.amdhsa_float_round_mode_32 0
		.amdhsa_float_round_mode_16_64 0
		.amdhsa_float_denorm_mode_32 3
		.amdhsa_float_denorm_mode_16_64 3
		.amdhsa_dx10_clamp 1
		.amdhsa_ieee_mode 1
		.amdhsa_fp16_overflow 0
		.amdhsa_tg_split 0
		.amdhsa_exception_fp_ieee_invalid_op 0
		.amdhsa_exception_fp_denorm_src 0
		.amdhsa_exception_fp_ieee_div_zero 0
		.amdhsa_exception_fp_ieee_overflow 0
		.amdhsa_exception_fp_ieee_underflow 0
		.amdhsa_exception_fp_ieee_inexact 0
		.amdhsa_exception_int_div_zero 0
	.end_amdhsa_kernel
	.section	.text._ZN7rocprim17ROCPRIM_400000_NS6detail17trampoline_kernelINS0_14default_configENS1_25partition_config_selectorILNS1_17partition_subalgoE5ElNS0_10empty_typeEbEEZZNS1_14partition_implILS5_5ELb0ES3_mN6hipcub16HIPCUB_304000_NS21CountingInputIteratorIllEEPS6_NSA_22TransformInputIteratorIb7NonZeroIiEPilEENS0_5tupleIJPlS6_EEENSJ_IJSD_SD_EEES6_SK_JS6_EEE10hipError_tPvRmT3_T4_T5_T6_T7_T9_mT8_P12ihipStream_tbDpT10_ENKUlT_T0_E_clISt17integral_constantIbLb1EES16_EEDaS11_S12_EUlS11_E_NS1_11comp_targetILNS1_3genE10ELNS1_11target_archE1200ELNS1_3gpuE4ELNS1_3repE0EEENS1_30default_config_static_selectorELNS0_4arch9wavefront6targetE1EEEvT1_,"axG",@progbits,_ZN7rocprim17ROCPRIM_400000_NS6detail17trampoline_kernelINS0_14default_configENS1_25partition_config_selectorILNS1_17partition_subalgoE5ElNS0_10empty_typeEbEEZZNS1_14partition_implILS5_5ELb0ES3_mN6hipcub16HIPCUB_304000_NS21CountingInputIteratorIllEEPS6_NSA_22TransformInputIteratorIb7NonZeroIiEPilEENS0_5tupleIJPlS6_EEENSJ_IJSD_SD_EEES6_SK_JS6_EEE10hipError_tPvRmT3_T4_T5_T6_T7_T9_mT8_P12ihipStream_tbDpT10_ENKUlT_T0_E_clISt17integral_constantIbLb1EES16_EEDaS11_S12_EUlS11_E_NS1_11comp_targetILNS1_3genE10ELNS1_11target_archE1200ELNS1_3gpuE4ELNS1_3repE0EEENS1_30default_config_static_selectorELNS0_4arch9wavefront6targetE1EEEvT1_,comdat
.Lfunc_end198:
	.size	_ZN7rocprim17ROCPRIM_400000_NS6detail17trampoline_kernelINS0_14default_configENS1_25partition_config_selectorILNS1_17partition_subalgoE5ElNS0_10empty_typeEbEEZZNS1_14partition_implILS5_5ELb0ES3_mN6hipcub16HIPCUB_304000_NS21CountingInputIteratorIllEEPS6_NSA_22TransformInputIteratorIb7NonZeroIiEPilEENS0_5tupleIJPlS6_EEENSJ_IJSD_SD_EEES6_SK_JS6_EEE10hipError_tPvRmT3_T4_T5_T6_T7_T9_mT8_P12ihipStream_tbDpT10_ENKUlT_T0_E_clISt17integral_constantIbLb1EES16_EEDaS11_S12_EUlS11_E_NS1_11comp_targetILNS1_3genE10ELNS1_11target_archE1200ELNS1_3gpuE4ELNS1_3repE0EEENS1_30default_config_static_selectorELNS0_4arch9wavefront6targetE1EEEvT1_, .Lfunc_end198-_ZN7rocprim17ROCPRIM_400000_NS6detail17trampoline_kernelINS0_14default_configENS1_25partition_config_selectorILNS1_17partition_subalgoE5ElNS0_10empty_typeEbEEZZNS1_14partition_implILS5_5ELb0ES3_mN6hipcub16HIPCUB_304000_NS21CountingInputIteratorIllEEPS6_NSA_22TransformInputIteratorIb7NonZeroIiEPilEENS0_5tupleIJPlS6_EEENSJ_IJSD_SD_EEES6_SK_JS6_EEE10hipError_tPvRmT3_T4_T5_T6_T7_T9_mT8_P12ihipStream_tbDpT10_ENKUlT_T0_E_clISt17integral_constantIbLb1EES16_EEDaS11_S12_EUlS11_E_NS1_11comp_targetILNS1_3genE10ELNS1_11target_archE1200ELNS1_3gpuE4ELNS1_3repE0EEENS1_30default_config_static_selectorELNS0_4arch9wavefront6targetE1EEEvT1_
                                        ; -- End function
	.set _ZN7rocprim17ROCPRIM_400000_NS6detail17trampoline_kernelINS0_14default_configENS1_25partition_config_selectorILNS1_17partition_subalgoE5ElNS0_10empty_typeEbEEZZNS1_14partition_implILS5_5ELb0ES3_mN6hipcub16HIPCUB_304000_NS21CountingInputIteratorIllEEPS6_NSA_22TransformInputIteratorIb7NonZeroIiEPilEENS0_5tupleIJPlS6_EEENSJ_IJSD_SD_EEES6_SK_JS6_EEE10hipError_tPvRmT3_T4_T5_T6_T7_T9_mT8_P12ihipStream_tbDpT10_ENKUlT_T0_E_clISt17integral_constantIbLb1EES16_EEDaS11_S12_EUlS11_E_NS1_11comp_targetILNS1_3genE10ELNS1_11target_archE1200ELNS1_3gpuE4ELNS1_3repE0EEENS1_30default_config_static_selectorELNS0_4arch9wavefront6targetE1EEEvT1_.num_vgpr, 0
	.set _ZN7rocprim17ROCPRIM_400000_NS6detail17trampoline_kernelINS0_14default_configENS1_25partition_config_selectorILNS1_17partition_subalgoE5ElNS0_10empty_typeEbEEZZNS1_14partition_implILS5_5ELb0ES3_mN6hipcub16HIPCUB_304000_NS21CountingInputIteratorIllEEPS6_NSA_22TransformInputIteratorIb7NonZeroIiEPilEENS0_5tupleIJPlS6_EEENSJ_IJSD_SD_EEES6_SK_JS6_EEE10hipError_tPvRmT3_T4_T5_T6_T7_T9_mT8_P12ihipStream_tbDpT10_ENKUlT_T0_E_clISt17integral_constantIbLb1EES16_EEDaS11_S12_EUlS11_E_NS1_11comp_targetILNS1_3genE10ELNS1_11target_archE1200ELNS1_3gpuE4ELNS1_3repE0EEENS1_30default_config_static_selectorELNS0_4arch9wavefront6targetE1EEEvT1_.num_agpr, 0
	.set _ZN7rocprim17ROCPRIM_400000_NS6detail17trampoline_kernelINS0_14default_configENS1_25partition_config_selectorILNS1_17partition_subalgoE5ElNS0_10empty_typeEbEEZZNS1_14partition_implILS5_5ELb0ES3_mN6hipcub16HIPCUB_304000_NS21CountingInputIteratorIllEEPS6_NSA_22TransformInputIteratorIb7NonZeroIiEPilEENS0_5tupleIJPlS6_EEENSJ_IJSD_SD_EEES6_SK_JS6_EEE10hipError_tPvRmT3_T4_T5_T6_T7_T9_mT8_P12ihipStream_tbDpT10_ENKUlT_T0_E_clISt17integral_constantIbLb1EES16_EEDaS11_S12_EUlS11_E_NS1_11comp_targetILNS1_3genE10ELNS1_11target_archE1200ELNS1_3gpuE4ELNS1_3repE0EEENS1_30default_config_static_selectorELNS0_4arch9wavefront6targetE1EEEvT1_.numbered_sgpr, 0
	.set _ZN7rocprim17ROCPRIM_400000_NS6detail17trampoline_kernelINS0_14default_configENS1_25partition_config_selectorILNS1_17partition_subalgoE5ElNS0_10empty_typeEbEEZZNS1_14partition_implILS5_5ELb0ES3_mN6hipcub16HIPCUB_304000_NS21CountingInputIteratorIllEEPS6_NSA_22TransformInputIteratorIb7NonZeroIiEPilEENS0_5tupleIJPlS6_EEENSJ_IJSD_SD_EEES6_SK_JS6_EEE10hipError_tPvRmT3_T4_T5_T6_T7_T9_mT8_P12ihipStream_tbDpT10_ENKUlT_T0_E_clISt17integral_constantIbLb1EES16_EEDaS11_S12_EUlS11_E_NS1_11comp_targetILNS1_3genE10ELNS1_11target_archE1200ELNS1_3gpuE4ELNS1_3repE0EEENS1_30default_config_static_selectorELNS0_4arch9wavefront6targetE1EEEvT1_.num_named_barrier, 0
	.set _ZN7rocprim17ROCPRIM_400000_NS6detail17trampoline_kernelINS0_14default_configENS1_25partition_config_selectorILNS1_17partition_subalgoE5ElNS0_10empty_typeEbEEZZNS1_14partition_implILS5_5ELb0ES3_mN6hipcub16HIPCUB_304000_NS21CountingInputIteratorIllEEPS6_NSA_22TransformInputIteratorIb7NonZeroIiEPilEENS0_5tupleIJPlS6_EEENSJ_IJSD_SD_EEES6_SK_JS6_EEE10hipError_tPvRmT3_T4_T5_T6_T7_T9_mT8_P12ihipStream_tbDpT10_ENKUlT_T0_E_clISt17integral_constantIbLb1EES16_EEDaS11_S12_EUlS11_E_NS1_11comp_targetILNS1_3genE10ELNS1_11target_archE1200ELNS1_3gpuE4ELNS1_3repE0EEENS1_30default_config_static_selectorELNS0_4arch9wavefront6targetE1EEEvT1_.private_seg_size, 0
	.set _ZN7rocprim17ROCPRIM_400000_NS6detail17trampoline_kernelINS0_14default_configENS1_25partition_config_selectorILNS1_17partition_subalgoE5ElNS0_10empty_typeEbEEZZNS1_14partition_implILS5_5ELb0ES3_mN6hipcub16HIPCUB_304000_NS21CountingInputIteratorIllEEPS6_NSA_22TransformInputIteratorIb7NonZeroIiEPilEENS0_5tupleIJPlS6_EEENSJ_IJSD_SD_EEES6_SK_JS6_EEE10hipError_tPvRmT3_T4_T5_T6_T7_T9_mT8_P12ihipStream_tbDpT10_ENKUlT_T0_E_clISt17integral_constantIbLb1EES16_EEDaS11_S12_EUlS11_E_NS1_11comp_targetILNS1_3genE10ELNS1_11target_archE1200ELNS1_3gpuE4ELNS1_3repE0EEENS1_30default_config_static_selectorELNS0_4arch9wavefront6targetE1EEEvT1_.uses_vcc, 0
	.set _ZN7rocprim17ROCPRIM_400000_NS6detail17trampoline_kernelINS0_14default_configENS1_25partition_config_selectorILNS1_17partition_subalgoE5ElNS0_10empty_typeEbEEZZNS1_14partition_implILS5_5ELb0ES3_mN6hipcub16HIPCUB_304000_NS21CountingInputIteratorIllEEPS6_NSA_22TransformInputIteratorIb7NonZeroIiEPilEENS0_5tupleIJPlS6_EEENSJ_IJSD_SD_EEES6_SK_JS6_EEE10hipError_tPvRmT3_T4_T5_T6_T7_T9_mT8_P12ihipStream_tbDpT10_ENKUlT_T0_E_clISt17integral_constantIbLb1EES16_EEDaS11_S12_EUlS11_E_NS1_11comp_targetILNS1_3genE10ELNS1_11target_archE1200ELNS1_3gpuE4ELNS1_3repE0EEENS1_30default_config_static_selectorELNS0_4arch9wavefront6targetE1EEEvT1_.uses_flat_scratch, 0
	.set _ZN7rocprim17ROCPRIM_400000_NS6detail17trampoline_kernelINS0_14default_configENS1_25partition_config_selectorILNS1_17partition_subalgoE5ElNS0_10empty_typeEbEEZZNS1_14partition_implILS5_5ELb0ES3_mN6hipcub16HIPCUB_304000_NS21CountingInputIteratorIllEEPS6_NSA_22TransformInputIteratorIb7NonZeroIiEPilEENS0_5tupleIJPlS6_EEENSJ_IJSD_SD_EEES6_SK_JS6_EEE10hipError_tPvRmT3_T4_T5_T6_T7_T9_mT8_P12ihipStream_tbDpT10_ENKUlT_T0_E_clISt17integral_constantIbLb1EES16_EEDaS11_S12_EUlS11_E_NS1_11comp_targetILNS1_3genE10ELNS1_11target_archE1200ELNS1_3gpuE4ELNS1_3repE0EEENS1_30default_config_static_selectorELNS0_4arch9wavefront6targetE1EEEvT1_.has_dyn_sized_stack, 0
	.set _ZN7rocprim17ROCPRIM_400000_NS6detail17trampoline_kernelINS0_14default_configENS1_25partition_config_selectorILNS1_17partition_subalgoE5ElNS0_10empty_typeEbEEZZNS1_14partition_implILS5_5ELb0ES3_mN6hipcub16HIPCUB_304000_NS21CountingInputIteratorIllEEPS6_NSA_22TransformInputIteratorIb7NonZeroIiEPilEENS0_5tupleIJPlS6_EEENSJ_IJSD_SD_EEES6_SK_JS6_EEE10hipError_tPvRmT3_T4_T5_T6_T7_T9_mT8_P12ihipStream_tbDpT10_ENKUlT_T0_E_clISt17integral_constantIbLb1EES16_EEDaS11_S12_EUlS11_E_NS1_11comp_targetILNS1_3genE10ELNS1_11target_archE1200ELNS1_3gpuE4ELNS1_3repE0EEENS1_30default_config_static_selectorELNS0_4arch9wavefront6targetE1EEEvT1_.has_recursion, 0
	.set _ZN7rocprim17ROCPRIM_400000_NS6detail17trampoline_kernelINS0_14default_configENS1_25partition_config_selectorILNS1_17partition_subalgoE5ElNS0_10empty_typeEbEEZZNS1_14partition_implILS5_5ELb0ES3_mN6hipcub16HIPCUB_304000_NS21CountingInputIteratorIllEEPS6_NSA_22TransformInputIteratorIb7NonZeroIiEPilEENS0_5tupleIJPlS6_EEENSJ_IJSD_SD_EEES6_SK_JS6_EEE10hipError_tPvRmT3_T4_T5_T6_T7_T9_mT8_P12ihipStream_tbDpT10_ENKUlT_T0_E_clISt17integral_constantIbLb1EES16_EEDaS11_S12_EUlS11_E_NS1_11comp_targetILNS1_3genE10ELNS1_11target_archE1200ELNS1_3gpuE4ELNS1_3repE0EEENS1_30default_config_static_selectorELNS0_4arch9wavefront6targetE1EEEvT1_.has_indirect_call, 0
	.section	.AMDGPU.csdata,"",@progbits
; Kernel info:
; codeLenInByte = 0
; TotalNumSgprs: 6
; NumVgprs: 0
; NumAgprs: 0
; TotalNumVgprs: 0
; ScratchSize: 0
; MemoryBound: 0
; FloatMode: 240
; IeeeMode: 1
; LDSByteSize: 0 bytes/workgroup (compile time only)
; SGPRBlocks: 0
; VGPRBlocks: 0
; NumSGPRsForWavesPerEU: 6
; NumVGPRsForWavesPerEU: 1
; AccumOffset: 4
; Occupancy: 8
; WaveLimiterHint : 0
; COMPUTE_PGM_RSRC2:SCRATCH_EN: 0
; COMPUTE_PGM_RSRC2:USER_SGPR: 2
; COMPUTE_PGM_RSRC2:TRAP_HANDLER: 0
; COMPUTE_PGM_RSRC2:TGID_X_EN: 1
; COMPUTE_PGM_RSRC2:TGID_Y_EN: 0
; COMPUTE_PGM_RSRC2:TGID_Z_EN: 0
; COMPUTE_PGM_RSRC2:TIDIG_COMP_CNT: 0
; COMPUTE_PGM_RSRC3_GFX90A:ACCUM_OFFSET: 0
; COMPUTE_PGM_RSRC3_GFX90A:TG_SPLIT: 0
	.section	.text._ZN7rocprim17ROCPRIM_400000_NS6detail17trampoline_kernelINS0_14default_configENS1_25partition_config_selectorILNS1_17partition_subalgoE5ElNS0_10empty_typeEbEEZZNS1_14partition_implILS5_5ELb0ES3_mN6hipcub16HIPCUB_304000_NS21CountingInputIteratorIllEEPS6_NSA_22TransformInputIteratorIb7NonZeroIiEPilEENS0_5tupleIJPlS6_EEENSJ_IJSD_SD_EEES6_SK_JS6_EEE10hipError_tPvRmT3_T4_T5_T6_T7_T9_mT8_P12ihipStream_tbDpT10_ENKUlT_T0_E_clISt17integral_constantIbLb1EES16_EEDaS11_S12_EUlS11_E_NS1_11comp_targetILNS1_3genE9ELNS1_11target_archE1100ELNS1_3gpuE3ELNS1_3repE0EEENS1_30default_config_static_selectorELNS0_4arch9wavefront6targetE1EEEvT1_,"axG",@progbits,_ZN7rocprim17ROCPRIM_400000_NS6detail17trampoline_kernelINS0_14default_configENS1_25partition_config_selectorILNS1_17partition_subalgoE5ElNS0_10empty_typeEbEEZZNS1_14partition_implILS5_5ELb0ES3_mN6hipcub16HIPCUB_304000_NS21CountingInputIteratorIllEEPS6_NSA_22TransformInputIteratorIb7NonZeroIiEPilEENS0_5tupleIJPlS6_EEENSJ_IJSD_SD_EEES6_SK_JS6_EEE10hipError_tPvRmT3_T4_T5_T6_T7_T9_mT8_P12ihipStream_tbDpT10_ENKUlT_T0_E_clISt17integral_constantIbLb1EES16_EEDaS11_S12_EUlS11_E_NS1_11comp_targetILNS1_3genE9ELNS1_11target_archE1100ELNS1_3gpuE3ELNS1_3repE0EEENS1_30default_config_static_selectorELNS0_4arch9wavefront6targetE1EEEvT1_,comdat
	.protected	_ZN7rocprim17ROCPRIM_400000_NS6detail17trampoline_kernelINS0_14default_configENS1_25partition_config_selectorILNS1_17partition_subalgoE5ElNS0_10empty_typeEbEEZZNS1_14partition_implILS5_5ELb0ES3_mN6hipcub16HIPCUB_304000_NS21CountingInputIteratorIllEEPS6_NSA_22TransformInputIteratorIb7NonZeroIiEPilEENS0_5tupleIJPlS6_EEENSJ_IJSD_SD_EEES6_SK_JS6_EEE10hipError_tPvRmT3_T4_T5_T6_T7_T9_mT8_P12ihipStream_tbDpT10_ENKUlT_T0_E_clISt17integral_constantIbLb1EES16_EEDaS11_S12_EUlS11_E_NS1_11comp_targetILNS1_3genE9ELNS1_11target_archE1100ELNS1_3gpuE3ELNS1_3repE0EEENS1_30default_config_static_selectorELNS0_4arch9wavefront6targetE1EEEvT1_ ; -- Begin function _ZN7rocprim17ROCPRIM_400000_NS6detail17trampoline_kernelINS0_14default_configENS1_25partition_config_selectorILNS1_17partition_subalgoE5ElNS0_10empty_typeEbEEZZNS1_14partition_implILS5_5ELb0ES3_mN6hipcub16HIPCUB_304000_NS21CountingInputIteratorIllEEPS6_NSA_22TransformInputIteratorIb7NonZeroIiEPilEENS0_5tupleIJPlS6_EEENSJ_IJSD_SD_EEES6_SK_JS6_EEE10hipError_tPvRmT3_T4_T5_T6_T7_T9_mT8_P12ihipStream_tbDpT10_ENKUlT_T0_E_clISt17integral_constantIbLb1EES16_EEDaS11_S12_EUlS11_E_NS1_11comp_targetILNS1_3genE9ELNS1_11target_archE1100ELNS1_3gpuE3ELNS1_3repE0EEENS1_30default_config_static_selectorELNS0_4arch9wavefront6targetE1EEEvT1_
	.globl	_ZN7rocprim17ROCPRIM_400000_NS6detail17trampoline_kernelINS0_14default_configENS1_25partition_config_selectorILNS1_17partition_subalgoE5ElNS0_10empty_typeEbEEZZNS1_14partition_implILS5_5ELb0ES3_mN6hipcub16HIPCUB_304000_NS21CountingInputIteratorIllEEPS6_NSA_22TransformInputIteratorIb7NonZeroIiEPilEENS0_5tupleIJPlS6_EEENSJ_IJSD_SD_EEES6_SK_JS6_EEE10hipError_tPvRmT3_T4_T5_T6_T7_T9_mT8_P12ihipStream_tbDpT10_ENKUlT_T0_E_clISt17integral_constantIbLb1EES16_EEDaS11_S12_EUlS11_E_NS1_11comp_targetILNS1_3genE9ELNS1_11target_archE1100ELNS1_3gpuE3ELNS1_3repE0EEENS1_30default_config_static_selectorELNS0_4arch9wavefront6targetE1EEEvT1_
	.p2align	8
	.type	_ZN7rocprim17ROCPRIM_400000_NS6detail17trampoline_kernelINS0_14default_configENS1_25partition_config_selectorILNS1_17partition_subalgoE5ElNS0_10empty_typeEbEEZZNS1_14partition_implILS5_5ELb0ES3_mN6hipcub16HIPCUB_304000_NS21CountingInputIteratorIllEEPS6_NSA_22TransformInputIteratorIb7NonZeroIiEPilEENS0_5tupleIJPlS6_EEENSJ_IJSD_SD_EEES6_SK_JS6_EEE10hipError_tPvRmT3_T4_T5_T6_T7_T9_mT8_P12ihipStream_tbDpT10_ENKUlT_T0_E_clISt17integral_constantIbLb1EES16_EEDaS11_S12_EUlS11_E_NS1_11comp_targetILNS1_3genE9ELNS1_11target_archE1100ELNS1_3gpuE3ELNS1_3repE0EEENS1_30default_config_static_selectorELNS0_4arch9wavefront6targetE1EEEvT1_,@function
_ZN7rocprim17ROCPRIM_400000_NS6detail17trampoline_kernelINS0_14default_configENS1_25partition_config_selectorILNS1_17partition_subalgoE5ElNS0_10empty_typeEbEEZZNS1_14partition_implILS5_5ELb0ES3_mN6hipcub16HIPCUB_304000_NS21CountingInputIteratorIllEEPS6_NSA_22TransformInputIteratorIb7NonZeroIiEPilEENS0_5tupleIJPlS6_EEENSJ_IJSD_SD_EEES6_SK_JS6_EEE10hipError_tPvRmT3_T4_T5_T6_T7_T9_mT8_P12ihipStream_tbDpT10_ENKUlT_T0_E_clISt17integral_constantIbLb1EES16_EEDaS11_S12_EUlS11_E_NS1_11comp_targetILNS1_3genE9ELNS1_11target_archE1100ELNS1_3gpuE3ELNS1_3repE0EEENS1_30default_config_static_selectorELNS0_4arch9wavefront6targetE1EEEvT1_: ; @_ZN7rocprim17ROCPRIM_400000_NS6detail17trampoline_kernelINS0_14default_configENS1_25partition_config_selectorILNS1_17partition_subalgoE5ElNS0_10empty_typeEbEEZZNS1_14partition_implILS5_5ELb0ES3_mN6hipcub16HIPCUB_304000_NS21CountingInputIteratorIllEEPS6_NSA_22TransformInputIteratorIb7NonZeroIiEPilEENS0_5tupleIJPlS6_EEENSJ_IJSD_SD_EEES6_SK_JS6_EEE10hipError_tPvRmT3_T4_T5_T6_T7_T9_mT8_P12ihipStream_tbDpT10_ENKUlT_T0_E_clISt17integral_constantIbLb1EES16_EEDaS11_S12_EUlS11_E_NS1_11comp_targetILNS1_3genE9ELNS1_11target_archE1100ELNS1_3gpuE3ELNS1_3repE0EEENS1_30default_config_static_selectorELNS0_4arch9wavefront6targetE1EEEvT1_
; %bb.0:
	.section	.rodata,"a",@progbits
	.p2align	6, 0x0
	.amdhsa_kernel _ZN7rocprim17ROCPRIM_400000_NS6detail17trampoline_kernelINS0_14default_configENS1_25partition_config_selectorILNS1_17partition_subalgoE5ElNS0_10empty_typeEbEEZZNS1_14partition_implILS5_5ELb0ES3_mN6hipcub16HIPCUB_304000_NS21CountingInputIteratorIllEEPS6_NSA_22TransformInputIteratorIb7NonZeroIiEPilEENS0_5tupleIJPlS6_EEENSJ_IJSD_SD_EEES6_SK_JS6_EEE10hipError_tPvRmT3_T4_T5_T6_T7_T9_mT8_P12ihipStream_tbDpT10_ENKUlT_T0_E_clISt17integral_constantIbLb1EES16_EEDaS11_S12_EUlS11_E_NS1_11comp_targetILNS1_3genE9ELNS1_11target_archE1100ELNS1_3gpuE3ELNS1_3repE0EEENS1_30default_config_static_selectorELNS0_4arch9wavefront6targetE1EEEvT1_
		.amdhsa_group_segment_fixed_size 0
		.amdhsa_private_segment_fixed_size 0
		.amdhsa_kernarg_size 136
		.amdhsa_user_sgpr_count 2
		.amdhsa_user_sgpr_dispatch_ptr 0
		.amdhsa_user_sgpr_queue_ptr 0
		.amdhsa_user_sgpr_kernarg_segment_ptr 1
		.amdhsa_user_sgpr_dispatch_id 0
		.amdhsa_user_sgpr_kernarg_preload_length 0
		.amdhsa_user_sgpr_kernarg_preload_offset 0
		.amdhsa_user_sgpr_private_segment_size 0
		.amdhsa_uses_dynamic_stack 0
		.amdhsa_enable_private_segment 0
		.amdhsa_system_sgpr_workgroup_id_x 1
		.amdhsa_system_sgpr_workgroup_id_y 0
		.amdhsa_system_sgpr_workgroup_id_z 0
		.amdhsa_system_sgpr_workgroup_info 0
		.amdhsa_system_vgpr_workitem_id 0
		.amdhsa_next_free_vgpr 1
		.amdhsa_next_free_sgpr 0
		.amdhsa_accum_offset 4
		.amdhsa_reserve_vcc 0
		.amdhsa_float_round_mode_32 0
		.amdhsa_float_round_mode_16_64 0
		.amdhsa_float_denorm_mode_32 3
		.amdhsa_float_denorm_mode_16_64 3
		.amdhsa_dx10_clamp 1
		.amdhsa_ieee_mode 1
		.amdhsa_fp16_overflow 0
		.amdhsa_tg_split 0
		.amdhsa_exception_fp_ieee_invalid_op 0
		.amdhsa_exception_fp_denorm_src 0
		.amdhsa_exception_fp_ieee_div_zero 0
		.amdhsa_exception_fp_ieee_overflow 0
		.amdhsa_exception_fp_ieee_underflow 0
		.amdhsa_exception_fp_ieee_inexact 0
		.amdhsa_exception_int_div_zero 0
	.end_amdhsa_kernel
	.section	.text._ZN7rocprim17ROCPRIM_400000_NS6detail17trampoline_kernelINS0_14default_configENS1_25partition_config_selectorILNS1_17partition_subalgoE5ElNS0_10empty_typeEbEEZZNS1_14partition_implILS5_5ELb0ES3_mN6hipcub16HIPCUB_304000_NS21CountingInputIteratorIllEEPS6_NSA_22TransformInputIteratorIb7NonZeroIiEPilEENS0_5tupleIJPlS6_EEENSJ_IJSD_SD_EEES6_SK_JS6_EEE10hipError_tPvRmT3_T4_T5_T6_T7_T9_mT8_P12ihipStream_tbDpT10_ENKUlT_T0_E_clISt17integral_constantIbLb1EES16_EEDaS11_S12_EUlS11_E_NS1_11comp_targetILNS1_3genE9ELNS1_11target_archE1100ELNS1_3gpuE3ELNS1_3repE0EEENS1_30default_config_static_selectorELNS0_4arch9wavefront6targetE1EEEvT1_,"axG",@progbits,_ZN7rocprim17ROCPRIM_400000_NS6detail17trampoline_kernelINS0_14default_configENS1_25partition_config_selectorILNS1_17partition_subalgoE5ElNS0_10empty_typeEbEEZZNS1_14partition_implILS5_5ELb0ES3_mN6hipcub16HIPCUB_304000_NS21CountingInputIteratorIllEEPS6_NSA_22TransformInputIteratorIb7NonZeroIiEPilEENS0_5tupleIJPlS6_EEENSJ_IJSD_SD_EEES6_SK_JS6_EEE10hipError_tPvRmT3_T4_T5_T6_T7_T9_mT8_P12ihipStream_tbDpT10_ENKUlT_T0_E_clISt17integral_constantIbLb1EES16_EEDaS11_S12_EUlS11_E_NS1_11comp_targetILNS1_3genE9ELNS1_11target_archE1100ELNS1_3gpuE3ELNS1_3repE0EEENS1_30default_config_static_selectorELNS0_4arch9wavefront6targetE1EEEvT1_,comdat
.Lfunc_end199:
	.size	_ZN7rocprim17ROCPRIM_400000_NS6detail17trampoline_kernelINS0_14default_configENS1_25partition_config_selectorILNS1_17partition_subalgoE5ElNS0_10empty_typeEbEEZZNS1_14partition_implILS5_5ELb0ES3_mN6hipcub16HIPCUB_304000_NS21CountingInputIteratorIllEEPS6_NSA_22TransformInputIteratorIb7NonZeroIiEPilEENS0_5tupleIJPlS6_EEENSJ_IJSD_SD_EEES6_SK_JS6_EEE10hipError_tPvRmT3_T4_T5_T6_T7_T9_mT8_P12ihipStream_tbDpT10_ENKUlT_T0_E_clISt17integral_constantIbLb1EES16_EEDaS11_S12_EUlS11_E_NS1_11comp_targetILNS1_3genE9ELNS1_11target_archE1100ELNS1_3gpuE3ELNS1_3repE0EEENS1_30default_config_static_selectorELNS0_4arch9wavefront6targetE1EEEvT1_, .Lfunc_end199-_ZN7rocprim17ROCPRIM_400000_NS6detail17trampoline_kernelINS0_14default_configENS1_25partition_config_selectorILNS1_17partition_subalgoE5ElNS0_10empty_typeEbEEZZNS1_14partition_implILS5_5ELb0ES3_mN6hipcub16HIPCUB_304000_NS21CountingInputIteratorIllEEPS6_NSA_22TransformInputIteratorIb7NonZeroIiEPilEENS0_5tupleIJPlS6_EEENSJ_IJSD_SD_EEES6_SK_JS6_EEE10hipError_tPvRmT3_T4_T5_T6_T7_T9_mT8_P12ihipStream_tbDpT10_ENKUlT_T0_E_clISt17integral_constantIbLb1EES16_EEDaS11_S12_EUlS11_E_NS1_11comp_targetILNS1_3genE9ELNS1_11target_archE1100ELNS1_3gpuE3ELNS1_3repE0EEENS1_30default_config_static_selectorELNS0_4arch9wavefront6targetE1EEEvT1_
                                        ; -- End function
	.set _ZN7rocprim17ROCPRIM_400000_NS6detail17trampoline_kernelINS0_14default_configENS1_25partition_config_selectorILNS1_17partition_subalgoE5ElNS0_10empty_typeEbEEZZNS1_14partition_implILS5_5ELb0ES3_mN6hipcub16HIPCUB_304000_NS21CountingInputIteratorIllEEPS6_NSA_22TransformInputIteratorIb7NonZeroIiEPilEENS0_5tupleIJPlS6_EEENSJ_IJSD_SD_EEES6_SK_JS6_EEE10hipError_tPvRmT3_T4_T5_T6_T7_T9_mT8_P12ihipStream_tbDpT10_ENKUlT_T0_E_clISt17integral_constantIbLb1EES16_EEDaS11_S12_EUlS11_E_NS1_11comp_targetILNS1_3genE9ELNS1_11target_archE1100ELNS1_3gpuE3ELNS1_3repE0EEENS1_30default_config_static_selectorELNS0_4arch9wavefront6targetE1EEEvT1_.num_vgpr, 0
	.set _ZN7rocprim17ROCPRIM_400000_NS6detail17trampoline_kernelINS0_14default_configENS1_25partition_config_selectorILNS1_17partition_subalgoE5ElNS0_10empty_typeEbEEZZNS1_14partition_implILS5_5ELb0ES3_mN6hipcub16HIPCUB_304000_NS21CountingInputIteratorIllEEPS6_NSA_22TransformInputIteratorIb7NonZeroIiEPilEENS0_5tupleIJPlS6_EEENSJ_IJSD_SD_EEES6_SK_JS6_EEE10hipError_tPvRmT3_T4_T5_T6_T7_T9_mT8_P12ihipStream_tbDpT10_ENKUlT_T0_E_clISt17integral_constantIbLb1EES16_EEDaS11_S12_EUlS11_E_NS1_11comp_targetILNS1_3genE9ELNS1_11target_archE1100ELNS1_3gpuE3ELNS1_3repE0EEENS1_30default_config_static_selectorELNS0_4arch9wavefront6targetE1EEEvT1_.num_agpr, 0
	.set _ZN7rocprim17ROCPRIM_400000_NS6detail17trampoline_kernelINS0_14default_configENS1_25partition_config_selectorILNS1_17partition_subalgoE5ElNS0_10empty_typeEbEEZZNS1_14partition_implILS5_5ELb0ES3_mN6hipcub16HIPCUB_304000_NS21CountingInputIteratorIllEEPS6_NSA_22TransformInputIteratorIb7NonZeroIiEPilEENS0_5tupleIJPlS6_EEENSJ_IJSD_SD_EEES6_SK_JS6_EEE10hipError_tPvRmT3_T4_T5_T6_T7_T9_mT8_P12ihipStream_tbDpT10_ENKUlT_T0_E_clISt17integral_constantIbLb1EES16_EEDaS11_S12_EUlS11_E_NS1_11comp_targetILNS1_3genE9ELNS1_11target_archE1100ELNS1_3gpuE3ELNS1_3repE0EEENS1_30default_config_static_selectorELNS0_4arch9wavefront6targetE1EEEvT1_.numbered_sgpr, 0
	.set _ZN7rocprim17ROCPRIM_400000_NS6detail17trampoline_kernelINS0_14default_configENS1_25partition_config_selectorILNS1_17partition_subalgoE5ElNS0_10empty_typeEbEEZZNS1_14partition_implILS5_5ELb0ES3_mN6hipcub16HIPCUB_304000_NS21CountingInputIteratorIllEEPS6_NSA_22TransformInputIteratorIb7NonZeroIiEPilEENS0_5tupleIJPlS6_EEENSJ_IJSD_SD_EEES6_SK_JS6_EEE10hipError_tPvRmT3_T4_T5_T6_T7_T9_mT8_P12ihipStream_tbDpT10_ENKUlT_T0_E_clISt17integral_constantIbLb1EES16_EEDaS11_S12_EUlS11_E_NS1_11comp_targetILNS1_3genE9ELNS1_11target_archE1100ELNS1_3gpuE3ELNS1_3repE0EEENS1_30default_config_static_selectorELNS0_4arch9wavefront6targetE1EEEvT1_.num_named_barrier, 0
	.set _ZN7rocprim17ROCPRIM_400000_NS6detail17trampoline_kernelINS0_14default_configENS1_25partition_config_selectorILNS1_17partition_subalgoE5ElNS0_10empty_typeEbEEZZNS1_14partition_implILS5_5ELb0ES3_mN6hipcub16HIPCUB_304000_NS21CountingInputIteratorIllEEPS6_NSA_22TransformInputIteratorIb7NonZeroIiEPilEENS0_5tupleIJPlS6_EEENSJ_IJSD_SD_EEES6_SK_JS6_EEE10hipError_tPvRmT3_T4_T5_T6_T7_T9_mT8_P12ihipStream_tbDpT10_ENKUlT_T0_E_clISt17integral_constantIbLb1EES16_EEDaS11_S12_EUlS11_E_NS1_11comp_targetILNS1_3genE9ELNS1_11target_archE1100ELNS1_3gpuE3ELNS1_3repE0EEENS1_30default_config_static_selectorELNS0_4arch9wavefront6targetE1EEEvT1_.private_seg_size, 0
	.set _ZN7rocprim17ROCPRIM_400000_NS6detail17trampoline_kernelINS0_14default_configENS1_25partition_config_selectorILNS1_17partition_subalgoE5ElNS0_10empty_typeEbEEZZNS1_14partition_implILS5_5ELb0ES3_mN6hipcub16HIPCUB_304000_NS21CountingInputIteratorIllEEPS6_NSA_22TransformInputIteratorIb7NonZeroIiEPilEENS0_5tupleIJPlS6_EEENSJ_IJSD_SD_EEES6_SK_JS6_EEE10hipError_tPvRmT3_T4_T5_T6_T7_T9_mT8_P12ihipStream_tbDpT10_ENKUlT_T0_E_clISt17integral_constantIbLb1EES16_EEDaS11_S12_EUlS11_E_NS1_11comp_targetILNS1_3genE9ELNS1_11target_archE1100ELNS1_3gpuE3ELNS1_3repE0EEENS1_30default_config_static_selectorELNS0_4arch9wavefront6targetE1EEEvT1_.uses_vcc, 0
	.set _ZN7rocprim17ROCPRIM_400000_NS6detail17trampoline_kernelINS0_14default_configENS1_25partition_config_selectorILNS1_17partition_subalgoE5ElNS0_10empty_typeEbEEZZNS1_14partition_implILS5_5ELb0ES3_mN6hipcub16HIPCUB_304000_NS21CountingInputIteratorIllEEPS6_NSA_22TransformInputIteratorIb7NonZeroIiEPilEENS0_5tupleIJPlS6_EEENSJ_IJSD_SD_EEES6_SK_JS6_EEE10hipError_tPvRmT3_T4_T5_T6_T7_T9_mT8_P12ihipStream_tbDpT10_ENKUlT_T0_E_clISt17integral_constantIbLb1EES16_EEDaS11_S12_EUlS11_E_NS1_11comp_targetILNS1_3genE9ELNS1_11target_archE1100ELNS1_3gpuE3ELNS1_3repE0EEENS1_30default_config_static_selectorELNS0_4arch9wavefront6targetE1EEEvT1_.uses_flat_scratch, 0
	.set _ZN7rocprim17ROCPRIM_400000_NS6detail17trampoline_kernelINS0_14default_configENS1_25partition_config_selectorILNS1_17partition_subalgoE5ElNS0_10empty_typeEbEEZZNS1_14partition_implILS5_5ELb0ES3_mN6hipcub16HIPCUB_304000_NS21CountingInputIteratorIllEEPS6_NSA_22TransformInputIteratorIb7NonZeroIiEPilEENS0_5tupleIJPlS6_EEENSJ_IJSD_SD_EEES6_SK_JS6_EEE10hipError_tPvRmT3_T4_T5_T6_T7_T9_mT8_P12ihipStream_tbDpT10_ENKUlT_T0_E_clISt17integral_constantIbLb1EES16_EEDaS11_S12_EUlS11_E_NS1_11comp_targetILNS1_3genE9ELNS1_11target_archE1100ELNS1_3gpuE3ELNS1_3repE0EEENS1_30default_config_static_selectorELNS0_4arch9wavefront6targetE1EEEvT1_.has_dyn_sized_stack, 0
	.set _ZN7rocprim17ROCPRIM_400000_NS6detail17trampoline_kernelINS0_14default_configENS1_25partition_config_selectorILNS1_17partition_subalgoE5ElNS0_10empty_typeEbEEZZNS1_14partition_implILS5_5ELb0ES3_mN6hipcub16HIPCUB_304000_NS21CountingInputIteratorIllEEPS6_NSA_22TransformInputIteratorIb7NonZeroIiEPilEENS0_5tupleIJPlS6_EEENSJ_IJSD_SD_EEES6_SK_JS6_EEE10hipError_tPvRmT3_T4_T5_T6_T7_T9_mT8_P12ihipStream_tbDpT10_ENKUlT_T0_E_clISt17integral_constantIbLb1EES16_EEDaS11_S12_EUlS11_E_NS1_11comp_targetILNS1_3genE9ELNS1_11target_archE1100ELNS1_3gpuE3ELNS1_3repE0EEENS1_30default_config_static_selectorELNS0_4arch9wavefront6targetE1EEEvT1_.has_recursion, 0
	.set _ZN7rocprim17ROCPRIM_400000_NS6detail17trampoline_kernelINS0_14default_configENS1_25partition_config_selectorILNS1_17partition_subalgoE5ElNS0_10empty_typeEbEEZZNS1_14partition_implILS5_5ELb0ES3_mN6hipcub16HIPCUB_304000_NS21CountingInputIteratorIllEEPS6_NSA_22TransformInputIteratorIb7NonZeroIiEPilEENS0_5tupleIJPlS6_EEENSJ_IJSD_SD_EEES6_SK_JS6_EEE10hipError_tPvRmT3_T4_T5_T6_T7_T9_mT8_P12ihipStream_tbDpT10_ENKUlT_T0_E_clISt17integral_constantIbLb1EES16_EEDaS11_S12_EUlS11_E_NS1_11comp_targetILNS1_3genE9ELNS1_11target_archE1100ELNS1_3gpuE3ELNS1_3repE0EEENS1_30default_config_static_selectorELNS0_4arch9wavefront6targetE1EEEvT1_.has_indirect_call, 0
	.section	.AMDGPU.csdata,"",@progbits
; Kernel info:
; codeLenInByte = 0
; TotalNumSgprs: 6
; NumVgprs: 0
; NumAgprs: 0
; TotalNumVgprs: 0
; ScratchSize: 0
; MemoryBound: 0
; FloatMode: 240
; IeeeMode: 1
; LDSByteSize: 0 bytes/workgroup (compile time only)
; SGPRBlocks: 0
; VGPRBlocks: 0
; NumSGPRsForWavesPerEU: 6
; NumVGPRsForWavesPerEU: 1
; AccumOffset: 4
; Occupancy: 8
; WaveLimiterHint : 0
; COMPUTE_PGM_RSRC2:SCRATCH_EN: 0
; COMPUTE_PGM_RSRC2:USER_SGPR: 2
; COMPUTE_PGM_RSRC2:TRAP_HANDLER: 0
; COMPUTE_PGM_RSRC2:TGID_X_EN: 1
; COMPUTE_PGM_RSRC2:TGID_Y_EN: 0
; COMPUTE_PGM_RSRC2:TGID_Z_EN: 0
; COMPUTE_PGM_RSRC2:TIDIG_COMP_CNT: 0
; COMPUTE_PGM_RSRC3_GFX90A:ACCUM_OFFSET: 0
; COMPUTE_PGM_RSRC3_GFX90A:TG_SPLIT: 0
	.section	.text._ZN7rocprim17ROCPRIM_400000_NS6detail17trampoline_kernelINS0_14default_configENS1_25partition_config_selectorILNS1_17partition_subalgoE5ElNS0_10empty_typeEbEEZZNS1_14partition_implILS5_5ELb0ES3_mN6hipcub16HIPCUB_304000_NS21CountingInputIteratorIllEEPS6_NSA_22TransformInputIteratorIb7NonZeroIiEPilEENS0_5tupleIJPlS6_EEENSJ_IJSD_SD_EEES6_SK_JS6_EEE10hipError_tPvRmT3_T4_T5_T6_T7_T9_mT8_P12ihipStream_tbDpT10_ENKUlT_T0_E_clISt17integral_constantIbLb1EES16_EEDaS11_S12_EUlS11_E_NS1_11comp_targetILNS1_3genE8ELNS1_11target_archE1030ELNS1_3gpuE2ELNS1_3repE0EEENS1_30default_config_static_selectorELNS0_4arch9wavefront6targetE1EEEvT1_,"axG",@progbits,_ZN7rocprim17ROCPRIM_400000_NS6detail17trampoline_kernelINS0_14default_configENS1_25partition_config_selectorILNS1_17partition_subalgoE5ElNS0_10empty_typeEbEEZZNS1_14partition_implILS5_5ELb0ES3_mN6hipcub16HIPCUB_304000_NS21CountingInputIteratorIllEEPS6_NSA_22TransformInputIteratorIb7NonZeroIiEPilEENS0_5tupleIJPlS6_EEENSJ_IJSD_SD_EEES6_SK_JS6_EEE10hipError_tPvRmT3_T4_T5_T6_T7_T9_mT8_P12ihipStream_tbDpT10_ENKUlT_T0_E_clISt17integral_constantIbLb1EES16_EEDaS11_S12_EUlS11_E_NS1_11comp_targetILNS1_3genE8ELNS1_11target_archE1030ELNS1_3gpuE2ELNS1_3repE0EEENS1_30default_config_static_selectorELNS0_4arch9wavefront6targetE1EEEvT1_,comdat
	.protected	_ZN7rocprim17ROCPRIM_400000_NS6detail17trampoline_kernelINS0_14default_configENS1_25partition_config_selectorILNS1_17partition_subalgoE5ElNS0_10empty_typeEbEEZZNS1_14partition_implILS5_5ELb0ES3_mN6hipcub16HIPCUB_304000_NS21CountingInputIteratorIllEEPS6_NSA_22TransformInputIteratorIb7NonZeroIiEPilEENS0_5tupleIJPlS6_EEENSJ_IJSD_SD_EEES6_SK_JS6_EEE10hipError_tPvRmT3_T4_T5_T6_T7_T9_mT8_P12ihipStream_tbDpT10_ENKUlT_T0_E_clISt17integral_constantIbLb1EES16_EEDaS11_S12_EUlS11_E_NS1_11comp_targetILNS1_3genE8ELNS1_11target_archE1030ELNS1_3gpuE2ELNS1_3repE0EEENS1_30default_config_static_selectorELNS0_4arch9wavefront6targetE1EEEvT1_ ; -- Begin function _ZN7rocprim17ROCPRIM_400000_NS6detail17trampoline_kernelINS0_14default_configENS1_25partition_config_selectorILNS1_17partition_subalgoE5ElNS0_10empty_typeEbEEZZNS1_14partition_implILS5_5ELb0ES3_mN6hipcub16HIPCUB_304000_NS21CountingInputIteratorIllEEPS6_NSA_22TransformInputIteratorIb7NonZeroIiEPilEENS0_5tupleIJPlS6_EEENSJ_IJSD_SD_EEES6_SK_JS6_EEE10hipError_tPvRmT3_T4_T5_T6_T7_T9_mT8_P12ihipStream_tbDpT10_ENKUlT_T0_E_clISt17integral_constantIbLb1EES16_EEDaS11_S12_EUlS11_E_NS1_11comp_targetILNS1_3genE8ELNS1_11target_archE1030ELNS1_3gpuE2ELNS1_3repE0EEENS1_30default_config_static_selectorELNS0_4arch9wavefront6targetE1EEEvT1_
	.globl	_ZN7rocprim17ROCPRIM_400000_NS6detail17trampoline_kernelINS0_14default_configENS1_25partition_config_selectorILNS1_17partition_subalgoE5ElNS0_10empty_typeEbEEZZNS1_14partition_implILS5_5ELb0ES3_mN6hipcub16HIPCUB_304000_NS21CountingInputIteratorIllEEPS6_NSA_22TransformInputIteratorIb7NonZeroIiEPilEENS0_5tupleIJPlS6_EEENSJ_IJSD_SD_EEES6_SK_JS6_EEE10hipError_tPvRmT3_T4_T5_T6_T7_T9_mT8_P12ihipStream_tbDpT10_ENKUlT_T0_E_clISt17integral_constantIbLb1EES16_EEDaS11_S12_EUlS11_E_NS1_11comp_targetILNS1_3genE8ELNS1_11target_archE1030ELNS1_3gpuE2ELNS1_3repE0EEENS1_30default_config_static_selectorELNS0_4arch9wavefront6targetE1EEEvT1_
	.p2align	8
	.type	_ZN7rocprim17ROCPRIM_400000_NS6detail17trampoline_kernelINS0_14default_configENS1_25partition_config_selectorILNS1_17partition_subalgoE5ElNS0_10empty_typeEbEEZZNS1_14partition_implILS5_5ELb0ES3_mN6hipcub16HIPCUB_304000_NS21CountingInputIteratorIllEEPS6_NSA_22TransformInputIteratorIb7NonZeroIiEPilEENS0_5tupleIJPlS6_EEENSJ_IJSD_SD_EEES6_SK_JS6_EEE10hipError_tPvRmT3_T4_T5_T6_T7_T9_mT8_P12ihipStream_tbDpT10_ENKUlT_T0_E_clISt17integral_constantIbLb1EES16_EEDaS11_S12_EUlS11_E_NS1_11comp_targetILNS1_3genE8ELNS1_11target_archE1030ELNS1_3gpuE2ELNS1_3repE0EEENS1_30default_config_static_selectorELNS0_4arch9wavefront6targetE1EEEvT1_,@function
_ZN7rocprim17ROCPRIM_400000_NS6detail17trampoline_kernelINS0_14default_configENS1_25partition_config_selectorILNS1_17partition_subalgoE5ElNS0_10empty_typeEbEEZZNS1_14partition_implILS5_5ELb0ES3_mN6hipcub16HIPCUB_304000_NS21CountingInputIteratorIllEEPS6_NSA_22TransformInputIteratorIb7NonZeroIiEPilEENS0_5tupleIJPlS6_EEENSJ_IJSD_SD_EEES6_SK_JS6_EEE10hipError_tPvRmT3_T4_T5_T6_T7_T9_mT8_P12ihipStream_tbDpT10_ENKUlT_T0_E_clISt17integral_constantIbLb1EES16_EEDaS11_S12_EUlS11_E_NS1_11comp_targetILNS1_3genE8ELNS1_11target_archE1030ELNS1_3gpuE2ELNS1_3repE0EEENS1_30default_config_static_selectorELNS0_4arch9wavefront6targetE1EEEvT1_: ; @_ZN7rocprim17ROCPRIM_400000_NS6detail17trampoline_kernelINS0_14default_configENS1_25partition_config_selectorILNS1_17partition_subalgoE5ElNS0_10empty_typeEbEEZZNS1_14partition_implILS5_5ELb0ES3_mN6hipcub16HIPCUB_304000_NS21CountingInputIteratorIllEEPS6_NSA_22TransformInputIteratorIb7NonZeroIiEPilEENS0_5tupleIJPlS6_EEENSJ_IJSD_SD_EEES6_SK_JS6_EEE10hipError_tPvRmT3_T4_T5_T6_T7_T9_mT8_P12ihipStream_tbDpT10_ENKUlT_T0_E_clISt17integral_constantIbLb1EES16_EEDaS11_S12_EUlS11_E_NS1_11comp_targetILNS1_3genE8ELNS1_11target_archE1030ELNS1_3gpuE2ELNS1_3repE0EEENS1_30default_config_static_selectorELNS0_4arch9wavefront6targetE1EEEvT1_
; %bb.0:
	.section	.rodata,"a",@progbits
	.p2align	6, 0x0
	.amdhsa_kernel _ZN7rocprim17ROCPRIM_400000_NS6detail17trampoline_kernelINS0_14default_configENS1_25partition_config_selectorILNS1_17partition_subalgoE5ElNS0_10empty_typeEbEEZZNS1_14partition_implILS5_5ELb0ES3_mN6hipcub16HIPCUB_304000_NS21CountingInputIteratorIllEEPS6_NSA_22TransformInputIteratorIb7NonZeroIiEPilEENS0_5tupleIJPlS6_EEENSJ_IJSD_SD_EEES6_SK_JS6_EEE10hipError_tPvRmT3_T4_T5_T6_T7_T9_mT8_P12ihipStream_tbDpT10_ENKUlT_T0_E_clISt17integral_constantIbLb1EES16_EEDaS11_S12_EUlS11_E_NS1_11comp_targetILNS1_3genE8ELNS1_11target_archE1030ELNS1_3gpuE2ELNS1_3repE0EEENS1_30default_config_static_selectorELNS0_4arch9wavefront6targetE1EEEvT1_
		.amdhsa_group_segment_fixed_size 0
		.amdhsa_private_segment_fixed_size 0
		.amdhsa_kernarg_size 136
		.amdhsa_user_sgpr_count 2
		.amdhsa_user_sgpr_dispatch_ptr 0
		.amdhsa_user_sgpr_queue_ptr 0
		.amdhsa_user_sgpr_kernarg_segment_ptr 1
		.amdhsa_user_sgpr_dispatch_id 0
		.amdhsa_user_sgpr_kernarg_preload_length 0
		.amdhsa_user_sgpr_kernarg_preload_offset 0
		.amdhsa_user_sgpr_private_segment_size 0
		.amdhsa_uses_dynamic_stack 0
		.amdhsa_enable_private_segment 0
		.amdhsa_system_sgpr_workgroup_id_x 1
		.amdhsa_system_sgpr_workgroup_id_y 0
		.amdhsa_system_sgpr_workgroup_id_z 0
		.amdhsa_system_sgpr_workgroup_info 0
		.amdhsa_system_vgpr_workitem_id 0
		.amdhsa_next_free_vgpr 1
		.amdhsa_next_free_sgpr 0
		.amdhsa_accum_offset 4
		.amdhsa_reserve_vcc 0
		.amdhsa_float_round_mode_32 0
		.amdhsa_float_round_mode_16_64 0
		.amdhsa_float_denorm_mode_32 3
		.amdhsa_float_denorm_mode_16_64 3
		.amdhsa_dx10_clamp 1
		.amdhsa_ieee_mode 1
		.amdhsa_fp16_overflow 0
		.amdhsa_tg_split 0
		.amdhsa_exception_fp_ieee_invalid_op 0
		.amdhsa_exception_fp_denorm_src 0
		.amdhsa_exception_fp_ieee_div_zero 0
		.amdhsa_exception_fp_ieee_overflow 0
		.amdhsa_exception_fp_ieee_underflow 0
		.amdhsa_exception_fp_ieee_inexact 0
		.amdhsa_exception_int_div_zero 0
	.end_amdhsa_kernel
	.section	.text._ZN7rocprim17ROCPRIM_400000_NS6detail17trampoline_kernelINS0_14default_configENS1_25partition_config_selectorILNS1_17partition_subalgoE5ElNS0_10empty_typeEbEEZZNS1_14partition_implILS5_5ELb0ES3_mN6hipcub16HIPCUB_304000_NS21CountingInputIteratorIllEEPS6_NSA_22TransformInputIteratorIb7NonZeroIiEPilEENS0_5tupleIJPlS6_EEENSJ_IJSD_SD_EEES6_SK_JS6_EEE10hipError_tPvRmT3_T4_T5_T6_T7_T9_mT8_P12ihipStream_tbDpT10_ENKUlT_T0_E_clISt17integral_constantIbLb1EES16_EEDaS11_S12_EUlS11_E_NS1_11comp_targetILNS1_3genE8ELNS1_11target_archE1030ELNS1_3gpuE2ELNS1_3repE0EEENS1_30default_config_static_selectorELNS0_4arch9wavefront6targetE1EEEvT1_,"axG",@progbits,_ZN7rocprim17ROCPRIM_400000_NS6detail17trampoline_kernelINS0_14default_configENS1_25partition_config_selectorILNS1_17partition_subalgoE5ElNS0_10empty_typeEbEEZZNS1_14partition_implILS5_5ELb0ES3_mN6hipcub16HIPCUB_304000_NS21CountingInputIteratorIllEEPS6_NSA_22TransformInputIteratorIb7NonZeroIiEPilEENS0_5tupleIJPlS6_EEENSJ_IJSD_SD_EEES6_SK_JS6_EEE10hipError_tPvRmT3_T4_T5_T6_T7_T9_mT8_P12ihipStream_tbDpT10_ENKUlT_T0_E_clISt17integral_constantIbLb1EES16_EEDaS11_S12_EUlS11_E_NS1_11comp_targetILNS1_3genE8ELNS1_11target_archE1030ELNS1_3gpuE2ELNS1_3repE0EEENS1_30default_config_static_selectorELNS0_4arch9wavefront6targetE1EEEvT1_,comdat
.Lfunc_end200:
	.size	_ZN7rocprim17ROCPRIM_400000_NS6detail17trampoline_kernelINS0_14default_configENS1_25partition_config_selectorILNS1_17partition_subalgoE5ElNS0_10empty_typeEbEEZZNS1_14partition_implILS5_5ELb0ES3_mN6hipcub16HIPCUB_304000_NS21CountingInputIteratorIllEEPS6_NSA_22TransformInputIteratorIb7NonZeroIiEPilEENS0_5tupleIJPlS6_EEENSJ_IJSD_SD_EEES6_SK_JS6_EEE10hipError_tPvRmT3_T4_T5_T6_T7_T9_mT8_P12ihipStream_tbDpT10_ENKUlT_T0_E_clISt17integral_constantIbLb1EES16_EEDaS11_S12_EUlS11_E_NS1_11comp_targetILNS1_3genE8ELNS1_11target_archE1030ELNS1_3gpuE2ELNS1_3repE0EEENS1_30default_config_static_selectorELNS0_4arch9wavefront6targetE1EEEvT1_, .Lfunc_end200-_ZN7rocprim17ROCPRIM_400000_NS6detail17trampoline_kernelINS0_14default_configENS1_25partition_config_selectorILNS1_17partition_subalgoE5ElNS0_10empty_typeEbEEZZNS1_14partition_implILS5_5ELb0ES3_mN6hipcub16HIPCUB_304000_NS21CountingInputIteratorIllEEPS6_NSA_22TransformInputIteratorIb7NonZeroIiEPilEENS0_5tupleIJPlS6_EEENSJ_IJSD_SD_EEES6_SK_JS6_EEE10hipError_tPvRmT3_T4_T5_T6_T7_T9_mT8_P12ihipStream_tbDpT10_ENKUlT_T0_E_clISt17integral_constantIbLb1EES16_EEDaS11_S12_EUlS11_E_NS1_11comp_targetILNS1_3genE8ELNS1_11target_archE1030ELNS1_3gpuE2ELNS1_3repE0EEENS1_30default_config_static_selectorELNS0_4arch9wavefront6targetE1EEEvT1_
                                        ; -- End function
	.set _ZN7rocprim17ROCPRIM_400000_NS6detail17trampoline_kernelINS0_14default_configENS1_25partition_config_selectorILNS1_17partition_subalgoE5ElNS0_10empty_typeEbEEZZNS1_14partition_implILS5_5ELb0ES3_mN6hipcub16HIPCUB_304000_NS21CountingInputIteratorIllEEPS6_NSA_22TransformInputIteratorIb7NonZeroIiEPilEENS0_5tupleIJPlS6_EEENSJ_IJSD_SD_EEES6_SK_JS6_EEE10hipError_tPvRmT3_T4_T5_T6_T7_T9_mT8_P12ihipStream_tbDpT10_ENKUlT_T0_E_clISt17integral_constantIbLb1EES16_EEDaS11_S12_EUlS11_E_NS1_11comp_targetILNS1_3genE8ELNS1_11target_archE1030ELNS1_3gpuE2ELNS1_3repE0EEENS1_30default_config_static_selectorELNS0_4arch9wavefront6targetE1EEEvT1_.num_vgpr, 0
	.set _ZN7rocprim17ROCPRIM_400000_NS6detail17trampoline_kernelINS0_14default_configENS1_25partition_config_selectorILNS1_17partition_subalgoE5ElNS0_10empty_typeEbEEZZNS1_14partition_implILS5_5ELb0ES3_mN6hipcub16HIPCUB_304000_NS21CountingInputIteratorIllEEPS6_NSA_22TransformInputIteratorIb7NonZeroIiEPilEENS0_5tupleIJPlS6_EEENSJ_IJSD_SD_EEES6_SK_JS6_EEE10hipError_tPvRmT3_T4_T5_T6_T7_T9_mT8_P12ihipStream_tbDpT10_ENKUlT_T0_E_clISt17integral_constantIbLb1EES16_EEDaS11_S12_EUlS11_E_NS1_11comp_targetILNS1_3genE8ELNS1_11target_archE1030ELNS1_3gpuE2ELNS1_3repE0EEENS1_30default_config_static_selectorELNS0_4arch9wavefront6targetE1EEEvT1_.num_agpr, 0
	.set _ZN7rocprim17ROCPRIM_400000_NS6detail17trampoline_kernelINS0_14default_configENS1_25partition_config_selectorILNS1_17partition_subalgoE5ElNS0_10empty_typeEbEEZZNS1_14partition_implILS5_5ELb0ES3_mN6hipcub16HIPCUB_304000_NS21CountingInputIteratorIllEEPS6_NSA_22TransformInputIteratorIb7NonZeroIiEPilEENS0_5tupleIJPlS6_EEENSJ_IJSD_SD_EEES6_SK_JS6_EEE10hipError_tPvRmT3_T4_T5_T6_T7_T9_mT8_P12ihipStream_tbDpT10_ENKUlT_T0_E_clISt17integral_constantIbLb1EES16_EEDaS11_S12_EUlS11_E_NS1_11comp_targetILNS1_3genE8ELNS1_11target_archE1030ELNS1_3gpuE2ELNS1_3repE0EEENS1_30default_config_static_selectorELNS0_4arch9wavefront6targetE1EEEvT1_.numbered_sgpr, 0
	.set _ZN7rocprim17ROCPRIM_400000_NS6detail17trampoline_kernelINS0_14default_configENS1_25partition_config_selectorILNS1_17partition_subalgoE5ElNS0_10empty_typeEbEEZZNS1_14partition_implILS5_5ELb0ES3_mN6hipcub16HIPCUB_304000_NS21CountingInputIteratorIllEEPS6_NSA_22TransformInputIteratorIb7NonZeroIiEPilEENS0_5tupleIJPlS6_EEENSJ_IJSD_SD_EEES6_SK_JS6_EEE10hipError_tPvRmT3_T4_T5_T6_T7_T9_mT8_P12ihipStream_tbDpT10_ENKUlT_T0_E_clISt17integral_constantIbLb1EES16_EEDaS11_S12_EUlS11_E_NS1_11comp_targetILNS1_3genE8ELNS1_11target_archE1030ELNS1_3gpuE2ELNS1_3repE0EEENS1_30default_config_static_selectorELNS0_4arch9wavefront6targetE1EEEvT1_.num_named_barrier, 0
	.set _ZN7rocprim17ROCPRIM_400000_NS6detail17trampoline_kernelINS0_14default_configENS1_25partition_config_selectorILNS1_17partition_subalgoE5ElNS0_10empty_typeEbEEZZNS1_14partition_implILS5_5ELb0ES3_mN6hipcub16HIPCUB_304000_NS21CountingInputIteratorIllEEPS6_NSA_22TransformInputIteratorIb7NonZeroIiEPilEENS0_5tupleIJPlS6_EEENSJ_IJSD_SD_EEES6_SK_JS6_EEE10hipError_tPvRmT3_T4_T5_T6_T7_T9_mT8_P12ihipStream_tbDpT10_ENKUlT_T0_E_clISt17integral_constantIbLb1EES16_EEDaS11_S12_EUlS11_E_NS1_11comp_targetILNS1_3genE8ELNS1_11target_archE1030ELNS1_3gpuE2ELNS1_3repE0EEENS1_30default_config_static_selectorELNS0_4arch9wavefront6targetE1EEEvT1_.private_seg_size, 0
	.set _ZN7rocprim17ROCPRIM_400000_NS6detail17trampoline_kernelINS0_14default_configENS1_25partition_config_selectorILNS1_17partition_subalgoE5ElNS0_10empty_typeEbEEZZNS1_14partition_implILS5_5ELb0ES3_mN6hipcub16HIPCUB_304000_NS21CountingInputIteratorIllEEPS6_NSA_22TransformInputIteratorIb7NonZeroIiEPilEENS0_5tupleIJPlS6_EEENSJ_IJSD_SD_EEES6_SK_JS6_EEE10hipError_tPvRmT3_T4_T5_T6_T7_T9_mT8_P12ihipStream_tbDpT10_ENKUlT_T0_E_clISt17integral_constantIbLb1EES16_EEDaS11_S12_EUlS11_E_NS1_11comp_targetILNS1_3genE8ELNS1_11target_archE1030ELNS1_3gpuE2ELNS1_3repE0EEENS1_30default_config_static_selectorELNS0_4arch9wavefront6targetE1EEEvT1_.uses_vcc, 0
	.set _ZN7rocprim17ROCPRIM_400000_NS6detail17trampoline_kernelINS0_14default_configENS1_25partition_config_selectorILNS1_17partition_subalgoE5ElNS0_10empty_typeEbEEZZNS1_14partition_implILS5_5ELb0ES3_mN6hipcub16HIPCUB_304000_NS21CountingInputIteratorIllEEPS6_NSA_22TransformInputIteratorIb7NonZeroIiEPilEENS0_5tupleIJPlS6_EEENSJ_IJSD_SD_EEES6_SK_JS6_EEE10hipError_tPvRmT3_T4_T5_T6_T7_T9_mT8_P12ihipStream_tbDpT10_ENKUlT_T0_E_clISt17integral_constantIbLb1EES16_EEDaS11_S12_EUlS11_E_NS1_11comp_targetILNS1_3genE8ELNS1_11target_archE1030ELNS1_3gpuE2ELNS1_3repE0EEENS1_30default_config_static_selectorELNS0_4arch9wavefront6targetE1EEEvT1_.uses_flat_scratch, 0
	.set _ZN7rocprim17ROCPRIM_400000_NS6detail17trampoline_kernelINS0_14default_configENS1_25partition_config_selectorILNS1_17partition_subalgoE5ElNS0_10empty_typeEbEEZZNS1_14partition_implILS5_5ELb0ES3_mN6hipcub16HIPCUB_304000_NS21CountingInputIteratorIllEEPS6_NSA_22TransformInputIteratorIb7NonZeroIiEPilEENS0_5tupleIJPlS6_EEENSJ_IJSD_SD_EEES6_SK_JS6_EEE10hipError_tPvRmT3_T4_T5_T6_T7_T9_mT8_P12ihipStream_tbDpT10_ENKUlT_T0_E_clISt17integral_constantIbLb1EES16_EEDaS11_S12_EUlS11_E_NS1_11comp_targetILNS1_3genE8ELNS1_11target_archE1030ELNS1_3gpuE2ELNS1_3repE0EEENS1_30default_config_static_selectorELNS0_4arch9wavefront6targetE1EEEvT1_.has_dyn_sized_stack, 0
	.set _ZN7rocprim17ROCPRIM_400000_NS6detail17trampoline_kernelINS0_14default_configENS1_25partition_config_selectorILNS1_17partition_subalgoE5ElNS0_10empty_typeEbEEZZNS1_14partition_implILS5_5ELb0ES3_mN6hipcub16HIPCUB_304000_NS21CountingInputIteratorIllEEPS6_NSA_22TransformInputIteratorIb7NonZeroIiEPilEENS0_5tupleIJPlS6_EEENSJ_IJSD_SD_EEES6_SK_JS6_EEE10hipError_tPvRmT3_T4_T5_T6_T7_T9_mT8_P12ihipStream_tbDpT10_ENKUlT_T0_E_clISt17integral_constantIbLb1EES16_EEDaS11_S12_EUlS11_E_NS1_11comp_targetILNS1_3genE8ELNS1_11target_archE1030ELNS1_3gpuE2ELNS1_3repE0EEENS1_30default_config_static_selectorELNS0_4arch9wavefront6targetE1EEEvT1_.has_recursion, 0
	.set _ZN7rocprim17ROCPRIM_400000_NS6detail17trampoline_kernelINS0_14default_configENS1_25partition_config_selectorILNS1_17partition_subalgoE5ElNS0_10empty_typeEbEEZZNS1_14partition_implILS5_5ELb0ES3_mN6hipcub16HIPCUB_304000_NS21CountingInputIteratorIllEEPS6_NSA_22TransformInputIteratorIb7NonZeroIiEPilEENS0_5tupleIJPlS6_EEENSJ_IJSD_SD_EEES6_SK_JS6_EEE10hipError_tPvRmT3_T4_T5_T6_T7_T9_mT8_P12ihipStream_tbDpT10_ENKUlT_T0_E_clISt17integral_constantIbLb1EES16_EEDaS11_S12_EUlS11_E_NS1_11comp_targetILNS1_3genE8ELNS1_11target_archE1030ELNS1_3gpuE2ELNS1_3repE0EEENS1_30default_config_static_selectorELNS0_4arch9wavefront6targetE1EEEvT1_.has_indirect_call, 0
	.section	.AMDGPU.csdata,"",@progbits
; Kernel info:
; codeLenInByte = 0
; TotalNumSgprs: 6
; NumVgprs: 0
; NumAgprs: 0
; TotalNumVgprs: 0
; ScratchSize: 0
; MemoryBound: 0
; FloatMode: 240
; IeeeMode: 1
; LDSByteSize: 0 bytes/workgroup (compile time only)
; SGPRBlocks: 0
; VGPRBlocks: 0
; NumSGPRsForWavesPerEU: 6
; NumVGPRsForWavesPerEU: 1
; AccumOffset: 4
; Occupancy: 8
; WaveLimiterHint : 0
; COMPUTE_PGM_RSRC2:SCRATCH_EN: 0
; COMPUTE_PGM_RSRC2:USER_SGPR: 2
; COMPUTE_PGM_RSRC2:TRAP_HANDLER: 0
; COMPUTE_PGM_RSRC2:TGID_X_EN: 1
; COMPUTE_PGM_RSRC2:TGID_Y_EN: 0
; COMPUTE_PGM_RSRC2:TGID_Z_EN: 0
; COMPUTE_PGM_RSRC2:TIDIG_COMP_CNT: 0
; COMPUTE_PGM_RSRC3_GFX90A:ACCUM_OFFSET: 0
; COMPUTE_PGM_RSRC3_GFX90A:TG_SPLIT: 0
	.section	.text._ZN7rocprim17ROCPRIM_400000_NS6detail17trampoline_kernelINS0_14default_configENS1_25partition_config_selectorILNS1_17partition_subalgoE5ElNS0_10empty_typeEbEEZZNS1_14partition_implILS5_5ELb0ES3_mN6hipcub16HIPCUB_304000_NS21CountingInputIteratorIllEEPS6_NSA_22TransformInputIteratorIb7NonZeroIiEPilEENS0_5tupleIJPlS6_EEENSJ_IJSD_SD_EEES6_SK_JS6_EEE10hipError_tPvRmT3_T4_T5_T6_T7_T9_mT8_P12ihipStream_tbDpT10_ENKUlT_T0_E_clISt17integral_constantIbLb1EES15_IbLb0EEEEDaS11_S12_EUlS11_E_NS1_11comp_targetILNS1_3genE0ELNS1_11target_archE4294967295ELNS1_3gpuE0ELNS1_3repE0EEENS1_30default_config_static_selectorELNS0_4arch9wavefront6targetE1EEEvT1_,"axG",@progbits,_ZN7rocprim17ROCPRIM_400000_NS6detail17trampoline_kernelINS0_14default_configENS1_25partition_config_selectorILNS1_17partition_subalgoE5ElNS0_10empty_typeEbEEZZNS1_14partition_implILS5_5ELb0ES3_mN6hipcub16HIPCUB_304000_NS21CountingInputIteratorIllEEPS6_NSA_22TransformInputIteratorIb7NonZeroIiEPilEENS0_5tupleIJPlS6_EEENSJ_IJSD_SD_EEES6_SK_JS6_EEE10hipError_tPvRmT3_T4_T5_T6_T7_T9_mT8_P12ihipStream_tbDpT10_ENKUlT_T0_E_clISt17integral_constantIbLb1EES15_IbLb0EEEEDaS11_S12_EUlS11_E_NS1_11comp_targetILNS1_3genE0ELNS1_11target_archE4294967295ELNS1_3gpuE0ELNS1_3repE0EEENS1_30default_config_static_selectorELNS0_4arch9wavefront6targetE1EEEvT1_,comdat
	.protected	_ZN7rocprim17ROCPRIM_400000_NS6detail17trampoline_kernelINS0_14default_configENS1_25partition_config_selectorILNS1_17partition_subalgoE5ElNS0_10empty_typeEbEEZZNS1_14partition_implILS5_5ELb0ES3_mN6hipcub16HIPCUB_304000_NS21CountingInputIteratorIllEEPS6_NSA_22TransformInputIteratorIb7NonZeroIiEPilEENS0_5tupleIJPlS6_EEENSJ_IJSD_SD_EEES6_SK_JS6_EEE10hipError_tPvRmT3_T4_T5_T6_T7_T9_mT8_P12ihipStream_tbDpT10_ENKUlT_T0_E_clISt17integral_constantIbLb1EES15_IbLb0EEEEDaS11_S12_EUlS11_E_NS1_11comp_targetILNS1_3genE0ELNS1_11target_archE4294967295ELNS1_3gpuE0ELNS1_3repE0EEENS1_30default_config_static_selectorELNS0_4arch9wavefront6targetE1EEEvT1_ ; -- Begin function _ZN7rocprim17ROCPRIM_400000_NS6detail17trampoline_kernelINS0_14default_configENS1_25partition_config_selectorILNS1_17partition_subalgoE5ElNS0_10empty_typeEbEEZZNS1_14partition_implILS5_5ELb0ES3_mN6hipcub16HIPCUB_304000_NS21CountingInputIteratorIllEEPS6_NSA_22TransformInputIteratorIb7NonZeroIiEPilEENS0_5tupleIJPlS6_EEENSJ_IJSD_SD_EEES6_SK_JS6_EEE10hipError_tPvRmT3_T4_T5_T6_T7_T9_mT8_P12ihipStream_tbDpT10_ENKUlT_T0_E_clISt17integral_constantIbLb1EES15_IbLb0EEEEDaS11_S12_EUlS11_E_NS1_11comp_targetILNS1_3genE0ELNS1_11target_archE4294967295ELNS1_3gpuE0ELNS1_3repE0EEENS1_30default_config_static_selectorELNS0_4arch9wavefront6targetE1EEEvT1_
	.globl	_ZN7rocprim17ROCPRIM_400000_NS6detail17trampoline_kernelINS0_14default_configENS1_25partition_config_selectorILNS1_17partition_subalgoE5ElNS0_10empty_typeEbEEZZNS1_14partition_implILS5_5ELb0ES3_mN6hipcub16HIPCUB_304000_NS21CountingInputIteratorIllEEPS6_NSA_22TransformInputIteratorIb7NonZeroIiEPilEENS0_5tupleIJPlS6_EEENSJ_IJSD_SD_EEES6_SK_JS6_EEE10hipError_tPvRmT3_T4_T5_T6_T7_T9_mT8_P12ihipStream_tbDpT10_ENKUlT_T0_E_clISt17integral_constantIbLb1EES15_IbLb0EEEEDaS11_S12_EUlS11_E_NS1_11comp_targetILNS1_3genE0ELNS1_11target_archE4294967295ELNS1_3gpuE0ELNS1_3repE0EEENS1_30default_config_static_selectorELNS0_4arch9wavefront6targetE1EEEvT1_
	.p2align	8
	.type	_ZN7rocprim17ROCPRIM_400000_NS6detail17trampoline_kernelINS0_14default_configENS1_25partition_config_selectorILNS1_17partition_subalgoE5ElNS0_10empty_typeEbEEZZNS1_14partition_implILS5_5ELb0ES3_mN6hipcub16HIPCUB_304000_NS21CountingInputIteratorIllEEPS6_NSA_22TransformInputIteratorIb7NonZeroIiEPilEENS0_5tupleIJPlS6_EEENSJ_IJSD_SD_EEES6_SK_JS6_EEE10hipError_tPvRmT3_T4_T5_T6_T7_T9_mT8_P12ihipStream_tbDpT10_ENKUlT_T0_E_clISt17integral_constantIbLb1EES15_IbLb0EEEEDaS11_S12_EUlS11_E_NS1_11comp_targetILNS1_3genE0ELNS1_11target_archE4294967295ELNS1_3gpuE0ELNS1_3repE0EEENS1_30default_config_static_selectorELNS0_4arch9wavefront6targetE1EEEvT1_,@function
_ZN7rocprim17ROCPRIM_400000_NS6detail17trampoline_kernelINS0_14default_configENS1_25partition_config_selectorILNS1_17partition_subalgoE5ElNS0_10empty_typeEbEEZZNS1_14partition_implILS5_5ELb0ES3_mN6hipcub16HIPCUB_304000_NS21CountingInputIteratorIllEEPS6_NSA_22TransformInputIteratorIb7NonZeroIiEPilEENS0_5tupleIJPlS6_EEENSJ_IJSD_SD_EEES6_SK_JS6_EEE10hipError_tPvRmT3_T4_T5_T6_T7_T9_mT8_P12ihipStream_tbDpT10_ENKUlT_T0_E_clISt17integral_constantIbLb1EES15_IbLb0EEEEDaS11_S12_EUlS11_E_NS1_11comp_targetILNS1_3genE0ELNS1_11target_archE4294967295ELNS1_3gpuE0ELNS1_3repE0EEENS1_30default_config_static_selectorELNS0_4arch9wavefront6targetE1EEEvT1_: ; @_ZN7rocprim17ROCPRIM_400000_NS6detail17trampoline_kernelINS0_14default_configENS1_25partition_config_selectorILNS1_17partition_subalgoE5ElNS0_10empty_typeEbEEZZNS1_14partition_implILS5_5ELb0ES3_mN6hipcub16HIPCUB_304000_NS21CountingInputIteratorIllEEPS6_NSA_22TransformInputIteratorIb7NonZeroIiEPilEENS0_5tupleIJPlS6_EEENSJ_IJSD_SD_EEES6_SK_JS6_EEE10hipError_tPvRmT3_T4_T5_T6_T7_T9_mT8_P12ihipStream_tbDpT10_ENKUlT_T0_E_clISt17integral_constantIbLb1EES15_IbLb0EEEEDaS11_S12_EUlS11_E_NS1_11comp_targetILNS1_3genE0ELNS1_11target_archE4294967295ELNS1_3gpuE0ELNS1_3repE0EEENS1_30default_config_static_selectorELNS0_4arch9wavefront6targetE1EEEvT1_
; %bb.0:
	s_endpgm
	.section	.rodata,"a",@progbits
	.p2align	6, 0x0
	.amdhsa_kernel _ZN7rocprim17ROCPRIM_400000_NS6detail17trampoline_kernelINS0_14default_configENS1_25partition_config_selectorILNS1_17partition_subalgoE5ElNS0_10empty_typeEbEEZZNS1_14partition_implILS5_5ELb0ES3_mN6hipcub16HIPCUB_304000_NS21CountingInputIteratorIllEEPS6_NSA_22TransformInputIteratorIb7NonZeroIiEPilEENS0_5tupleIJPlS6_EEENSJ_IJSD_SD_EEES6_SK_JS6_EEE10hipError_tPvRmT3_T4_T5_T6_T7_T9_mT8_P12ihipStream_tbDpT10_ENKUlT_T0_E_clISt17integral_constantIbLb1EES15_IbLb0EEEEDaS11_S12_EUlS11_E_NS1_11comp_targetILNS1_3genE0ELNS1_11target_archE4294967295ELNS1_3gpuE0ELNS1_3repE0EEENS1_30default_config_static_selectorELNS0_4arch9wavefront6targetE1EEEvT1_
		.amdhsa_group_segment_fixed_size 0
		.amdhsa_private_segment_fixed_size 0
		.amdhsa_kernarg_size 120
		.amdhsa_user_sgpr_count 2
		.amdhsa_user_sgpr_dispatch_ptr 0
		.amdhsa_user_sgpr_queue_ptr 0
		.amdhsa_user_sgpr_kernarg_segment_ptr 1
		.amdhsa_user_sgpr_dispatch_id 0
		.amdhsa_user_sgpr_kernarg_preload_length 0
		.amdhsa_user_sgpr_kernarg_preload_offset 0
		.amdhsa_user_sgpr_private_segment_size 0
		.amdhsa_uses_dynamic_stack 0
		.amdhsa_enable_private_segment 0
		.amdhsa_system_sgpr_workgroup_id_x 1
		.amdhsa_system_sgpr_workgroup_id_y 0
		.amdhsa_system_sgpr_workgroup_id_z 0
		.amdhsa_system_sgpr_workgroup_info 0
		.amdhsa_system_vgpr_workitem_id 0
		.amdhsa_next_free_vgpr 1
		.amdhsa_next_free_sgpr 0
		.amdhsa_accum_offset 4
		.amdhsa_reserve_vcc 0
		.amdhsa_float_round_mode_32 0
		.amdhsa_float_round_mode_16_64 0
		.amdhsa_float_denorm_mode_32 3
		.amdhsa_float_denorm_mode_16_64 3
		.amdhsa_dx10_clamp 1
		.amdhsa_ieee_mode 1
		.amdhsa_fp16_overflow 0
		.amdhsa_tg_split 0
		.amdhsa_exception_fp_ieee_invalid_op 0
		.amdhsa_exception_fp_denorm_src 0
		.amdhsa_exception_fp_ieee_div_zero 0
		.amdhsa_exception_fp_ieee_overflow 0
		.amdhsa_exception_fp_ieee_underflow 0
		.amdhsa_exception_fp_ieee_inexact 0
		.amdhsa_exception_int_div_zero 0
	.end_amdhsa_kernel
	.section	.text._ZN7rocprim17ROCPRIM_400000_NS6detail17trampoline_kernelINS0_14default_configENS1_25partition_config_selectorILNS1_17partition_subalgoE5ElNS0_10empty_typeEbEEZZNS1_14partition_implILS5_5ELb0ES3_mN6hipcub16HIPCUB_304000_NS21CountingInputIteratorIllEEPS6_NSA_22TransformInputIteratorIb7NonZeroIiEPilEENS0_5tupleIJPlS6_EEENSJ_IJSD_SD_EEES6_SK_JS6_EEE10hipError_tPvRmT3_T4_T5_T6_T7_T9_mT8_P12ihipStream_tbDpT10_ENKUlT_T0_E_clISt17integral_constantIbLb1EES15_IbLb0EEEEDaS11_S12_EUlS11_E_NS1_11comp_targetILNS1_3genE0ELNS1_11target_archE4294967295ELNS1_3gpuE0ELNS1_3repE0EEENS1_30default_config_static_selectorELNS0_4arch9wavefront6targetE1EEEvT1_,"axG",@progbits,_ZN7rocprim17ROCPRIM_400000_NS6detail17trampoline_kernelINS0_14default_configENS1_25partition_config_selectorILNS1_17partition_subalgoE5ElNS0_10empty_typeEbEEZZNS1_14partition_implILS5_5ELb0ES3_mN6hipcub16HIPCUB_304000_NS21CountingInputIteratorIllEEPS6_NSA_22TransformInputIteratorIb7NonZeroIiEPilEENS0_5tupleIJPlS6_EEENSJ_IJSD_SD_EEES6_SK_JS6_EEE10hipError_tPvRmT3_T4_T5_T6_T7_T9_mT8_P12ihipStream_tbDpT10_ENKUlT_T0_E_clISt17integral_constantIbLb1EES15_IbLb0EEEEDaS11_S12_EUlS11_E_NS1_11comp_targetILNS1_3genE0ELNS1_11target_archE4294967295ELNS1_3gpuE0ELNS1_3repE0EEENS1_30default_config_static_selectorELNS0_4arch9wavefront6targetE1EEEvT1_,comdat
.Lfunc_end201:
	.size	_ZN7rocprim17ROCPRIM_400000_NS6detail17trampoline_kernelINS0_14default_configENS1_25partition_config_selectorILNS1_17partition_subalgoE5ElNS0_10empty_typeEbEEZZNS1_14partition_implILS5_5ELb0ES3_mN6hipcub16HIPCUB_304000_NS21CountingInputIteratorIllEEPS6_NSA_22TransformInputIteratorIb7NonZeroIiEPilEENS0_5tupleIJPlS6_EEENSJ_IJSD_SD_EEES6_SK_JS6_EEE10hipError_tPvRmT3_T4_T5_T6_T7_T9_mT8_P12ihipStream_tbDpT10_ENKUlT_T0_E_clISt17integral_constantIbLb1EES15_IbLb0EEEEDaS11_S12_EUlS11_E_NS1_11comp_targetILNS1_3genE0ELNS1_11target_archE4294967295ELNS1_3gpuE0ELNS1_3repE0EEENS1_30default_config_static_selectorELNS0_4arch9wavefront6targetE1EEEvT1_, .Lfunc_end201-_ZN7rocprim17ROCPRIM_400000_NS6detail17trampoline_kernelINS0_14default_configENS1_25partition_config_selectorILNS1_17partition_subalgoE5ElNS0_10empty_typeEbEEZZNS1_14partition_implILS5_5ELb0ES3_mN6hipcub16HIPCUB_304000_NS21CountingInputIteratorIllEEPS6_NSA_22TransformInputIteratorIb7NonZeroIiEPilEENS0_5tupleIJPlS6_EEENSJ_IJSD_SD_EEES6_SK_JS6_EEE10hipError_tPvRmT3_T4_T5_T6_T7_T9_mT8_P12ihipStream_tbDpT10_ENKUlT_T0_E_clISt17integral_constantIbLb1EES15_IbLb0EEEEDaS11_S12_EUlS11_E_NS1_11comp_targetILNS1_3genE0ELNS1_11target_archE4294967295ELNS1_3gpuE0ELNS1_3repE0EEENS1_30default_config_static_selectorELNS0_4arch9wavefront6targetE1EEEvT1_
                                        ; -- End function
	.set _ZN7rocprim17ROCPRIM_400000_NS6detail17trampoline_kernelINS0_14default_configENS1_25partition_config_selectorILNS1_17partition_subalgoE5ElNS0_10empty_typeEbEEZZNS1_14partition_implILS5_5ELb0ES3_mN6hipcub16HIPCUB_304000_NS21CountingInputIteratorIllEEPS6_NSA_22TransformInputIteratorIb7NonZeroIiEPilEENS0_5tupleIJPlS6_EEENSJ_IJSD_SD_EEES6_SK_JS6_EEE10hipError_tPvRmT3_T4_T5_T6_T7_T9_mT8_P12ihipStream_tbDpT10_ENKUlT_T0_E_clISt17integral_constantIbLb1EES15_IbLb0EEEEDaS11_S12_EUlS11_E_NS1_11comp_targetILNS1_3genE0ELNS1_11target_archE4294967295ELNS1_3gpuE0ELNS1_3repE0EEENS1_30default_config_static_selectorELNS0_4arch9wavefront6targetE1EEEvT1_.num_vgpr, 0
	.set _ZN7rocprim17ROCPRIM_400000_NS6detail17trampoline_kernelINS0_14default_configENS1_25partition_config_selectorILNS1_17partition_subalgoE5ElNS0_10empty_typeEbEEZZNS1_14partition_implILS5_5ELb0ES3_mN6hipcub16HIPCUB_304000_NS21CountingInputIteratorIllEEPS6_NSA_22TransformInputIteratorIb7NonZeroIiEPilEENS0_5tupleIJPlS6_EEENSJ_IJSD_SD_EEES6_SK_JS6_EEE10hipError_tPvRmT3_T4_T5_T6_T7_T9_mT8_P12ihipStream_tbDpT10_ENKUlT_T0_E_clISt17integral_constantIbLb1EES15_IbLb0EEEEDaS11_S12_EUlS11_E_NS1_11comp_targetILNS1_3genE0ELNS1_11target_archE4294967295ELNS1_3gpuE0ELNS1_3repE0EEENS1_30default_config_static_selectorELNS0_4arch9wavefront6targetE1EEEvT1_.num_agpr, 0
	.set _ZN7rocprim17ROCPRIM_400000_NS6detail17trampoline_kernelINS0_14default_configENS1_25partition_config_selectorILNS1_17partition_subalgoE5ElNS0_10empty_typeEbEEZZNS1_14partition_implILS5_5ELb0ES3_mN6hipcub16HIPCUB_304000_NS21CountingInputIteratorIllEEPS6_NSA_22TransformInputIteratorIb7NonZeroIiEPilEENS0_5tupleIJPlS6_EEENSJ_IJSD_SD_EEES6_SK_JS6_EEE10hipError_tPvRmT3_T4_T5_T6_T7_T9_mT8_P12ihipStream_tbDpT10_ENKUlT_T0_E_clISt17integral_constantIbLb1EES15_IbLb0EEEEDaS11_S12_EUlS11_E_NS1_11comp_targetILNS1_3genE0ELNS1_11target_archE4294967295ELNS1_3gpuE0ELNS1_3repE0EEENS1_30default_config_static_selectorELNS0_4arch9wavefront6targetE1EEEvT1_.numbered_sgpr, 0
	.set _ZN7rocprim17ROCPRIM_400000_NS6detail17trampoline_kernelINS0_14default_configENS1_25partition_config_selectorILNS1_17partition_subalgoE5ElNS0_10empty_typeEbEEZZNS1_14partition_implILS5_5ELb0ES3_mN6hipcub16HIPCUB_304000_NS21CountingInputIteratorIllEEPS6_NSA_22TransformInputIteratorIb7NonZeroIiEPilEENS0_5tupleIJPlS6_EEENSJ_IJSD_SD_EEES6_SK_JS6_EEE10hipError_tPvRmT3_T4_T5_T6_T7_T9_mT8_P12ihipStream_tbDpT10_ENKUlT_T0_E_clISt17integral_constantIbLb1EES15_IbLb0EEEEDaS11_S12_EUlS11_E_NS1_11comp_targetILNS1_3genE0ELNS1_11target_archE4294967295ELNS1_3gpuE0ELNS1_3repE0EEENS1_30default_config_static_selectorELNS0_4arch9wavefront6targetE1EEEvT1_.num_named_barrier, 0
	.set _ZN7rocprim17ROCPRIM_400000_NS6detail17trampoline_kernelINS0_14default_configENS1_25partition_config_selectorILNS1_17partition_subalgoE5ElNS0_10empty_typeEbEEZZNS1_14partition_implILS5_5ELb0ES3_mN6hipcub16HIPCUB_304000_NS21CountingInputIteratorIllEEPS6_NSA_22TransformInputIteratorIb7NonZeroIiEPilEENS0_5tupleIJPlS6_EEENSJ_IJSD_SD_EEES6_SK_JS6_EEE10hipError_tPvRmT3_T4_T5_T6_T7_T9_mT8_P12ihipStream_tbDpT10_ENKUlT_T0_E_clISt17integral_constantIbLb1EES15_IbLb0EEEEDaS11_S12_EUlS11_E_NS1_11comp_targetILNS1_3genE0ELNS1_11target_archE4294967295ELNS1_3gpuE0ELNS1_3repE0EEENS1_30default_config_static_selectorELNS0_4arch9wavefront6targetE1EEEvT1_.private_seg_size, 0
	.set _ZN7rocprim17ROCPRIM_400000_NS6detail17trampoline_kernelINS0_14default_configENS1_25partition_config_selectorILNS1_17partition_subalgoE5ElNS0_10empty_typeEbEEZZNS1_14partition_implILS5_5ELb0ES3_mN6hipcub16HIPCUB_304000_NS21CountingInputIteratorIllEEPS6_NSA_22TransformInputIteratorIb7NonZeroIiEPilEENS0_5tupleIJPlS6_EEENSJ_IJSD_SD_EEES6_SK_JS6_EEE10hipError_tPvRmT3_T4_T5_T6_T7_T9_mT8_P12ihipStream_tbDpT10_ENKUlT_T0_E_clISt17integral_constantIbLb1EES15_IbLb0EEEEDaS11_S12_EUlS11_E_NS1_11comp_targetILNS1_3genE0ELNS1_11target_archE4294967295ELNS1_3gpuE0ELNS1_3repE0EEENS1_30default_config_static_selectorELNS0_4arch9wavefront6targetE1EEEvT1_.uses_vcc, 0
	.set _ZN7rocprim17ROCPRIM_400000_NS6detail17trampoline_kernelINS0_14default_configENS1_25partition_config_selectorILNS1_17partition_subalgoE5ElNS0_10empty_typeEbEEZZNS1_14partition_implILS5_5ELb0ES3_mN6hipcub16HIPCUB_304000_NS21CountingInputIteratorIllEEPS6_NSA_22TransformInputIteratorIb7NonZeroIiEPilEENS0_5tupleIJPlS6_EEENSJ_IJSD_SD_EEES6_SK_JS6_EEE10hipError_tPvRmT3_T4_T5_T6_T7_T9_mT8_P12ihipStream_tbDpT10_ENKUlT_T0_E_clISt17integral_constantIbLb1EES15_IbLb0EEEEDaS11_S12_EUlS11_E_NS1_11comp_targetILNS1_3genE0ELNS1_11target_archE4294967295ELNS1_3gpuE0ELNS1_3repE0EEENS1_30default_config_static_selectorELNS0_4arch9wavefront6targetE1EEEvT1_.uses_flat_scratch, 0
	.set _ZN7rocprim17ROCPRIM_400000_NS6detail17trampoline_kernelINS0_14default_configENS1_25partition_config_selectorILNS1_17partition_subalgoE5ElNS0_10empty_typeEbEEZZNS1_14partition_implILS5_5ELb0ES3_mN6hipcub16HIPCUB_304000_NS21CountingInputIteratorIllEEPS6_NSA_22TransformInputIteratorIb7NonZeroIiEPilEENS0_5tupleIJPlS6_EEENSJ_IJSD_SD_EEES6_SK_JS6_EEE10hipError_tPvRmT3_T4_T5_T6_T7_T9_mT8_P12ihipStream_tbDpT10_ENKUlT_T0_E_clISt17integral_constantIbLb1EES15_IbLb0EEEEDaS11_S12_EUlS11_E_NS1_11comp_targetILNS1_3genE0ELNS1_11target_archE4294967295ELNS1_3gpuE0ELNS1_3repE0EEENS1_30default_config_static_selectorELNS0_4arch9wavefront6targetE1EEEvT1_.has_dyn_sized_stack, 0
	.set _ZN7rocprim17ROCPRIM_400000_NS6detail17trampoline_kernelINS0_14default_configENS1_25partition_config_selectorILNS1_17partition_subalgoE5ElNS0_10empty_typeEbEEZZNS1_14partition_implILS5_5ELb0ES3_mN6hipcub16HIPCUB_304000_NS21CountingInputIteratorIllEEPS6_NSA_22TransformInputIteratorIb7NonZeroIiEPilEENS0_5tupleIJPlS6_EEENSJ_IJSD_SD_EEES6_SK_JS6_EEE10hipError_tPvRmT3_T4_T5_T6_T7_T9_mT8_P12ihipStream_tbDpT10_ENKUlT_T0_E_clISt17integral_constantIbLb1EES15_IbLb0EEEEDaS11_S12_EUlS11_E_NS1_11comp_targetILNS1_3genE0ELNS1_11target_archE4294967295ELNS1_3gpuE0ELNS1_3repE0EEENS1_30default_config_static_selectorELNS0_4arch9wavefront6targetE1EEEvT1_.has_recursion, 0
	.set _ZN7rocprim17ROCPRIM_400000_NS6detail17trampoline_kernelINS0_14default_configENS1_25partition_config_selectorILNS1_17partition_subalgoE5ElNS0_10empty_typeEbEEZZNS1_14partition_implILS5_5ELb0ES3_mN6hipcub16HIPCUB_304000_NS21CountingInputIteratorIllEEPS6_NSA_22TransformInputIteratorIb7NonZeroIiEPilEENS0_5tupleIJPlS6_EEENSJ_IJSD_SD_EEES6_SK_JS6_EEE10hipError_tPvRmT3_T4_T5_T6_T7_T9_mT8_P12ihipStream_tbDpT10_ENKUlT_T0_E_clISt17integral_constantIbLb1EES15_IbLb0EEEEDaS11_S12_EUlS11_E_NS1_11comp_targetILNS1_3genE0ELNS1_11target_archE4294967295ELNS1_3gpuE0ELNS1_3repE0EEENS1_30default_config_static_selectorELNS0_4arch9wavefront6targetE1EEEvT1_.has_indirect_call, 0
	.section	.AMDGPU.csdata,"",@progbits
; Kernel info:
; codeLenInByte = 4
; TotalNumSgprs: 6
; NumVgprs: 0
; NumAgprs: 0
; TotalNumVgprs: 0
; ScratchSize: 0
; MemoryBound: 0
; FloatMode: 240
; IeeeMode: 1
; LDSByteSize: 0 bytes/workgroup (compile time only)
; SGPRBlocks: 0
; VGPRBlocks: 0
; NumSGPRsForWavesPerEU: 6
; NumVGPRsForWavesPerEU: 1
; AccumOffset: 4
; Occupancy: 8
; WaveLimiterHint : 0
; COMPUTE_PGM_RSRC2:SCRATCH_EN: 0
; COMPUTE_PGM_RSRC2:USER_SGPR: 2
; COMPUTE_PGM_RSRC2:TRAP_HANDLER: 0
; COMPUTE_PGM_RSRC2:TGID_X_EN: 1
; COMPUTE_PGM_RSRC2:TGID_Y_EN: 0
; COMPUTE_PGM_RSRC2:TGID_Z_EN: 0
; COMPUTE_PGM_RSRC2:TIDIG_COMP_CNT: 0
; COMPUTE_PGM_RSRC3_GFX90A:ACCUM_OFFSET: 0
; COMPUTE_PGM_RSRC3_GFX90A:TG_SPLIT: 0
	.section	.text._ZN7rocprim17ROCPRIM_400000_NS6detail17trampoline_kernelINS0_14default_configENS1_25partition_config_selectorILNS1_17partition_subalgoE5ElNS0_10empty_typeEbEEZZNS1_14partition_implILS5_5ELb0ES3_mN6hipcub16HIPCUB_304000_NS21CountingInputIteratorIllEEPS6_NSA_22TransformInputIteratorIb7NonZeroIiEPilEENS0_5tupleIJPlS6_EEENSJ_IJSD_SD_EEES6_SK_JS6_EEE10hipError_tPvRmT3_T4_T5_T6_T7_T9_mT8_P12ihipStream_tbDpT10_ENKUlT_T0_E_clISt17integral_constantIbLb1EES15_IbLb0EEEEDaS11_S12_EUlS11_E_NS1_11comp_targetILNS1_3genE5ELNS1_11target_archE942ELNS1_3gpuE9ELNS1_3repE0EEENS1_30default_config_static_selectorELNS0_4arch9wavefront6targetE1EEEvT1_,"axG",@progbits,_ZN7rocprim17ROCPRIM_400000_NS6detail17trampoline_kernelINS0_14default_configENS1_25partition_config_selectorILNS1_17partition_subalgoE5ElNS0_10empty_typeEbEEZZNS1_14partition_implILS5_5ELb0ES3_mN6hipcub16HIPCUB_304000_NS21CountingInputIteratorIllEEPS6_NSA_22TransformInputIteratorIb7NonZeroIiEPilEENS0_5tupleIJPlS6_EEENSJ_IJSD_SD_EEES6_SK_JS6_EEE10hipError_tPvRmT3_T4_T5_T6_T7_T9_mT8_P12ihipStream_tbDpT10_ENKUlT_T0_E_clISt17integral_constantIbLb1EES15_IbLb0EEEEDaS11_S12_EUlS11_E_NS1_11comp_targetILNS1_3genE5ELNS1_11target_archE942ELNS1_3gpuE9ELNS1_3repE0EEENS1_30default_config_static_selectorELNS0_4arch9wavefront6targetE1EEEvT1_,comdat
	.protected	_ZN7rocprim17ROCPRIM_400000_NS6detail17trampoline_kernelINS0_14default_configENS1_25partition_config_selectorILNS1_17partition_subalgoE5ElNS0_10empty_typeEbEEZZNS1_14partition_implILS5_5ELb0ES3_mN6hipcub16HIPCUB_304000_NS21CountingInputIteratorIllEEPS6_NSA_22TransformInputIteratorIb7NonZeroIiEPilEENS0_5tupleIJPlS6_EEENSJ_IJSD_SD_EEES6_SK_JS6_EEE10hipError_tPvRmT3_T4_T5_T6_T7_T9_mT8_P12ihipStream_tbDpT10_ENKUlT_T0_E_clISt17integral_constantIbLb1EES15_IbLb0EEEEDaS11_S12_EUlS11_E_NS1_11comp_targetILNS1_3genE5ELNS1_11target_archE942ELNS1_3gpuE9ELNS1_3repE0EEENS1_30default_config_static_selectorELNS0_4arch9wavefront6targetE1EEEvT1_ ; -- Begin function _ZN7rocprim17ROCPRIM_400000_NS6detail17trampoline_kernelINS0_14default_configENS1_25partition_config_selectorILNS1_17partition_subalgoE5ElNS0_10empty_typeEbEEZZNS1_14partition_implILS5_5ELb0ES3_mN6hipcub16HIPCUB_304000_NS21CountingInputIteratorIllEEPS6_NSA_22TransformInputIteratorIb7NonZeroIiEPilEENS0_5tupleIJPlS6_EEENSJ_IJSD_SD_EEES6_SK_JS6_EEE10hipError_tPvRmT3_T4_T5_T6_T7_T9_mT8_P12ihipStream_tbDpT10_ENKUlT_T0_E_clISt17integral_constantIbLb1EES15_IbLb0EEEEDaS11_S12_EUlS11_E_NS1_11comp_targetILNS1_3genE5ELNS1_11target_archE942ELNS1_3gpuE9ELNS1_3repE0EEENS1_30default_config_static_selectorELNS0_4arch9wavefront6targetE1EEEvT1_
	.globl	_ZN7rocprim17ROCPRIM_400000_NS6detail17trampoline_kernelINS0_14default_configENS1_25partition_config_selectorILNS1_17partition_subalgoE5ElNS0_10empty_typeEbEEZZNS1_14partition_implILS5_5ELb0ES3_mN6hipcub16HIPCUB_304000_NS21CountingInputIteratorIllEEPS6_NSA_22TransformInputIteratorIb7NonZeroIiEPilEENS0_5tupleIJPlS6_EEENSJ_IJSD_SD_EEES6_SK_JS6_EEE10hipError_tPvRmT3_T4_T5_T6_T7_T9_mT8_P12ihipStream_tbDpT10_ENKUlT_T0_E_clISt17integral_constantIbLb1EES15_IbLb0EEEEDaS11_S12_EUlS11_E_NS1_11comp_targetILNS1_3genE5ELNS1_11target_archE942ELNS1_3gpuE9ELNS1_3repE0EEENS1_30default_config_static_selectorELNS0_4arch9wavefront6targetE1EEEvT1_
	.p2align	8
	.type	_ZN7rocprim17ROCPRIM_400000_NS6detail17trampoline_kernelINS0_14default_configENS1_25partition_config_selectorILNS1_17partition_subalgoE5ElNS0_10empty_typeEbEEZZNS1_14partition_implILS5_5ELb0ES3_mN6hipcub16HIPCUB_304000_NS21CountingInputIteratorIllEEPS6_NSA_22TransformInputIteratorIb7NonZeroIiEPilEENS0_5tupleIJPlS6_EEENSJ_IJSD_SD_EEES6_SK_JS6_EEE10hipError_tPvRmT3_T4_T5_T6_T7_T9_mT8_P12ihipStream_tbDpT10_ENKUlT_T0_E_clISt17integral_constantIbLb1EES15_IbLb0EEEEDaS11_S12_EUlS11_E_NS1_11comp_targetILNS1_3genE5ELNS1_11target_archE942ELNS1_3gpuE9ELNS1_3repE0EEENS1_30default_config_static_selectorELNS0_4arch9wavefront6targetE1EEEvT1_,@function
_ZN7rocprim17ROCPRIM_400000_NS6detail17trampoline_kernelINS0_14default_configENS1_25partition_config_selectorILNS1_17partition_subalgoE5ElNS0_10empty_typeEbEEZZNS1_14partition_implILS5_5ELb0ES3_mN6hipcub16HIPCUB_304000_NS21CountingInputIteratorIllEEPS6_NSA_22TransformInputIteratorIb7NonZeroIiEPilEENS0_5tupleIJPlS6_EEENSJ_IJSD_SD_EEES6_SK_JS6_EEE10hipError_tPvRmT3_T4_T5_T6_T7_T9_mT8_P12ihipStream_tbDpT10_ENKUlT_T0_E_clISt17integral_constantIbLb1EES15_IbLb0EEEEDaS11_S12_EUlS11_E_NS1_11comp_targetILNS1_3genE5ELNS1_11target_archE942ELNS1_3gpuE9ELNS1_3repE0EEENS1_30default_config_static_selectorELNS0_4arch9wavefront6targetE1EEEvT1_: ; @_ZN7rocprim17ROCPRIM_400000_NS6detail17trampoline_kernelINS0_14default_configENS1_25partition_config_selectorILNS1_17partition_subalgoE5ElNS0_10empty_typeEbEEZZNS1_14partition_implILS5_5ELb0ES3_mN6hipcub16HIPCUB_304000_NS21CountingInputIteratorIllEEPS6_NSA_22TransformInputIteratorIb7NonZeroIiEPilEENS0_5tupleIJPlS6_EEENSJ_IJSD_SD_EEES6_SK_JS6_EEE10hipError_tPvRmT3_T4_T5_T6_T7_T9_mT8_P12ihipStream_tbDpT10_ENKUlT_T0_E_clISt17integral_constantIbLb1EES15_IbLb0EEEEDaS11_S12_EUlS11_E_NS1_11comp_targetILNS1_3genE5ELNS1_11target_archE942ELNS1_3gpuE9ELNS1_3repE0EEENS1_30default_config_static_selectorELNS0_4arch9wavefront6targetE1EEEvT1_
; %bb.0:
	.section	.rodata,"a",@progbits
	.p2align	6, 0x0
	.amdhsa_kernel _ZN7rocprim17ROCPRIM_400000_NS6detail17trampoline_kernelINS0_14default_configENS1_25partition_config_selectorILNS1_17partition_subalgoE5ElNS0_10empty_typeEbEEZZNS1_14partition_implILS5_5ELb0ES3_mN6hipcub16HIPCUB_304000_NS21CountingInputIteratorIllEEPS6_NSA_22TransformInputIteratorIb7NonZeroIiEPilEENS0_5tupleIJPlS6_EEENSJ_IJSD_SD_EEES6_SK_JS6_EEE10hipError_tPvRmT3_T4_T5_T6_T7_T9_mT8_P12ihipStream_tbDpT10_ENKUlT_T0_E_clISt17integral_constantIbLb1EES15_IbLb0EEEEDaS11_S12_EUlS11_E_NS1_11comp_targetILNS1_3genE5ELNS1_11target_archE942ELNS1_3gpuE9ELNS1_3repE0EEENS1_30default_config_static_selectorELNS0_4arch9wavefront6targetE1EEEvT1_
		.amdhsa_group_segment_fixed_size 0
		.amdhsa_private_segment_fixed_size 0
		.amdhsa_kernarg_size 120
		.amdhsa_user_sgpr_count 2
		.amdhsa_user_sgpr_dispatch_ptr 0
		.amdhsa_user_sgpr_queue_ptr 0
		.amdhsa_user_sgpr_kernarg_segment_ptr 1
		.amdhsa_user_sgpr_dispatch_id 0
		.amdhsa_user_sgpr_kernarg_preload_length 0
		.amdhsa_user_sgpr_kernarg_preload_offset 0
		.amdhsa_user_sgpr_private_segment_size 0
		.amdhsa_uses_dynamic_stack 0
		.amdhsa_enable_private_segment 0
		.amdhsa_system_sgpr_workgroup_id_x 1
		.amdhsa_system_sgpr_workgroup_id_y 0
		.amdhsa_system_sgpr_workgroup_id_z 0
		.amdhsa_system_sgpr_workgroup_info 0
		.amdhsa_system_vgpr_workitem_id 0
		.amdhsa_next_free_vgpr 1
		.amdhsa_next_free_sgpr 0
		.amdhsa_accum_offset 4
		.amdhsa_reserve_vcc 0
		.amdhsa_float_round_mode_32 0
		.amdhsa_float_round_mode_16_64 0
		.amdhsa_float_denorm_mode_32 3
		.amdhsa_float_denorm_mode_16_64 3
		.amdhsa_dx10_clamp 1
		.amdhsa_ieee_mode 1
		.amdhsa_fp16_overflow 0
		.amdhsa_tg_split 0
		.amdhsa_exception_fp_ieee_invalid_op 0
		.amdhsa_exception_fp_denorm_src 0
		.amdhsa_exception_fp_ieee_div_zero 0
		.amdhsa_exception_fp_ieee_overflow 0
		.amdhsa_exception_fp_ieee_underflow 0
		.amdhsa_exception_fp_ieee_inexact 0
		.amdhsa_exception_int_div_zero 0
	.end_amdhsa_kernel
	.section	.text._ZN7rocprim17ROCPRIM_400000_NS6detail17trampoline_kernelINS0_14default_configENS1_25partition_config_selectorILNS1_17partition_subalgoE5ElNS0_10empty_typeEbEEZZNS1_14partition_implILS5_5ELb0ES3_mN6hipcub16HIPCUB_304000_NS21CountingInputIteratorIllEEPS6_NSA_22TransformInputIteratorIb7NonZeroIiEPilEENS0_5tupleIJPlS6_EEENSJ_IJSD_SD_EEES6_SK_JS6_EEE10hipError_tPvRmT3_T4_T5_T6_T7_T9_mT8_P12ihipStream_tbDpT10_ENKUlT_T0_E_clISt17integral_constantIbLb1EES15_IbLb0EEEEDaS11_S12_EUlS11_E_NS1_11comp_targetILNS1_3genE5ELNS1_11target_archE942ELNS1_3gpuE9ELNS1_3repE0EEENS1_30default_config_static_selectorELNS0_4arch9wavefront6targetE1EEEvT1_,"axG",@progbits,_ZN7rocprim17ROCPRIM_400000_NS6detail17trampoline_kernelINS0_14default_configENS1_25partition_config_selectorILNS1_17partition_subalgoE5ElNS0_10empty_typeEbEEZZNS1_14partition_implILS5_5ELb0ES3_mN6hipcub16HIPCUB_304000_NS21CountingInputIteratorIllEEPS6_NSA_22TransformInputIteratorIb7NonZeroIiEPilEENS0_5tupleIJPlS6_EEENSJ_IJSD_SD_EEES6_SK_JS6_EEE10hipError_tPvRmT3_T4_T5_T6_T7_T9_mT8_P12ihipStream_tbDpT10_ENKUlT_T0_E_clISt17integral_constantIbLb1EES15_IbLb0EEEEDaS11_S12_EUlS11_E_NS1_11comp_targetILNS1_3genE5ELNS1_11target_archE942ELNS1_3gpuE9ELNS1_3repE0EEENS1_30default_config_static_selectorELNS0_4arch9wavefront6targetE1EEEvT1_,comdat
.Lfunc_end202:
	.size	_ZN7rocprim17ROCPRIM_400000_NS6detail17trampoline_kernelINS0_14default_configENS1_25partition_config_selectorILNS1_17partition_subalgoE5ElNS0_10empty_typeEbEEZZNS1_14partition_implILS5_5ELb0ES3_mN6hipcub16HIPCUB_304000_NS21CountingInputIteratorIllEEPS6_NSA_22TransformInputIteratorIb7NonZeroIiEPilEENS0_5tupleIJPlS6_EEENSJ_IJSD_SD_EEES6_SK_JS6_EEE10hipError_tPvRmT3_T4_T5_T6_T7_T9_mT8_P12ihipStream_tbDpT10_ENKUlT_T0_E_clISt17integral_constantIbLb1EES15_IbLb0EEEEDaS11_S12_EUlS11_E_NS1_11comp_targetILNS1_3genE5ELNS1_11target_archE942ELNS1_3gpuE9ELNS1_3repE0EEENS1_30default_config_static_selectorELNS0_4arch9wavefront6targetE1EEEvT1_, .Lfunc_end202-_ZN7rocprim17ROCPRIM_400000_NS6detail17trampoline_kernelINS0_14default_configENS1_25partition_config_selectorILNS1_17partition_subalgoE5ElNS0_10empty_typeEbEEZZNS1_14partition_implILS5_5ELb0ES3_mN6hipcub16HIPCUB_304000_NS21CountingInputIteratorIllEEPS6_NSA_22TransformInputIteratorIb7NonZeroIiEPilEENS0_5tupleIJPlS6_EEENSJ_IJSD_SD_EEES6_SK_JS6_EEE10hipError_tPvRmT3_T4_T5_T6_T7_T9_mT8_P12ihipStream_tbDpT10_ENKUlT_T0_E_clISt17integral_constantIbLb1EES15_IbLb0EEEEDaS11_S12_EUlS11_E_NS1_11comp_targetILNS1_3genE5ELNS1_11target_archE942ELNS1_3gpuE9ELNS1_3repE0EEENS1_30default_config_static_selectorELNS0_4arch9wavefront6targetE1EEEvT1_
                                        ; -- End function
	.set _ZN7rocprim17ROCPRIM_400000_NS6detail17trampoline_kernelINS0_14default_configENS1_25partition_config_selectorILNS1_17partition_subalgoE5ElNS0_10empty_typeEbEEZZNS1_14partition_implILS5_5ELb0ES3_mN6hipcub16HIPCUB_304000_NS21CountingInputIteratorIllEEPS6_NSA_22TransformInputIteratorIb7NonZeroIiEPilEENS0_5tupleIJPlS6_EEENSJ_IJSD_SD_EEES6_SK_JS6_EEE10hipError_tPvRmT3_T4_T5_T6_T7_T9_mT8_P12ihipStream_tbDpT10_ENKUlT_T0_E_clISt17integral_constantIbLb1EES15_IbLb0EEEEDaS11_S12_EUlS11_E_NS1_11comp_targetILNS1_3genE5ELNS1_11target_archE942ELNS1_3gpuE9ELNS1_3repE0EEENS1_30default_config_static_selectorELNS0_4arch9wavefront6targetE1EEEvT1_.num_vgpr, 0
	.set _ZN7rocprim17ROCPRIM_400000_NS6detail17trampoline_kernelINS0_14default_configENS1_25partition_config_selectorILNS1_17partition_subalgoE5ElNS0_10empty_typeEbEEZZNS1_14partition_implILS5_5ELb0ES3_mN6hipcub16HIPCUB_304000_NS21CountingInputIteratorIllEEPS6_NSA_22TransformInputIteratorIb7NonZeroIiEPilEENS0_5tupleIJPlS6_EEENSJ_IJSD_SD_EEES6_SK_JS6_EEE10hipError_tPvRmT3_T4_T5_T6_T7_T9_mT8_P12ihipStream_tbDpT10_ENKUlT_T0_E_clISt17integral_constantIbLb1EES15_IbLb0EEEEDaS11_S12_EUlS11_E_NS1_11comp_targetILNS1_3genE5ELNS1_11target_archE942ELNS1_3gpuE9ELNS1_3repE0EEENS1_30default_config_static_selectorELNS0_4arch9wavefront6targetE1EEEvT1_.num_agpr, 0
	.set _ZN7rocprim17ROCPRIM_400000_NS6detail17trampoline_kernelINS0_14default_configENS1_25partition_config_selectorILNS1_17partition_subalgoE5ElNS0_10empty_typeEbEEZZNS1_14partition_implILS5_5ELb0ES3_mN6hipcub16HIPCUB_304000_NS21CountingInputIteratorIllEEPS6_NSA_22TransformInputIteratorIb7NonZeroIiEPilEENS0_5tupleIJPlS6_EEENSJ_IJSD_SD_EEES6_SK_JS6_EEE10hipError_tPvRmT3_T4_T5_T6_T7_T9_mT8_P12ihipStream_tbDpT10_ENKUlT_T0_E_clISt17integral_constantIbLb1EES15_IbLb0EEEEDaS11_S12_EUlS11_E_NS1_11comp_targetILNS1_3genE5ELNS1_11target_archE942ELNS1_3gpuE9ELNS1_3repE0EEENS1_30default_config_static_selectorELNS0_4arch9wavefront6targetE1EEEvT1_.numbered_sgpr, 0
	.set _ZN7rocprim17ROCPRIM_400000_NS6detail17trampoline_kernelINS0_14default_configENS1_25partition_config_selectorILNS1_17partition_subalgoE5ElNS0_10empty_typeEbEEZZNS1_14partition_implILS5_5ELb0ES3_mN6hipcub16HIPCUB_304000_NS21CountingInputIteratorIllEEPS6_NSA_22TransformInputIteratorIb7NonZeroIiEPilEENS0_5tupleIJPlS6_EEENSJ_IJSD_SD_EEES6_SK_JS6_EEE10hipError_tPvRmT3_T4_T5_T6_T7_T9_mT8_P12ihipStream_tbDpT10_ENKUlT_T0_E_clISt17integral_constantIbLb1EES15_IbLb0EEEEDaS11_S12_EUlS11_E_NS1_11comp_targetILNS1_3genE5ELNS1_11target_archE942ELNS1_3gpuE9ELNS1_3repE0EEENS1_30default_config_static_selectorELNS0_4arch9wavefront6targetE1EEEvT1_.num_named_barrier, 0
	.set _ZN7rocprim17ROCPRIM_400000_NS6detail17trampoline_kernelINS0_14default_configENS1_25partition_config_selectorILNS1_17partition_subalgoE5ElNS0_10empty_typeEbEEZZNS1_14partition_implILS5_5ELb0ES3_mN6hipcub16HIPCUB_304000_NS21CountingInputIteratorIllEEPS6_NSA_22TransformInputIteratorIb7NonZeroIiEPilEENS0_5tupleIJPlS6_EEENSJ_IJSD_SD_EEES6_SK_JS6_EEE10hipError_tPvRmT3_T4_T5_T6_T7_T9_mT8_P12ihipStream_tbDpT10_ENKUlT_T0_E_clISt17integral_constantIbLb1EES15_IbLb0EEEEDaS11_S12_EUlS11_E_NS1_11comp_targetILNS1_3genE5ELNS1_11target_archE942ELNS1_3gpuE9ELNS1_3repE0EEENS1_30default_config_static_selectorELNS0_4arch9wavefront6targetE1EEEvT1_.private_seg_size, 0
	.set _ZN7rocprim17ROCPRIM_400000_NS6detail17trampoline_kernelINS0_14default_configENS1_25partition_config_selectorILNS1_17partition_subalgoE5ElNS0_10empty_typeEbEEZZNS1_14partition_implILS5_5ELb0ES3_mN6hipcub16HIPCUB_304000_NS21CountingInputIteratorIllEEPS6_NSA_22TransformInputIteratorIb7NonZeroIiEPilEENS0_5tupleIJPlS6_EEENSJ_IJSD_SD_EEES6_SK_JS6_EEE10hipError_tPvRmT3_T4_T5_T6_T7_T9_mT8_P12ihipStream_tbDpT10_ENKUlT_T0_E_clISt17integral_constantIbLb1EES15_IbLb0EEEEDaS11_S12_EUlS11_E_NS1_11comp_targetILNS1_3genE5ELNS1_11target_archE942ELNS1_3gpuE9ELNS1_3repE0EEENS1_30default_config_static_selectorELNS0_4arch9wavefront6targetE1EEEvT1_.uses_vcc, 0
	.set _ZN7rocprim17ROCPRIM_400000_NS6detail17trampoline_kernelINS0_14default_configENS1_25partition_config_selectorILNS1_17partition_subalgoE5ElNS0_10empty_typeEbEEZZNS1_14partition_implILS5_5ELb0ES3_mN6hipcub16HIPCUB_304000_NS21CountingInputIteratorIllEEPS6_NSA_22TransformInputIteratorIb7NonZeroIiEPilEENS0_5tupleIJPlS6_EEENSJ_IJSD_SD_EEES6_SK_JS6_EEE10hipError_tPvRmT3_T4_T5_T6_T7_T9_mT8_P12ihipStream_tbDpT10_ENKUlT_T0_E_clISt17integral_constantIbLb1EES15_IbLb0EEEEDaS11_S12_EUlS11_E_NS1_11comp_targetILNS1_3genE5ELNS1_11target_archE942ELNS1_3gpuE9ELNS1_3repE0EEENS1_30default_config_static_selectorELNS0_4arch9wavefront6targetE1EEEvT1_.uses_flat_scratch, 0
	.set _ZN7rocprim17ROCPRIM_400000_NS6detail17trampoline_kernelINS0_14default_configENS1_25partition_config_selectorILNS1_17partition_subalgoE5ElNS0_10empty_typeEbEEZZNS1_14partition_implILS5_5ELb0ES3_mN6hipcub16HIPCUB_304000_NS21CountingInputIteratorIllEEPS6_NSA_22TransformInputIteratorIb7NonZeroIiEPilEENS0_5tupleIJPlS6_EEENSJ_IJSD_SD_EEES6_SK_JS6_EEE10hipError_tPvRmT3_T4_T5_T6_T7_T9_mT8_P12ihipStream_tbDpT10_ENKUlT_T0_E_clISt17integral_constantIbLb1EES15_IbLb0EEEEDaS11_S12_EUlS11_E_NS1_11comp_targetILNS1_3genE5ELNS1_11target_archE942ELNS1_3gpuE9ELNS1_3repE0EEENS1_30default_config_static_selectorELNS0_4arch9wavefront6targetE1EEEvT1_.has_dyn_sized_stack, 0
	.set _ZN7rocprim17ROCPRIM_400000_NS6detail17trampoline_kernelINS0_14default_configENS1_25partition_config_selectorILNS1_17partition_subalgoE5ElNS0_10empty_typeEbEEZZNS1_14partition_implILS5_5ELb0ES3_mN6hipcub16HIPCUB_304000_NS21CountingInputIteratorIllEEPS6_NSA_22TransformInputIteratorIb7NonZeroIiEPilEENS0_5tupleIJPlS6_EEENSJ_IJSD_SD_EEES6_SK_JS6_EEE10hipError_tPvRmT3_T4_T5_T6_T7_T9_mT8_P12ihipStream_tbDpT10_ENKUlT_T0_E_clISt17integral_constantIbLb1EES15_IbLb0EEEEDaS11_S12_EUlS11_E_NS1_11comp_targetILNS1_3genE5ELNS1_11target_archE942ELNS1_3gpuE9ELNS1_3repE0EEENS1_30default_config_static_selectorELNS0_4arch9wavefront6targetE1EEEvT1_.has_recursion, 0
	.set _ZN7rocprim17ROCPRIM_400000_NS6detail17trampoline_kernelINS0_14default_configENS1_25partition_config_selectorILNS1_17partition_subalgoE5ElNS0_10empty_typeEbEEZZNS1_14partition_implILS5_5ELb0ES3_mN6hipcub16HIPCUB_304000_NS21CountingInputIteratorIllEEPS6_NSA_22TransformInputIteratorIb7NonZeroIiEPilEENS0_5tupleIJPlS6_EEENSJ_IJSD_SD_EEES6_SK_JS6_EEE10hipError_tPvRmT3_T4_T5_T6_T7_T9_mT8_P12ihipStream_tbDpT10_ENKUlT_T0_E_clISt17integral_constantIbLb1EES15_IbLb0EEEEDaS11_S12_EUlS11_E_NS1_11comp_targetILNS1_3genE5ELNS1_11target_archE942ELNS1_3gpuE9ELNS1_3repE0EEENS1_30default_config_static_selectorELNS0_4arch9wavefront6targetE1EEEvT1_.has_indirect_call, 0
	.section	.AMDGPU.csdata,"",@progbits
; Kernel info:
; codeLenInByte = 0
; TotalNumSgprs: 6
; NumVgprs: 0
; NumAgprs: 0
; TotalNumVgprs: 0
; ScratchSize: 0
; MemoryBound: 0
; FloatMode: 240
; IeeeMode: 1
; LDSByteSize: 0 bytes/workgroup (compile time only)
; SGPRBlocks: 0
; VGPRBlocks: 0
; NumSGPRsForWavesPerEU: 6
; NumVGPRsForWavesPerEU: 1
; AccumOffset: 4
; Occupancy: 8
; WaveLimiterHint : 0
; COMPUTE_PGM_RSRC2:SCRATCH_EN: 0
; COMPUTE_PGM_RSRC2:USER_SGPR: 2
; COMPUTE_PGM_RSRC2:TRAP_HANDLER: 0
; COMPUTE_PGM_RSRC2:TGID_X_EN: 1
; COMPUTE_PGM_RSRC2:TGID_Y_EN: 0
; COMPUTE_PGM_RSRC2:TGID_Z_EN: 0
; COMPUTE_PGM_RSRC2:TIDIG_COMP_CNT: 0
; COMPUTE_PGM_RSRC3_GFX90A:ACCUM_OFFSET: 0
; COMPUTE_PGM_RSRC3_GFX90A:TG_SPLIT: 0
	.section	.text._ZN7rocprim17ROCPRIM_400000_NS6detail17trampoline_kernelINS0_14default_configENS1_25partition_config_selectorILNS1_17partition_subalgoE5ElNS0_10empty_typeEbEEZZNS1_14partition_implILS5_5ELb0ES3_mN6hipcub16HIPCUB_304000_NS21CountingInputIteratorIllEEPS6_NSA_22TransformInputIteratorIb7NonZeroIiEPilEENS0_5tupleIJPlS6_EEENSJ_IJSD_SD_EEES6_SK_JS6_EEE10hipError_tPvRmT3_T4_T5_T6_T7_T9_mT8_P12ihipStream_tbDpT10_ENKUlT_T0_E_clISt17integral_constantIbLb1EES15_IbLb0EEEEDaS11_S12_EUlS11_E_NS1_11comp_targetILNS1_3genE4ELNS1_11target_archE910ELNS1_3gpuE8ELNS1_3repE0EEENS1_30default_config_static_selectorELNS0_4arch9wavefront6targetE1EEEvT1_,"axG",@progbits,_ZN7rocprim17ROCPRIM_400000_NS6detail17trampoline_kernelINS0_14default_configENS1_25partition_config_selectorILNS1_17partition_subalgoE5ElNS0_10empty_typeEbEEZZNS1_14partition_implILS5_5ELb0ES3_mN6hipcub16HIPCUB_304000_NS21CountingInputIteratorIllEEPS6_NSA_22TransformInputIteratorIb7NonZeroIiEPilEENS0_5tupleIJPlS6_EEENSJ_IJSD_SD_EEES6_SK_JS6_EEE10hipError_tPvRmT3_T4_T5_T6_T7_T9_mT8_P12ihipStream_tbDpT10_ENKUlT_T0_E_clISt17integral_constantIbLb1EES15_IbLb0EEEEDaS11_S12_EUlS11_E_NS1_11comp_targetILNS1_3genE4ELNS1_11target_archE910ELNS1_3gpuE8ELNS1_3repE0EEENS1_30default_config_static_selectorELNS0_4arch9wavefront6targetE1EEEvT1_,comdat
	.protected	_ZN7rocprim17ROCPRIM_400000_NS6detail17trampoline_kernelINS0_14default_configENS1_25partition_config_selectorILNS1_17partition_subalgoE5ElNS0_10empty_typeEbEEZZNS1_14partition_implILS5_5ELb0ES3_mN6hipcub16HIPCUB_304000_NS21CountingInputIteratorIllEEPS6_NSA_22TransformInputIteratorIb7NonZeroIiEPilEENS0_5tupleIJPlS6_EEENSJ_IJSD_SD_EEES6_SK_JS6_EEE10hipError_tPvRmT3_T4_T5_T6_T7_T9_mT8_P12ihipStream_tbDpT10_ENKUlT_T0_E_clISt17integral_constantIbLb1EES15_IbLb0EEEEDaS11_S12_EUlS11_E_NS1_11comp_targetILNS1_3genE4ELNS1_11target_archE910ELNS1_3gpuE8ELNS1_3repE0EEENS1_30default_config_static_selectorELNS0_4arch9wavefront6targetE1EEEvT1_ ; -- Begin function _ZN7rocprim17ROCPRIM_400000_NS6detail17trampoline_kernelINS0_14default_configENS1_25partition_config_selectorILNS1_17partition_subalgoE5ElNS0_10empty_typeEbEEZZNS1_14partition_implILS5_5ELb0ES3_mN6hipcub16HIPCUB_304000_NS21CountingInputIteratorIllEEPS6_NSA_22TransformInputIteratorIb7NonZeroIiEPilEENS0_5tupleIJPlS6_EEENSJ_IJSD_SD_EEES6_SK_JS6_EEE10hipError_tPvRmT3_T4_T5_T6_T7_T9_mT8_P12ihipStream_tbDpT10_ENKUlT_T0_E_clISt17integral_constantIbLb1EES15_IbLb0EEEEDaS11_S12_EUlS11_E_NS1_11comp_targetILNS1_3genE4ELNS1_11target_archE910ELNS1_3gpuE8ELNS1_3repE0EEENS1_30default_config_static_selectorELNS0_4arch9wavefront6targetE1EEEvT1_
	.globl	_ZN7rocprim17ROCPRIM_400000_NS6detail17trampoline_kernelINS0_14default_configENS1_25partition_config_selectorILNS1_17partition_subalgoE5ElNS0_10empty_typeEbEEZZNS1_14partition_implILS5_5ELb0ES3_mN6hipcub16HIPCUB_304000_NS21CountingInputIteratorIllEEPS6_NSA_22TransformInputIteratorIb7NonZeroIiEPilEENS0_5tupleIJPlS6_EEENSJ_IJSD_SD_EEES6_SK_JS6_EEE10hipError_tPvRmT3_T4_T5_T6_T7_T9_mT8_P12ihipStream_tbDpT10_ENKUlT_T0_E_clISt17integral_constantIbLb1EES15_IbLb0EEEEDaS11_S12_EUlS11_E_NS1_11comp_targetILNS1_3genE4ELNS1_11target_archE910ELNS1_3gpuE8ELNS1_3repE0EEENS1_30default_config_static_selectorELNS0_4arch9wavefront6targetE1EEEvT1_
	.p2align	8
	.type	_ZN7rocprim17ROCPRIM_400000_NS6detail17trampoline_kernelINS0_14default_configENS1_25partition_config_selectorILNS1_17partition_subalgoE5ElNS0_10empty_typeEbEEZZNS1_14partition_implILS5_5ELb0ES3_mN6hipcub16HIPCUB_304000_NS21CountingInputIteratorIllEEPS6_NSA_22TransformInputIteratorIb7NonZeroIiEPilEENS0_5tupleIJPlS6_EEENSJ_IJSD_SD_EEES6_SK_JS6_EEE10hipError_tPvRmT3_T4_T5_T6_T7_T9_mT8_P12ihipStream_tbDpT10_ENKUlT_T0_E_clISt17integral_constantIbLb1EES15_IbLb0EEEEDaS11_S12_EUlS11_E_NS1_11comp_targetILNS1_3genE4ELNS1_11target_archE910ELNS1_3gpuE8ELNS1_3repE0EEENS1_30default_config_static_selectorELNS0_4arch9wavefront6targetE1EEEvT1_,@function
_ZN7rocprim17ROCPRIM_400000_NS6detail17trampoline_kernelINS0_14default_configENS1_25partition_config_selectorILNS1_17partition_subalgoE5ElNS0_10empty_typeEbEEZZNS1_14partition_implILS5_5ELb0ES3_mN6hipcub16HIPCUB_304000_NS21CountingInputIteratorIllEEPS6_NSA_22TransformInputIteratorIb7NonZeroIiEPilEENS0_5tupleIJPlS6_EEENSJ_IJSD_SD_EEES6_SK_JS6_EEE10hipError_tPvRmT3_T4_T5_T6_T7_T9_mT8_P12ihipStream_tbDpT10_ENKUlT_T0_E_clISt17integral_constantIbLb1EES15_IbLb0EEEEDaS11_S12_EUlS11_E_NS1_11comp_targetILNS1_3genE4ELNS1_11target_archE910ELNS1_3gpuE8ELNS1_3repE0EEENS1_30default_config_static_selectorELNS0_4arch9wavefront6targetE1EEEvT1_: ; @_ZN7rocprim17ROCPRIM_400000_NS6detail17trampoline_kernelINS0_14default_configENS1_25partition_config_selectorILNS1_17partition_subalgoE5ElNS0_10empty_typeEbEEZZNS1_14partition_implILS5_5ELb0ES3_mN6hipcub16HIPCUB_304000_NS21CountingInputIteratorIllEEPS6_NSA_22TransformInputIteratorIb7NonZeroIiEPilEENS0_5tupleIJPlS6_EEENSJ_IJSD_SD_EEES6_SK_JS6_EEE10hipError_tPvRmT3_T4_T5_T6_T7_T9_mT8_P12ihipStream_tbDpT10_ENKUlT_T0_E_clISt17integral_constantIbLb1EES15_IbLb0EEEEDaS11_S12_EUlS11_E_NS1_11comp_targetILNS1_3genE4ELNS1_11target_archE910ELNS1_3gpuE8ELNS1_3repE0EEENS1_30default_config_static_selectorELNS0_4arch9wavefront6targetE1EEEvT1_
; %bb.0:
	.section	.rodata,"a",@progbits
	.p2align	6, 0x0
	.amdhsa_kernel _ZN7rocprim17ROCPRIM_400000_NS6detail17trampoline_kernelINS0_14default_configENS1_25partition_config_selectorILNS1_17partition_subalgoE5ElNS0_10empty_typeEbEEZZNS1_14partition_implILS5_5ELb0ES3_mN6hipcub16HIPCUB_304000_NS21CountingInputIteratorIllEEPS6_NSA_22TransformInputIteratorIb7NonZeroIiEPilEENS0_5tupleIJPlS6_EEENSJ_IJSD_SD_EEES6_SK_JS6_EEE10hipError_tPvRmT3_T4_T5_T6_T7_T9_mT8_P12ihipStream_tbDpT10_ENKUlT_T0_E_clISt17integral_constantIbLb1EES15_IbLb0EEEEDaS11_S12_EUlS11_E_NS1_11comp_targetILNS1_3genE4ELNS1_11target_archE910ELNS1_3gpuE8ELNS1_3repE0EEENS1_30default_config_static_selectorELNS0_4arch9wavefront6targetE1EEEvT1_
		.amdhsa_group_segment_fixed_size 0
		.amdhsa_private_segment_fixed_size 0
		.amdhsa_kernarg_size 120
		.amdhsa_user_sgpr_count 2
		.amdhsa_user_sgpr_dispatch_ptr 0
		.amdhsa_user_sgpr_queue_ptr 0
		.amdhsa_user_sgpr_kernarg_segment_ptr 1
		.amdhsa_user_sgpr_dispatch_id 0
		.amdhsa_user_sgpr_kernarg_preload_length 0
		.amdhsa_user_sgpr_kernarg_preload_offset 0
		.amdhsa_user_sgpr_private_segment_size 0
		.amdhsa_uses_dynamic_stack 0
		.amdhsa_enable_private_segment 0
		.amdhsa_system_sgpr_workgroup_id_x 1
		.amdhsa_system_sgpr_workgroup_id_y 0
		.amdhsa_system_sgpr_workgroup_id_z 0
		.amdhsa_system_sgpr_workgroup_info 0
		.amdhsa_system_vgpr_workitem_id 0
		.amdhsa_next_free_vgpr 1
		.amdhsa_next_free_sgpr 0
		.amdhsa_accum_offset 4
		.amdhsa_reserve_vcc 0
		.amdhsa_float_round_mode_32 0
		.amdhsa_float_round_mode_16_64 0
		.amdhsa_float_denorm_mode_32 3
		.amdhsa_float_denorm_mode_16_64 3
		.amdhsa_dx10_clamp 1
		.amdhsa_ieee_mode 1
		.amdhsa_fp16_overflow 0
		.amdhsa_tg_split 0
		.amdhsa_exception_fp_ieee_invalid_op 0
		.amdhsa_exception_fp_denorm_src 0
		.amdhsa_exception_fp_ieee_div_zero 0
		.amdhsa_exception_fp_ieee_overflow 0
		.amdhsa_exception_fp_ieee_underflow 0
		.amdhsa_exception_fp_ieee_inexact 0
		.amdhsa_exception_int_div_zero 0
	.end_amdhsa_kernel
	.section	.text._ZN7rocprim17ROCPRIM_400000_NS6detail17trampoline_kernelINS0_14default_configENS1_25partition_config_selectorILNS1_17partition_subalgoE5ElNS0_10empty_typeEbEEZZNS1_14partition_implILS5_5ELb0ES3_mN6hipcub16HIPCUB_304000_NS21CountingInputIteratorIllEEPS6_NSA_22TransformInputIteratorIb7NonZeroIiEPilEENS0_5tupleIJPlS6_EEENSJ_IJSD_SD_EEES6_SK_JS6_EEE10hipError_tPvRmT3_T4_T5_T6_T7_T9_mT8_P12ihipStream_tbDpT10_ENKUlT_T0_E_clISt17integral_constantIbLb1EES15_IbLb0EEEEDaS11_S12_EUlS11_E_NS1_11comp_targetILNS1_3genE4ELNS1_11target_archE910ELNS1_3gpuE8ELNS1_3repE0EEENS1_30default_config_static_selectorELNS0_4arch9wavefront6targetE1EEEvT1_,"axG",@progbits,_ZN7rocprim17ROCPRIM_400000_NS6detail17trampoline_kernelINS0_14default_configENS1_25partition_config_selectorILNS1_17partition_subalgoE5ElNS0_10empty_typeEbEEZZNS1_14partition_implILS5_5ELb0ES3_mN6hipcub16HIPCUB_304000_NS21CountingInputIteratorIllEEPS6_NSA_22TransformInputIteratorIb7NonZeroIiEPilEENS0_5tupleIJPlS6_EEENSJ_IJSD_SD_EEES6_SK_JS6_EEE10hipError_tPvRmT3_T4_T5_T6_T7_T9_mT8_P12ihipStream_tbDpT10_ENKUlT_T0_E_clISt17integral_constantIbLb1EES15_IbLb0EEEEDaS11_S12_EUlS11_E_NS1_11comp_targetILNS1_3genE4ELNS1_11target_archE910ELNS1_3gpuE8ELNS1_3repE0EEENS1_30default_config_static_selectorELNS0_4arch9wavefront6targetE1EEEvT1_,comdat
.Lfunc_end203:
	.size	_ZN7rocprim17ROCPRIM_400000_NS6detail17trampoline_kernelINS0_14default_configENS1_25partition_config_selectorILNS1_17partition_subalgoE5ElNS0_10empty_typeEbEEZZNS1_14partition_implILS5_5ELb0ES3_mN6hipcub16HIPCUB_304000_NS21CountingInputIteratorIllEEPS6_NSA_22TransformInputIteratorIb7NonZeroIiEPilEENS0_5tupleIJPlS6_EEENSJ_IJSD_SD_EEES6_SK_JS6_EEE10hipError_tPvRmT3_T4_T5_T6_T7_T9_mT8_P12ihipStream_tbDpT10_ENKUlT_T0_E_clISt17integral_constantIbLb1EES15_IbLb0EEEEDaS11_S12_EUlS11_E_NS1_11comp_targetILNS1_3genE4ELNS1_11target_archE910ELNS1_3gpuE8ELNS1_3repE0EEENS1_30default_config_static_selectorELNS0_4arch9wavefront6targetE1EEEvT1_, .Lfunc_end203-_ZN7rocprim17ROCPRIM_400000_NS6detail17trampoline_kernelINS0_14default_configENS1_25partition_config_selectorILNS1_17partition_subalgoE5ElNS0_10empty_typeEbEEZZNS1_14partition_implILS5_5ELb0ES3_mN6hipcub16HIPCUB_304000_NS21CountingInputIteratorIllEEPS6_NSA_22TransformInputIteratorIb7NonZeroIiEPilEENS0_5tupleIJPlS6_EEENSJ_IJSD_SD_EEES6_SK_JS6_EEE10hipError_tPvRmT3_T4_T5_T6_T7_T9_mT8_P12ihipStream_tbDpT10_ENKUlT_T0_E_clISt17integral_constantIbLb1EES15_IbLb0EEEEDaS11_S12_EUlS11_E_NS1_11comp_targetILNS1_3genE4ELNS1_11target_archE910ELNS1_3gpuE8ELNS1_3repE0EEENS1_30default_config_static_selectorELNS0_4arch9wavefront6targetE1EEEvT1_
                                        ; -- End function
	.set _ZN7rocprim17ROCPRIM_400000_NS6detail17trampoline_kernelINS0_14default_configENS1_25partition_config_selectorILNS1_17partition_subalgoE5ElNS0_10empty_typeEbEEZZNS1_14partition_implILS5_5ELb0ES3_mN6hipcub16HIPCUB_304000_NS21CountingInputIteratorIllEEPS6_NSA_22TransformInputIteratorIb7NonZeroIiEPilEENS0_5tupleIJPlS6_EEENSJ_IJSD_SD_EEES6_SK_JS6_EEE10hipError_tPvRmT3_T4_T5_T6_T7_T9_mT8_P12ihipStream_tbDpT10_ENKUlT_T0_E_clISt17integral_constantIbLb1EES15_IbLb0EEEEDaS11_S12_EUlS11_E_NS1_11comp_targetILNS1_3genE4ELNS1_11target_archE910ELNS1_3gpuE8ELNS1_3repE0EEENS1_30default_config_static_selectorELNS0_4arch9wavefront6targetE1EEEvT1_.num_vgpr, 0
	.set _ZN7rocprim17ROCPRIM_400000_NS6detail17trampoline_kernelINS0_14default_configENS1_25partition_config_selectorILNS1_17partition_subalgoE5ElNS0_10empty_typeEbEEZZNS1_14partition_implILS5_5ELb0ES3_mN6hipcub16HIPCUB_304000_NS21CountingInputIteratorIllEEPS6_NSA_22TransformInputIteratorIb7NonZeroIiEPilEENS0_5tupleIJPlS6_EEENSJ_IJSD_SD_EEES6_SK_JS6_EEE10hipError_tPvRmT3_T4_T5_T6_T7_T9_mT8_P12ihipStream_tbDpT10_ENKUlT_T0_E_clISt17integral_constantIbLb1EES15_IbLb0EEEEDaS11_S12_EUlS11_E_NS1_11comp_targetILNS1_3genE4ELNS1_11target_archE910ELNS1_3gpuE8ELNS1_3repE0EEENS1_30default_config_static_selectorELNS0_4arch9wavefront6targetE1EEEvT1_.num_agpr, 0
	.set _ZN7rocprim17ROCPRIM_400000_NS6detail17trampoline_kernelINS0_14default_configENS1_25partition_config_selectorILNS1_17partition_subalgoE5ElNS0_10empty_typeEbEEZZNS1_14partition_implILS5_5ELb0ES3_mN6hipcub16HIPCUB_304000_NS21CountingInputIteratorIllEEPS6_NSA_22TransformInputIteratorIb7NonZeroIiEPilEENS0_5tupleIJPlS6_EEENSJ_IJSD_SD_EEES6_SK_JS6_EEE10hipError_tPvRmT3_T4_T5_T6_T7_T9_mT8_P12ihipStream_tbDpT10_ENKUlT_T0_E_clISt17integral_constantIbLb1EES15_IbLb0EEEEDaS11_S12_EUlS11_E_NS1_11comp_targetILNS1_3genE4ELNS1_11target_archE910ELNS1_3gpuE8ELNS1_3repE0EEENS1_30default_config_static_selectorELNS0_4arch9wavefront6targetE1EEEvT1_.numbered_sgpr, 0
	.set _ZN7rocprim17ROCPRIM_400000_NS6detail17trampoline_kernelINS0_14default_configENS1_25partition_config_selectorILNS1_17partition_subalgoE5ElNS0_10empty_typeEbEEZZNS1_14partition_implILS5_5ELb0ES3_mN6hipcub16HIPCUB_304000_NS21CountingInputIteratorIllEEPS6_NSA_22TransformInputIteratorIb7NonZeroIiEPilEENS0_5tupleIJPlS6_EEENSJ_IJSD_SD_EEES6_SK_JS6_EEE10hipError_tPvRmT3_T4_T5_T6_T7_T9_mT8_P12ihipStream_tbDpT10_ENKUlT_T0_E_clISt17integral_constantIbLb1EES15_IbLb0EEEEDaS11_S12_EUlS11_E_NS1_11comp_targetILNS1_3genE4ELNS1_11target_archE910ELNS1_3gpuE8ELNS1_3repE0EEENS1_30default_config_static_selectorELNS0_4arch9wavefront6targetE1EEEvT1_.num_named_barrier, 0
	.set _ZN7rocprim17ROCPRIM_400000_NS6detail17trampoline_kernelINS0_14default_configENS1_25partition_config_selectorILNS1_17partition_subalgoE5ElNS0_10empty_typeEbEEZZNS1_14partition_implILS5_5ELb0ES3_mN6hipcub16HIPCUB_304000_NS21CountingInputIteratorIllEEPS6_NSA_22TransformInputIteratorIb7NonZeroIiEPilEENS0_5tupleIJPlS6_EEENSJ_IJSD_SD_EEES6_SK_JS6_EEE10hipError_tPvRmT3_T4_T5_T6_T7_T9_mT8_P12ihipStream_tbDpT10_ENKUlT_T0_E_clISt17integral_constantIbLb1EES15_IbLb0EEEEDaS11_S12_EUlS11_E_NS1_11comp_targetILNS1_3genE4ELNS1_11target_archE910ELNS1_3gpuE8ELNS1_3repE0EEENS1_30default_config_static_selectorELNS0_4arch9wavefront6targetE1EEEvT1_.private_seg_size, 0
	.set _ZN7rocprim17ROCPRIM_400000_NS6detail17trampoline_kernelINS0_14default_configENS1_25partition_config_selectorILNS1_17partition_subalgoE5ElNS0_10empty_typeEbEEZZNS1_14partition_implILS5_5ELb0ES3_mN6hipcub16HIPCUB_304000_NS21CountingInputIteratorIllEEPS6_NSA_22TransformInputIteratorIb7NonZeroIiEPilEENS0_5tupleIJPlS6_EEENSJ_IJSD_SD_EEES6_SK_JS6_EEE10hipError_tPvRmT3_T4_T5_T6_T7_T9_mT8_P12ihipStream_tbDpT10_ENKUlT_T0_E_clISt17integral_constantIbLb1EES15_IbLb0EEEEDaS11_S12_EUlS11_E_NS1_11comp_targetILNS1_3genE4ELNS1_11target_archE910ELNS1_3gpuE8ELNS1_3repE0EEENS1_30default_config_static_selectorELNS0_4arch9wavefront6targetE1EEEvT1_.uses_vcc, 0
	.set _ZN7rocprim17ROCPRIM_400000_NS6detail17trampoline_kernelINS0_14default_configENS1_25partition_config_selectorILNS1_17partition_subalgoE5ElNS0_10empty_typeEbEEZZNS1_14partition_implILS5_5ELb0ES3_mN6hipcub16HIPCUB_304000_NS21CountingInputIteratorIllEEPS6_NSA_22TransformInputIteratorIb7NonZeroIiEPilEENS0_5tupleIJPlS6_EEENSJ_IJSD_SD_EEES6_SK_JS6_EEE10hipError_tPvRmT3_T4_T5_T6_T7_T9_mT8_P12ihipStream_tbDpT10_ENKUlT_T0_E_clISt17integral_constantIbLb1EES15_IbLb0EEEEDaS11_S12_EUlS11_E_NS1_11comp_targetILNS1_3genE4ELNS1_11target_archE910ELNS1_3gpuE8ELNS1_3repE0EEENS1_30default_config_static_selectorELNS0_4arch9wavefront6targetE1EEEvT1_.uses_flat_scratch, 0
	.set _ZN7rocprim17ROCPRIM_400000_NS6detail17trampoline_kernelINS0_14default_configENS1_25partition_config_selectorILNS1_17partition_subalgoE5ElNS0_10empty_typeEbEEZZNS1_14partition_implILS5_5ELb0ES3_mN6hipcub16HIPCUB_304000_NS21CountingInputIteratorIllEEPS6_NSA_22TransformInputIteratorIb7NonZeroIiEPilEENS0_5tupleIJPlS6_EEENSJ_IJSD_SD_EEES6_SK_JS6_EEE10hipError_tPvRmT3_T4_T5_T6_T7_T9_mT8_P12ihipStream_tbDpT10_ENKUlT_T0_E_clISt17integral_constantIbLb1EES15_IbLb0EEEEDaS11_S12_EUlS11_E_NS1_11comp_targetILNS1_3genE4ELNS1_11target_archE910ELNS1_3gpuE8ELNS1_3repE0EEENS1_30default_config_static_selectorELNS0_4arch9wavefront6targetE1EEEvT1_.has_dyn_sized_stack, 0
	.set _ZN7rocprim17ROCPRIM_400000_NS6detail17trampoline_kernelINS0_14default_configENS1_25partition_config_selectorILNS1_17partition_subalgoE5ElNS0_10empty_typeEbEEZZNS1_14partition_implILS5_5ELb0ES3_mN6hipcub16HIPCUB_304000_NS21CountingInputIteratorIllEEPS6_NSA_22TransformInputIteratorIb7NonZeroIiEPilEENS0_5tupleIJPlS6_EEENSJ_IJSD_SD_EEES6_SK_JS6_EEE10hipError_tPvRmT3_T4_T5_T6_T7_T9_mT8_P12ihipStream_tbDpT10_ENKUlT_T0_E_clISt17integral_constantIbLb1EES15_IbLb0EEEEDaS11_S12_EUlS11_E_NS1_11comp_targetILNS1_3genE4ELNS1_11target_archE910ELNS1_3gpuE8ELNS1_3repE0EEENS1_30default_config_static_selectorELNS0_4arch9wavefront6targetE1EEEvT1_.has_recursion, 0
	.set _ZN7rocprim17ROCPRIM_400000_NS6detail17trampoline_kernelINS0_14default_configENS1_25partition_config_selectorILNS1_17partition_subalgoE5ElNS0_10empty_typeEbEEZZNS1_14partition_implILS5_5ELb0ES3_mN6hipcub16HIPCUB_304000_NS21CountingInputIteratorIllEEPS6_NSA_22TransformInputIteratorIb7NonZeroIiEPilEENS0_5tupleIJPlS6_EEENSJ_IJSD_SD_EEES6_SK_JS6_EEE10hipError_tPvRmT3_T4_T5_T6_T7_T9_mT8_P12ihipStream_tbDpT10_ENKUlT_T0_E_clISt17integral_constantIbLb1EES15_IbLb0EEEEDaS11_S12_EUlS11_E_NS1_11comp_targetILNS1_3genE4ELNS1_11target_archE910ELNS1_3gpuE8ELNS1_3repE0EEENS1_30default_config_static_selectorELNS0_4arch9wavefront6targetE1EEEvT1_.has_indirect_call, 0
	.section	.AMDGPU.csdata,"",@progbits
; Kernel info:
; codeLenInByte = 0
; TotalNumSgprs: 6
; NumVgprs: 0
; NumAgprs: 0
; TotalNumVgprs: 0
; ScratchSize: 0
; MemoryBound: 0
; FloatMode: 240
; IeeeMode: 1
; LDSByteSize: 0 bytes/workgroup (compile time only)
; SGPRBlocks: 0
; VGPRBlocks: 0
; NumSGPRsForWavesPerEU: 6
; NumVGPRsForWavesPerEU: 1
; AccumOffset: 4
; Occupancy: 8
; WaveLimiterHint : 0
; COMPUTE_PGM_RSRC2:SCRATCH_EN: 0
; COMPUTE_PGM_RSRC2:USER_SGPR: 2
; COMPUTE_PGM_RSRC2:TRAP_HANDLER: 0
; COMPUTE_PGM_RSRC2:TGID_X_EN: 1
; COMPUTE_PGM_RSRC2:TGID_Y_EN: 0
; COMPUTE_PGM_RSRC2:TGID_Z_EN: 0
; COMPUTE_PGM_RSRC2:TIDIG_COMP_CNT: 0
; COMPUTE_PGM_RSRC3_GFX90A:ACCUM_OFFSET: 0
; COMPUTE_PGM_RSRC3_GFX90A:TG_SPLIT: 0
	.section	.text._ZN7rocprim17ROCPRIM_400000_NS6detail17trampoline_kernelINS0_14default_configENS1_25partition_config_selectorILNS1_17partition_subalgoE5ElNS0_10empty_typeEbEEZZNS1_14partition_implILS5_5ELb0ES3_mN6hipcub16HIPCUB_304000_NS21CountingInputIteratorIllEEPS6_NSA_22TransformInputIteratorIb7NonZeroIiEPilEENS0_5tupleIJPlS6_EEENSJ_IJSD_SD_EEES6_SK_JS6_EEE10hipError_tPvRmT3_T4_T5_T6_T7_T9_mT8_P12ihipStream_tbDpT10_ENKUlT_T0_E_clISt17integral_constantIbLb1EES15_IbLb0EEEEDaS11_S12_EUlS11_E_NS1_11comp_targetILNS1_3genE3ELNS1_11target_archE908ELNS1_3gpuE7ELNS1_3repE0EEENS1_30default_config_static_selectorELNS0_4arch9wavefront6targetE1EEEvT1_,"axG",@progbits,_ZN7rocprim17ROCPRIM_400000_NS6detail17trampoline_kernelINS0_14default_configENS1_25partition_config_selectorILNS1_17partition_subalgoE5ElNS0_10empty_typeEbEEZZNS1_14partition_implILS5_5ELb0ES3_mN6hipcub16HIPCUB_304000_NS21CountingInputIteratorIllEEPS6_NSA_22TransformInputIteratorIb7NonZeroIiEPilEENS0_5tupleIJPlS6_EEENSJ_IJSD_SD_EEES6_SK_JS6_EEE10hipError_tPvRmT3_T4_T5_T6_T7_T9_mT8_P12ihipStream_tbDpT10_ENKUlT_T0_E_clISt17integral_constantIbLb1EES15_IbLb0EEEEDaS11_S12_EUlS11_E_NS1_11comp_targetILNS1_3genE3ELNS1_11target_archE908ELNS1_3gpuE7ELNS1_3repE0EEENS1_30default_config_static_selectorELNS0_4arch9wavefront6targetE1EEEvT1_,comdat
	.protected	_ZN7rocprim17ROCPRIM_400000_NS6detail17trampoline_kernelINS0_14default_configENS1_25partition_config_selectorILNS1_17partition_subalgoE5ElNS0_10empty_typeEbEEZZNS1_14partition_implILS5_5ELb0ES3_mN6hipcub16HIPCUB_304000_NS21CountingInputIteratorIllEEPS6_NSA_22TransformInputIteratorIb7NonZeroIiEPilEENS0_5tupleIJPlS6_EEENSJ_IJSD_SD_EEES6_SK_JS6_EEE10hipError_tPvRmT3_T4_T5_T6_T7_T9_mT8_P12ihipStream_tbDpT10_ENKUlT_T0_E_clISt17integral_constantIbLb1EES15_IbLb0EEEEDaS11_S12_EUlS11_E_NS1_11comp_targetILNS1_3genE3ELNS1_11target_archE908ELNS1_3gpuE7ELNS1_3repE0EEENS1_30default_config_static_selectorELNS0_4arch9wavefront6targetE1EEEvT1_ ; -- Begin function _ZN7rocprim17ROCPRIM_400000_NS6detail17trampoline_kernelINS0_14default_configENS1_25partition_config_selectorILNS1_17partition_subalgoE5ElNS0_10empty_typeEbEEZZNS1_14partition_implILS5_5ELb0ES3_mN6hipcub16HIPCUB_304000_NS21CountingInputIteratorIllEEPS6_NSA_22TransformInputIteratorIb7NonZeroIiEPilEENS0_5tupleIJPlS6_EEENSJ_IJSD_SD_EEES6_SK_JS6_EEE10hipError_tPvRmT3_T4_T5_T6_T7_T9_mT8_P12ihipStream_tbDpT10_ENKUlT_T0_E_clISt17integral_constantIbLb1EES15_IbLb0EEEEDaS11_S12_EUlS11_E_NS1_11comp_targetILNS1_3genE3ELNS1_11target_archE908ELNS1_3gpuE7ELNS1_3repE0EEENS1_30default_config_static_selectorELNS0_4arch9wavefront6targetE1EEEvT1_
	.globl	_ZN7rocprim17ROCPRIM_400000_NS6detail17trampoline_kernelINS0_14default_configENS1_25partition_config_selectorILNS1_17partition_subalgoE5ElNS0_10empty_typeEbEEZZNS1_14partition_implILS5_5ELb0ES3_mN6hipcub16HIPCUB_304000_NS21CountingInputIteratorIllEEPS6_NSA_22TransformInputIteratorIb7NonZeroIiEPilEENS0_5tupleIJPlS6_EEENSJ_IJSD_SD_EEES6_SK_JS6_EEE10hipError_tPvRmT3_T4_T5_T6_T7_T9_mT8_P12ihipStream_tbDpT10_ENKUlT_T0_E_clISt17integral_constantIbLb1EES15_IbLb0EEEEDaS11_S12_EUlS11_E_NS1_11comp_targetILNS1_3genE3ELNS1_11target_archE908ELNS1_3gpuE7ELNS1_3repE0EEENS1_30default_config_static_selectorELNS0_4arch9wavefront6targetE1EEEvT1_
	.p2align	8
	.type	_ZN7rocprim17ROCPRIM_400000_NS6detail17trampoline_kernelINS0_14default_configENS1_25partition_config_selectorILNS1_17partition_subalgoE5ElNS0_10empty_typeEbEEZZNS1_14partition_implILS5_5ELb0ES3_mN6hipcub16HIPCUB_304000_NS21CountingInputIteratorIllEEPS6_NSA_22TransformInputIteratorIb7NonZeroIiEPilEENS0_5tupleIJPlS6_EEENSJ_IJSD_SD_EEES6_SK_JS6_EEE10hipError_tPvRmT3_T4_T5_T6_T7_T9_mT8_P12ihipStream_tbDpT10_ENKUlT_T0_E_clISt17integral_constantIbLb1EES15_IbLb0EEEEDaS11_S12_EUlS11_E_NS1_11comp_targetILNS1_3genE3ELNS1_11target_archE908ELNS1_3gpuE7ELNS1_3repE0EEENS1_30default_config_static_selectorELNS0_4arch9wavefront6targetE1EEEvT1_,@function
_ZN7rocprim17ROCPRIM_400000_NS6detail17trampoline_kernelINS0_14default_configENS1_25partition_config_selectorILNS1_17partition_subalgoE5ElNS0_10empty_typeEbEEZZNS1_14partition_implILS5_5ELb0ES3_mN6hipcub16HIPCUB_304000_NS21CountingInputIteratorIllEEPS6_NSA_22TransformInputIteratorIb7NonZeroIiEPilEENS0_5tupleIJPlS6_EEENSJ_IJSD_SD_EEES6_SK_JS6_EEE10hipError_tPvRmT3_T4_T5_T6_T7_T9_mT8_P12ihipStream_tbDpT10_ENKUlT_T0_E_clISt17integral_constantIbLb1EES15_IbLb0EEEEDaS11_S12_EUlS11_E_NS1_11comp_targetILNS1_3genE3ELNS1_11target_archE908ELNS1_3gpuE7ELNS1_3repE0EEENS1_30default_config_static_selectorELNS0_4arch9wavefront6targetE1EEEvT1_: ; @_ZN7rocprim17ROCPRIM_400000_NS6detail17trampoline_kernelINS0_14default_configENS1_25partition_config_selectorILNS1_17partition_subalgoE5ElNS0_10empty_typeEbEEZZNS1_14partition_implILS5_5ELb0ES3_mN6hipcub16HIPCUB_304000_NS21CountingInputIteratorIllEEPS6_NSA_22TransformInputIteratorIb7NonZeroIiEPilEENS0_5tupleIJPlS6_EEENSJ_IJSD_SD_EEES6_SK_JS6_EEE10hipError_tPvRmT3_T4_T5_T6_T7_T9_mT8_P12ihipStream_tbDpT10_ENKUlT_T0_E_clISt17integral_constantIbLb1EES15_IbLb0EEEEDaS11_S12_EUlS11_E_NS1_11comp_targetILNS1_3genE3ELNS1_11target_archE908ELNS1_3gpuE7ELNS1_3repE0EEENS1_30default_config_static_selectorELNS0_4arch9wavefront6targetE1EEEvT1_
; %bb.0:
	.section	.rodata,"a",@progbits
	.p2align	6, 0x0
	.amdhsa_kernel _ZN7rocprim17ROCPRIM_400000_NS6detail17trampoline_kernelINS0_14default_configENS1_25partition_config_selectorILNS1_17partition_subalgoE5ElNS0_10empty_typeEbEEZZNS1_14partition_implILS5_5ELb0ES3_mN6hipcub16HIPCUB_304000_NS21CountingInputIteratorIllEEPS6_NSA_22TransformInputIteratorIb7NonZeroIiEPilEENS0_5tupleIJPlS6_EEENSJ_IJSD_SD_EEES6_SK_JS6_EEE10hipError_tPvRmT3_T4_T5_T6_T7_T9_mT8_P12ihipStream_tbDpT10_ENKUlT_T0_E_clISt17integral_constantIbLb1EES15_IbLb0EEEEDaS11_S12_EUlS11_E_NS1_11comp_targetILNS1_3genE3ELNS1_11target_archE908ELNS1_3gpuE7ELNS1_3repE0EEENS1_30default_config_static_selectorELNS0_4arch9wavefront6targetE1EEEvT1_
		.amdhsa_group_segment_fixed_size 0
		.amdhsa_private_segment_fixed_size 0
		.amdhsa_kernarg_size 120
		.amdhsa_user_sgpr_count 2
		.amdhsa_user_sgpr_dispatch_ptr 0
		.amdhsa_user_sgpr_queue_ptr 0
		.amdhsa_user_sgpr_kernarg_segment_ptr 1
		.amdhsa_user_sgpr_dispatch_id 0
		.amdhsa_user_sgpr_kernarg_preload_length 0
		.amdhsa_user_sgpr_kernarg_preload_offset 0
		.amdhsa_user_sgpr_private_segment_size 0
		.amdhsa_uses_dynamic_stack 0
		.amdhsa_enable_private_segment 0
		.amdhsa_system_sgpr_workgroup_id_x 1
		.amdhsa_system_sgpr_workgroup_id_y 0
		.amdhsa_system_sgpr_workgroup_id_z 0
		.amdhsa_system_sgpr_workgroup_info 0
		.amdhsa_system_vgpr_workitem_id 0
		.amdhsa_next_free_vgpr 1
		.amdhsa_next_free_sgpr 0
		.amdhsa_accum_offset 4
		.amdhsa_reserve_vcc 0
		.amdhsa_float_round_mode_32 0
		.amdhsa_float_round_mode_16_64 0
		.amdhsa_float_denorm_mode_32 3
		.amdhsa_float_denorm_mode_16_64 3
		.amdhsa_dx10_clamp 1
		.amdhsa_ieee_mode 1
		.amdhsa_fp16_overflow 0
		.amdhsa_tg_split 0
		.amdhsa_exception_fp_ieee_invalid_op 0
		.amdhsa_exception_fp_denorm_src 0
		.amdhsa_exception_fp_ieee_div_zero 0
		.amdhsa_exception_fp_ieee_overflow 0
		.amdhsa_exception_fp_ieee_underflow 0
		.amdhsa_exception_fp_ieee_inexact 0
		.amdhsa_exception_int_div_zero 0
	.end_amdhsa_kernel
	.section	.text._ZN7rocprim17ROCPRIM_400000_NS6detail17trampoline_kernelINS0_14default_configENS1_25partition_config_selectorILNS1_17partition_subalgoE5ElNS0_10empty_typeEbEEZZNS1_14partition_implILS5_5ELb0ES3_mN6hipcub16HIPCUB_304000_NS21CountingInputIteratorIllEEPS6_NSA_22TransformInputIteratorIb7NonZeroIiEPilEENS0_5tupleIJPlS6_EEENSJ_IJSD_SD_EEES6_SK_JS6_EEE10hipError_tPvRmT3_T4_T5_T6_T7_T9_mT8_P12ihipStream_tbDpT10_ENKUlT_T0_E_clISt17integral_constantIbLb1EES15_IbLb0EEEEDaS11_S12_EUlS11_E_NS1_11comp_targetILNS1_3genE3ELNS1_11target_archE908ELNS1_3gpuE7ELNS1_3repE0EEENS1_30default_config_static_selectorELNS0_4arch9wavefront6targetE1EEEvT1_,"axG",@progbits,_ZN7rocprim17ROCPRIM_400000_NS6detail17trampoline_kernelINS0_14default_configENS1_25partition_config_selectorILNS1_17partition_subalgoE5ElNS0_10empty_typeEbEEZZNS1_14partition_implILS5_5ELb0ES3_mN6hipcub16HIPCUB_304000_NS21CountingInputIteratorIllEEPS6_NSA_22TransformInputIteratorIb7NonZeroIiEPilEENS0_5tupleIJPlS6_EEENSJ_IJSD_SD_EEES6_SK_JS6_EEE10hipError_tPvRmT3_T4_T5_T6_T7_T9_mT8_P12ihipStream_tbDpT10_ENKUlT_T0_E_clISt17integral_constantIbLb1EES15_IbLb0EEEEDaS11_S12_EUlS11_E_NS1_11comp_targetILNS1_3genE3ELNS1_11target_archE908ELNS1_3gpuE7ELNS1_3repE0EEENS1_30default_config_static_selectorELNS0_4arch9wavefront6targetE1EEEvT1_,comdat
.Lfunc_end204:
	.size	_ZN7rocprim17ROCPRIM_400000_NS6detail17trampoline_kernelINS0_14default_configENS1_25partition_config_selectorILNS1_17partition_subalgoE5ElNS0_10empty_typeEbEEZZNS1_14partition_implILS5_5ELb0ES3_mN6hipcub16HIPCUB_304000_NS21CountingInputIteratorIllEEPS6_NSA_22TransformInputIteratorIb7NonZeroIiEPilEENS0_5tupleIJPlS6_EEENSJ_IJSD_SD_EEES6_SK_JS6_EEE10hipError_tPvRmT3_T4_T5_T6_T7_T9_mT8_P12ihipStream_tbDpT10_ENKUlT_T0_E_clISt17integral_constantIbLb1EES15_IbLb0EEEEDaS11_S12_EUlS11_E_NS1_11comp_targetILNS1_3genE3ELNS1_11target_archE908ELNS1_3gpuE7ELNS1_3repE0EEENS1_30default_config_static_selectorELNS0_4arch9wavefront6targetE1EEEvT1_, .Lfunc_end204-_ZN7rocprim17ROCPRIM_400000_NS6detail17trampoline_kernelINS0_14default_configENS1_25partition_config_selectorILNS1_17partition_subalgoE5ElNS0_10empty_typeEbEEZZNS1_14partition_implILS5_5ELb0ES3_mN6hipcub16HIPCUB_304000_NS21CountingInputIteratorIllEEPS6_NSA_22TransformInputIteratorIb7NonZeroIiEPilEENS0_5tupleIJPlS6_EEENSJ_IJSD_SD_EEES6_SK_JS6_EEE10hipError_tPvRmT3_T4_T5_T6_T7_T9_mT8_P12ihipStream_tbDpT10_ENKUlT_T0_E_clISt17integral_constantIbLb1EES15_IbLb0EEEEDaS11_S12_EUlS11_E_NS1_11comp_targetILNS1_3genE3ELNS1_11target_archE908ELNS1_3gpuE7ELNS1_3repE0EEENS1_30default_config_static_selectorELNS0_4arch9wavefront6targetE1EEEvT1_
                                        ; -- End function
	.set _ZN7rocprim17ROCPRIM_400000_NS6detail17trampoline_kernelINS0_14default_configENS1_25partition_config_selectorILNS1_17partition_subalgoE5ElNS0_10empty_typeEbEEZZNS1_14partition_implILS5_5ELb0ES3_mN6hipcub16HIPCUB_304000_NS21CountingInputIteratorIllEEPS6_NSA_22TransformInputIteratorIb7NonZeroIiEPilEENS0_5tupleIJPlS6_EEENSJ_IJSD_SD_EEES6_SK_JS6_EEE10hipError_tPvRmT3_T4_T5_T6_T7_T9_mT8_P12ihipStream_tbDpT10_ENKUlT_T0_E_clISt17integral_constantIbLb1EES15_IbLb0EEEEDaS11_S12_EUlS11_E_NS1_11comp_targetILNS1_3genE3ELNS1_11target_archE908ELNS1_3gpuE7ELNS1_3repE0EEENS1_30default_config_static_selectorELNS0_4arch9wavefront6targetE1EEEvT1_.num_vgpr, 0
	.set _ZN7rocprim17ROCPRIM_400000_NS6detail17trampoline_kernelINS0_14default_configENS1_25partition_config_selectorILNS1_17partition_subalgoE5ElNS0_10empty_typeEbEEZZNS1_14partition_implILS5_5ELb0ES3_mN6hipcub16HIPCUB_304000_NS21CountingInputIteratorIllEEPS6_NSA_22TransformInputIteratorIb7NonZeroIiEPilEENS0_5tupleIJPlS6_EEENSJ_IJSD_SD_EEES6_SK_JS6_EEE10hipError_tPvRmT3_T4_T5_T6_T7_T9_mT8_P12ihipStream_tbDpT10_ENKUlT_T0_E_clISt17integral_constantIbLb1EES15_IbLb0EEEEDaS11_S12_EUlS11_E_NS1_11comp_targetILNS1_3genE3ELNS1_11target_archE908ELNS1_3gpuE7ELNS1_3repE0EEENS1_30default_config_static_selectorELNS0_4arch9wavefront6targetE1EEEvT1_.num_agpr, 0
	.set _ZN7rocprim17ROCPRIM_400000_NS6detail17trampoline_kernelINS0_14default_configENS1_25partition_config_selectorILNS1_17partition_subalgoE5ElNS0_10empty_typeEbEEZZNS1_14partition_implILS5_5ELb0ES3_mN6hipcub16HIPCUB_304000_NS21CountingInputIteratorIllEEPS6_NSA_22TransformInputIteratorIb7NonZeroIiEPilEENS0_5tupleIJPlS6_EEENSJ_IJSD_SD_EEES6_SK_JS6_EEE10hipError_tPvRmT3_T4_T5_T6_T7_T9_mT8_P12ihipStream_tbDpT10_ENKUlT_T0_E_clISt17integral_constantIbLb1EES15_IbLb0EEEEDaS11_S12_EUlS11_E_NS1_11comp_targetILNS1_3genE3ELNS1_11target_archE908ELNS1_3gpuE7ELNS1_3repE0EEENS1_30default_config_static_selectorELNS0_4arch9wavefront6targetE1EEEvT1_.numbered_sgpr, 0
	.set _ZN7rocprim17ROCPRIM_400000_NS6detail17trampoline_kernelINS0_14default_configENS1_25partition_config_selectorILNS1_17partition_subalgoE5ElNS0_10empty_typeEbEEZZNS1_14partition_implILS5_5ELb0ES3_mN6hipcub16HIPCUB_304000_NS21CountingInputIteratorIllEEPS6_NSA_22TransformInputIteratorIb7NonZeroIiEPilEENS0_5tupleIJPlS6_EEENSJ_IJSD_SD_EEES6_SK_JS6_EEE10hipError_tPvRmT3_T4_T5_T6_T7_T9_mT8_P12ihipStream_tbDpT10_ENKUlT_T0_E_clISt17integral_constantIbLb1EES15_IbLb0EEEEDaS11_S12_EUlS11_E_NS1_11comp_targetILNS1_3genE3ELNS1_11target_archE908ELNS1_3gpuE7ELNS1_3repE0EEENS1_30default_config_static_selectorELNS0_4arch9wavefront6targetE1EEEvT1_.num_named_barrier, 0
	.set _ZN7rocprim17ROCPRIM_400000_NS6detail17trampoline_kernelINS0_14default_configENS1_25partition_config_selectorILNS1_17partition_subalgoE5ElNS0_10empty_typeEbEEZZNS1_14partition_implILS5_5ELb0ES3_mN6hipcub16HIPCUB_304000_NS21CountingInputIteratorIllEEPS6_NSA_22TransformInputIteratorIb7NonZeroIiEPilEENS0_5tupleIJPlS6_EEENSJ_IJSD_SD_EEES6_SK_JS6_EEE10hipError_tPvRmT3_T4_T5_T6_T7_T9_mT8_P12ihipStream_tbDpT10_ENKUlT_T0_E_clISt17integral_constantIbLb1EES15_IbLb0EEEEDaS11_S12_EUlS11_E_NS1_11comp_targetILNS1_3genE3ELNS1_11target_archE908ELNS1_3gpuE7ELNS1_3repE0EEENS1_30default_config_static_selectorELNS0_4arch9wavefront6targetE1EEEvT1_.private_seg_size, 0
	.set _ZN7rocprim17ROCPRIM_400000_NS6detail17trampoline_kernelINS0_14default_configENS1_25partition_config_selectorILNS1_17partition_subalgoE5ElNS0_10empty_typeEbEEZZNS1_14partition_implILS5_5ELb0ES3_mN6hipcub16HIPCUB_304000_NS21CountingInputIteratorIllEEPS6_NSA_22TransformInputIteratorIb7NonZeroIiEPilEENS0_5tupleIJPlS6_EEENSJ_IJSD_SD_EEES6_SK_JS6_EEE10hipError_tPvRmT3_T4_T5_T6_T7_T9_mT8_P12ihipStream_tbDpT10_ENKUlT_T0_E_clISt17integral_constantIbLb1EES15_IbLb0EEEEDaS11_S12_EUlS11_E_NS1_11comp_targetILNS1_3genE3ELNS1_11target_archE908ELNS1_3gpuE7ELNS1_3repE0EEENS1_30default_config_static_selectorELNS0_4arch9wavefront6targetE1EEEvT1_.uses_vcc, 0
	.set _ZN7rocprim17ROCPRIM_400000_NS6detail17trampoline_kernelINS0_14default_configENS1_25partition_config_selectorILNS1_17partition_subalgoE5ElNS0_10empty_typeEbEEZZNS1_14partition_implILS5_5ELb0ES3_mN6hipcub16HIPCUB_304000_NS21CountingInputIteratorIllEEPS6_NSA_22TransformInputIteratorIb7NonZeroIiEPilEENS0_5tupleIJPlS6_EEENSJ_IJSD_SD_EEES6_SK_JS6_EEE10hipError_tPvRmT3_T4_T5_T6_T7_T9_mT8_P12ihipStream_tbDpT10_ENKUlT_T0_E_clISt17integral_constantIbLb1EES15_IbLb0EEEEDaS11_S12_EUlS11_E_NS1_11comp_targetILNS1_3genE3ELNS1_11target_archE908ELNS1_3gpuE7ELNS1_3repE0EEENS1_30default_config_static_selectorELNS0_4arch9wavefront6targetE1EEEvT1_.uses_flat_scratch, 0
	.set _ZN7rocprim17ROCPRIM_400000_NS6detail17trampoline_kernelINS0_14default_configENS1_25partition_config_selectorILNS1_17partition_subalgoE5ElNS0_10empty_typeEbEEZZNS1_14partition_implILS5_5ELb0ES3_mN6hipcub16HIPCUB_304000_NS21CountingInputIteratorIllEEPS6_NSA_22TransformInputIteratorIb7NonZeroIiEPilEENS0_5tupleIJPlS6_EEENSJ_IJSD_SD_EEES6_SK_JS6_EEE10hipError_tPvRmT3_T4_T5_T6_T7_T9_mT8_P12ihipStream_tbDpT10_ENKUlT_T0_E_clISt17integral_constantIbLb1EES15_IbLb0EEEEDaS11_S12_EUlS11_E_NS1_11comp_targetILNS1_3genE3ELNS1_11target_archE908ELNS1_3gpuE7ELNS1_3repE0EEENS1_30default_config_static_selectorELNS0_4arch9wavefront6targetE1EEEvT1_.has_dyn_sized_stack, 0
	.set _ZN7rocprim17ROCPRIM_400000_NS6detail17trampoline_kernelINS0_14default_configENS1_25partition_config_selectorILNS1_17partition_subalgoE5ElNS0_10empty_typeEbEEZZNS1_14partition_implILS5_5ELb0ES3_mN6hipcub16HIPCUB_304000_NS21CountingInputIteratorIllEEPS6_NSA_22TransformInputIteratorIb7NonZeroIiEPilEENS0_5tupleIJPlS6_EEENSJ_IJSD_SD_EEES6_SK_JS6_EEE10hipError_tPvRmT3_T4_T5_T6_T7_T9_mT8_P12ihipStream_tbDpT10_ENKUlT_T0_E_clISt17integral_constantIbLb1EES15_IbLb0EEEEDaS11_S12_EUlS11_E_NS1_11comp_targetILNS1_3genE3ELNS1_11target_archE908ELNS1_3gpuE7ELNS1_3repE0EEENS1_30default_config_static_selectorELNS0_4arch9wavefront6targetE1EEEvT1_.has_recursion, 0
	.set _ZN7rocprim17ROCPRIM_400000_NS6detail17trampoline_kernelINS0_14default_configENS1_25partition_config_selectorILNS1_17partition_subalgoE5ElNS0_10empty_typeEbEEZZNS1_14partition_implILS5_5ELb0ES3_mN6hipcub16HIPCUB_304000_NS21CountingInputIteratorIllEEPS6_NSA_22TransformInputIteratorIb7NonZeroIiEPilEENS0_5tupleIJPlS6_EEENSJ_IJSD_SD_EEES6_SK_JS6_EEE10hipError_tPvRmT3_T4_T5_T6_T7_T9_mT8_P12ihipStream_tbDpT10_ENKUlT_T0_E_clISt17integral_constantIbLb1EES15_IbLb0EEEEDaS11_S12_EUlS11_E_NS1_11comp_targetILNS1_3genE3ELNS1_11target_archE908ELNS1_3gpuE7ELNS1_3repE0EEENS1_30default_config_static_selectorELNS0_4arch9wavefront6targetE1EEEvT1_.has_indirect_call, 0
	.section	.AMDGPU.csdata,"",@progbits
; Kernel info:
; codeLenInByte = 0
; TotalNumSgprs: 6
; NumVgprs: 0
; NumAgprs: 0
; TotalNumVgprs: 0
; ScratchSize: 0
; MemoryBound: 0
; FloatMode: 240
; IeeeMode: 1
; LDSByteSize: 0 bytes/workgroup (compile time only)
; SGPRBlocks: 0
; VGPRBlocks: 0
; NumSGPRsForWavesPerEU: 6
; NumVGPRsForWavesPerEU: 1
; AccumOffset: 4
; Occupancy: 8
; WaveLimiterHint : 0
; COMPUTE_PGM_RSRC2:SCRATCH_EN: 0
; COMPUTE_PGM_RSRC2:USER_SGPR: 2
; COMPUTE_PGM_RSRC2:TRAP_HANDLER: 0
; COMPUTE_PGM_RSRC2:TGID_X_EN: 1
; COMPUTE_PGM_RSRC2:TGID_Y_EN: 0
; COMPUTE_PGM_RSRC2:TGID_Z_EN: 0
; COMPUTE_PGM_RSRC2:TIDIG_COMP_CNT: 0
; COMPUTE_PGM_RSRC3_GFX90A:ACCUM_OFFSET: 0
; COMPUTE_PGM_RSRC3_GFX90A:TG_SPLIT: 0
	.section	.text._ZN7rocprim17ROCPRIM_400000_NS6detail17trampoline_kernelINS0_14default_configENS1_25partition_config_selectorILNS1_17partition_subalgoE5ElNS0_10empty_typeEbEEZZNS1_14partition_implILS5_5ELb0ES3_mN6hipcub16HIPCUB_304000_NS21CountingInputIteratorIllEEPS6_NSA_22TransformInputIteratorIb7NonZeroIiEPilEENS0_5tupleIJPlS6_EEENSJ_IJSD_SD_EEES6_SK_JS6_EEE10hipError_tPvRmT3_T4_T5_T6_T7_T9_mT8_P12ihipStream_tbDpT10_ENKUlT_T0_E_clISt17integral_constantIbLb1EES15_IbLb0EEEEDaS11_S12_EUlS11_E_NS1_11comp_targetILNS1_3genE2ELNS1_11target_archE906ELNS1_3gpuE6ELNS1_3repE0EEENS1_30default_config_static_selectorELNS0_4arch9wavefront6targetE1EEEvT1_,"axG",@progbits,_ZN7rocprim17ROCPRIM_400000_NS6detail17trampoline_kernelINS0_14default_configENS1_25partition_config_selectorILNS1_17partition_subalgoE5ElNS0_10empty_typeEbEEZZNS1_14partition_implILS5_5ELb0ES3_mN6hipcub16HIPCUB_304000_NS21CountingInputIteratorIllEEPS6_NSA_22TransformInputIteratorIb7NonZeroIiEPilEENS0_5tupleIJPlS6_EEENSJ_IJSD_SD_EEES6_SK_JS6_EEE10hipError_tPvRmT3_T4_T5_T6_T7_T9_mT8_P12ihipStream_tbDpT10_ENKUlT_T0_E_clISt17integral_constantIbLb1EES15_IbLb0EEEEDaS11_S12_EUlS11_E_NS1_11comp_targetILNS1_3genE2ELNS1_11target_archE906ELNS1_3gpuE6ELNS1_3repE0EEENS1_30default_config_static_selectorELNS0_4arch9wavefront6targetE1EEEvT1_,comdat
	.protected	_ZN7rocprim17ROCPRIM_400000_NS6detail17trampoline_kernelINS0_14default_configENS1_25partition_config_selectorILNS1_17partition_subalgoE5ElNS0_10empty_typeEbEEZZNS1_14partition_implILS5_5ELb0ES3_mN6hipcub16HIPCUB_304000_NS21CountingInputIteratorIllEEPS6_NSA_22TransformInputIteratorIb7NonZeroIiEPilEENS0_5tupleIJPlS6_EEENSJ_IJSD_SD_EEES6_SK_JS6_EEE10hipError_tPvRmT3_T4_T5_T6_T7_T9_mT8_P12ihipStream_tbDpT10_ENKUlT_T0_E_clISt17integral_constantIbLb1EES15_IbLb0EEEEDaS11_S12_EUlS11_E_NS1_11comp_targetILNS1_3genE2ELNS1_11target_archE906ELNS1_3gpuE6ELNS1_3repE0EEENS1_30default_config_static_selectorELNS0_4arch9wavefront6targetE1EEEvT1_ ; -- Begin function _ZN7rocprim17ROCPRIM_400000_NS6detail17trampoline_kernelINS0_14default_configENS1_25partition_config_selectorILNS1_17partition_subalgoE5ElNS0_10empty_typeEbEEZZNS1_14partition_implILS5_5ELb0ES3_mN6hipcub16HIPCUB_304000_NS21CountingInputIteratorIllEEPS6_NSA_22TransformInputIteratorIb7NonZeroIiEPilEENS0_5tupleIJPlS6_EEENSJ_IJSD_SD_EEES6_SK_JS6_EEE10hipError_tPvRmT3_T4_T5_T6_T7_T9_mT8_P12ihipStream_tbDpT10_ENKUlT_T0_E_clISt17integral_constantIbLb1EES15_IbLb0EEEEDaS11_S12_EUlS11_E_NS1_11comp_targetILNS1_3genE2ELNS1_11target_archE906ELNS1_3gpuE6ELNS1_3repE0EEENS1_30default_config_static_selectorELNS0_4arch9wavefront6targetE1EEEvT1_
	.globl	_ZN7rocprim17ROCPRIM_400000_NS6detail17trampoline_kernelINS0_14default_configENS1_25partition_config_selectorILNS1_17partition_subalgoE5ElNS0_10empty_typeEbEEZZNS1_14partition_implILS5_5ELb0ES3_mN6hipcub16HIPCUB_304000_NS21CountingInputIteratorIllEEPS6_NSA_22TransformInputIteratorIb7NonZeroIiEPilEENS0_5tupleIJPlS6_EEENSJ_IJSD_SD_EEES6_SK_JS6_EEE10hipError_tPvRmT3_T4_T5_T6_T7_T9_mT8_P12ihipStream_tbDpT10_ENKUlT_T0_E_clISt17integral_constantIbLb1EES15_IbLb0EEEEDaS11_S12_EUlS11_E_NS1_11comp_targetILNS1_3genE2ELNS1_11target_archE906ELNS1_3gpuE6ELNS1_3repE0EEENS1_30default_config_static_selectorELNS0_4arch9wavefront6targetE1EEEvT1_
	.p2align	8
	.type	_ZN7rocprim17ROCPRIM_400000_NS6detail17trampoline_kernelINS0_14default_configENS1_25partition_config_selectorILNS1_17partition_subalgoE5ElNS0_10empty_typeEbEEZZNS1_14partition_implILS5_5ELb0ES3_mN6hipcub16HIPCUB_304000_NS21CountingInputIteratorIllEEPS6_NSA_22TransformInputIteratorIb7NonZeroIiEPilEENS0_5tupleIJPlS6_EEENSJ_IJSD_SD_EEES6_SK_JS6_EEE10hipError_tPvRmT3_T4_T5_T6_T7_T9_mT8_P12ihipStream_tbDpT10_ENKUlT_T0_E_clISt17integral_constantIbLb1EES15_IbLb0EEEEDaS11_S12_EUlS11_E_NS1_11comp_targetILNS1_3genE2ELNS1_11target_archE906ELNS1_3gpuE6ELNS1_3repE0EEENS1_30default_config_static_selectorELNS0_4arch9wavefront6targetE1EEEvT1_,@function
_ZN7rocprim17ROCPRIM_400000_NS6detail17trampoline_kernelINS0_14default_configENS1_25partition_config_selectorILNS1_17partition_subalgoE5ElNS0_10empty_typeEbEEZZNS1_14partition_implILS5_5ELb0ES3_mN6hipcub16HIPCUB_304000_NS21CountingInputIteratorIllEEPS6_NSA_22TransformInputIteratorIb7NonZeroIiEPilEENS0_5tupleIJPlS6_EEENSJ_IJSD_SD_EEES6_SK_JS6_EEE10hipError_tPvRmT3_T4_T5_T6_T7_T9_mT8_P12ihipStream_tbDpT10_ENKUlT_T0_E_clISt17integral_constantIbLb1EES15_IbLb0EEEEDaS11_S12_EUlS11_E_NS1_11comp_targetILNS1_3genE2ELNS1_11target_archE906ELNS1_3gpuE6ELNS1_3repE0EEENS1_30default_config_static_selectorELNS0_4arch9wavefront6targetE1EEEvT1_: ; @_ZN7rocprim17ROCPRIM_400000_NS6detail17trampoline_kernelINS0_14default_configENS1_25partition_config_selectorILNS1_17partition_subalgoE5ElNS0_10empty_typeEbEEZZNS1_14partition_implILS5_5ELb0ES3_mN6hipcub16HIPCUB_304000_NS21CountingInputIteratorIllEEPS6_NSA_22TransformInputIteratorIb7NonZeroIiEPilEENS0_5tupleIJPlS6_EEENSJ_IJSD_SD_EEES6_SK_JS6_EEE10hipError_tPvRmT3_T4_T5_T6_T7_T9_mT8_P12ihipStream_tbDpT10_ENKUlT_T0_E_clISt17integral_constantIbLb1EES15_IbLb0EEEEDaS11_S12_EUlS11_E_NS1_11comp_targetILNS1_3genE2ELNS1_11target_archE906ELNS1_3gpuE6ELNS1_3repE0EEENS1_30default_config_static_selectorELNS0_4arch9wavefront6targetE1EEEvT1_
; %bb.0:
	.section	.rodata,"a",@progbits
	.p2align	6, 0x0
	.amdhsa_kernel _ZN7rocprim17ROCPRIM_400000_NS6detail17trampoline_kernelINS0_14default_configENS1_25partition_config_selectorILNS1_17partition_subalgoE5ElNS0_10empty_typeEbEEZZNS1_14partition_implILS5_5ELb0ES3_mN6hipcub16HIPCUB_304000_NS21CountingInputIteratorIllEEPS6_NSA_22TransformInputIteratorIb7NonZeroIiEPilEENS0_5tupleIJPlS6_EEENSJ_IJSD_SD_EEES6_SK_JS6_EEE10hipError_tPvRmT3_T4_T5_T6_T7_T9_mT8_P12ihipStream_tbDpT10_ENKUlT_T0_E_clISt17integral_constantIbLb1EES15_IbLb0EEEEDaS11_S12_EUlS11_E_NS1_11comp_targetILNS1_3genE2ELNS1_11target_archE906ELNS1_3gpuE6ELNS1_3repE0EEENS1_30default_config_static_selectorELNS0_4arch9wavefront6targetE1EEEvT1_
		.amdhsa_group_segment_fixed_size 0
		.amdhsa_private_segment_fixed_size 0
		.amdhsa_kernarg_size 120
		.amdhsa_user_sgpr_count 2
		.amdhsa_user_sgpr_dispatch_ptr 0
		.amdhsa_user_sgpr_queue_ptr 0
		.amdhsa_user_sgpr_kernarg_segment_ptr 1
		.amdhsa_user_sgpr_dispatch_id 0
		.amdhsa_user_sgpr_kernarg_preload_length 0
		.amdhsa_user_sgpr_kernarg_preload_offset 0
		.amdhsa_user_sgpr_private_segment_size 0
		.amdhsa_uses_dynamic_stack 0
		.amdhsa_enable_private_segment 0
		.amdhsa_system_sgpr_workgroup_id_x 1
		.amdhsa_system_sgpr_workgroup_id_y 0
		.amdhsa_system_sgpr_workgroup_id_z 0
		.amdhsa_system_sgpr_workgroup_info 0
		.amdhsa_system_vgpr_workitem_id 0
		.amdhsa_next_free_vgpr 1
		.amdhsa_next_free_sgpr 0
		.amdhsa_accum_offset 4
		.amdhsa_reserve_vcc 0
		.amdhsa_float_round_mode_32 0
		.amdhsa_float_round_mode_16_64 0
		.amdhsa_float_denorm_mode_32 3
		.amdhsa_float_denorm_mode_16_64 3
		.amdhsa_dx10_clamp 1
		.amdhsa_ieee_mode 1
		.amdhsa_fp16_overflow 0
		.amdhsa_tg_split 0
		.amdhsa_exception_fp_ieee_invalid_op 0
		.amdhsa_exception_fp_denorm_src 0
		.amdhsa_exception_fp_ieee_div_zero 0
		.amdhsa_exception_fp_ieee_overflow 0
		.amdhsa_exception_fp_ieee_underflow 0
		.amdhsa_exception_fp_ieee_inexact 0
		.amdhsa_exception_int_div_zero 0
	.end_amdhsa_kernel
	.section	.text._ZN7rocprim17ROCPRIM_400000_NS6detail17trampoline_kernelINS0_14default_configENS1_25partition_config_selectorILNS1_17partition_subalgoE5ElNS0_10empty_typeEbEEZZNS1_14partition_implILS5_5ELb0ES3_mN6hipcub16HIPCUB_304000_NS21CountingInputIteratorIllEEPS6_NSA_22TransformInputIteratorIb7NonZeroIiEPilEENS0_5tupleIJPlS6_EEENSJ_IJSD_SD_EEES6_SK_JS6_EEE10hipError_tPvRmT3_T4_T5_T6_T7_T9_mT8_P12ihipStream_tbDpT10_ENKUlT_T0_E_clISt17integral_constantIbLb1EES15_IbLb0EEEEDaS11_S12_EUlS11_E_NS1_11comp_targetILNS1_3genE2ELNS1_11target_archE906ELNS1_3gpuE6ELNS1_3repE0EEENS1_30default_config_static_selectorELNS0_4arch9wavefront6targetE1EEEvT1_,"axG",@progbits,_ZN7rocprim17ROCPRIM_400000_NS6detail17trampoline_kernelINS0_14default_configENS1_25partition_config_selectorILNS1_17partition_subalgoE5ElNS0_10empty_typeEbEEZZNS1_14partition_implILS5_5ELb0ES3_mN6hipcub16HIPCUB_304000_NS21CountingInputIteratorIllEEPS6_NSA_22TransformInputIteratorIb7NonZeroIiEPilEENS0_5tupleIJPlS6_EEENSJ_IJSD_SD_EEES6_SK_JS6_EEE10hipError_tPvRmT3_T4_T5_T6_T7_T9_mT8_P12ihipStream_tbDpT10_ENKUlT_T0_E_clISt17integral_constantIbLb1EES15_IbLb0EEEEDaS11_S12_EUlS11_E_NS1_11comp_targetILNS1_3genE2ELNS1_11target_archE906ELNS1_3gpuE6ELNS1_3repE0EEENS1_30default_config_static_selectorELNS0_4arch9wavefront6targetE1EEEvT1_,comdat
.Lfunc_end205:
	.size	_ZN7rocprim17ROCPRIM_400000_NS6detail17trampoline_kernelINS0_14default_configENS1_25partition_config_selectorILNS1_17partition_subalgoE5ElNS0_10empty_typeEbEEZZNS1_14partition_implILS5_5ELb0ES3_mN6hipcub16HIPCUB_304000_NS21CountingInputIteratorIllEEPS6_NSA_22TransformInputIteratorIb7NonZeroIiEPilEENS0_5tupleIJPlS6_EEENSJ_IJSD_SD_EEES6_SK_JS6_EEE10hipError_tPvRmT3_T4_T5_T6_T7_T9_mT8_P12ihipStream_tbDpT10_ENKUlT_T0_E_clISt17integral_constantIbLb1EES15_IbLb0EEEEDaS11_S12_EUlS11_E_NS1_11comp_targetILNS1_3genE2ELNS1_11target_archE906ELNS1_3gpuE6ELNS1_3repE0EEENS1_30default_config_static_selectorELNS0_4arch9wavefront6targetE1EEEvT1_, .Lfunc_end205-_ZN7rocprim17ROCPRIM_400000_NS6detail17trampoline_kernelINS0_14default_configENS1_25partition_config_selectorILNS1_17partition_subalgoE5ElNS0_10empty_typeEbEEZZNS1_14partition_implILS5_5ELb0ES3_mN6hipcub16HIPCUB_304000_NS21CountingInputIteratorIllEEPS6_NSA_22TransformInputIteratorIb7NonZeroIiEPilEENS0_5tupleIJPlS6_EEENSJ_IJSD_SD_EEES6_SK_JS6_EEE10hipError_tPvRmT3_T4_T5_T6_T7_T9_mT8_P12ihipStream_tbDpT10_ENKUlT_T0_E_clISt17integral_constantIbLb1EES15_IbLb0EEEEDaS11_S12_EUlS11_E_NS1_11comp_targetILNS1_3genE2ELNS1_11target_archE906ELNS1_3gpuE6ELNS1_3repE0EEENS1_30default_config_static_selectorELNS0_4arch9wavefront6targetE1EEEvT1_
                                        ; -- End function
	.set _ZN7rocprim17ROCPRIM_400000_NS6detail17trampoline_kernelINS0_14default_configENS1_25partition_config_selectorILNS1_17partition_subalgoE5ElNS0_10empty_typeEbEEZZNS1_14partition_implILS5_5ELb0ES3_mN6hipcub16HIPCUB_304000_NS21CountingInputIteratorIllEEPS6_NSA_22TransformInputIteratorIb7NonZeroIiEPilEENS0_5tupleIJPlS6_EEENSJ_IJSD_SD_EEES6_SK_JS6_EEE10hipError_tPvRmT3_T4_T5_T6_T7_T9_mT8_P12ihipStream_tbDpT10_ENKUlT_T0_E_clISt17integral_constantIbLb1EES15_IbLb0EEEEDaS11_S12_EUlS11_E_NS1_11comp_targetILNS1_3genE2ELNS1_11target_archE906ELNS1_3gpuE6ELNS1_3repE0EEENS1_30default_config_static_selectorELNS0_4arch9wavefront6targetE1EEEvT1_.num_vgpr, 0
	.set _ZN7rocprim17ROCPRIM_400000_NS6detail17trampoline_kernelINS0_14default_configENS1_25partition_config_selectorILNS1_17partition_subalgoE5ElNS0_10empty_typeEbEEZZNS1_14partition_implILS5_5ELb0ES3_mN6hipcub16HIPCUB_304000_NS21CountingInputIteratorIllEEPS6_NSA_22TransformInputIteratorIb7NonZeroIiEPilEENS0_5tupleIJPlS6_EEENSJ_IJSD_SD_EEES6_SK_JS6_EEE10hipError_tPvRmT3_T4_T5_T6_T7_T9_mT8_P12ihipStream_tbDpT10_ENKUlT_T0_E_clISt17integral_constantIbLb1EES15_IbLb0EEEEDaS11_S12_EUlS11_E_NS1_11comp_targetILNS1_3genE2ELNS1_11target_archE906ELNS1_3gpuE6ELNS1_3repE0EEENS1_30default_config_static_selectorELNS0_4arch9wavefront6targetE1EEEvT1_.num_agpr, 0
	.set _ZN7rocprim17ROCPRIM_400000_NS6detail17trampoline_kernelINS0_14default_configENS1_25partition_config_selectorILNS1_17partition_subalgoE5ElNS0_10empty_typeEbEEZZNS1_14partition_implILS5_5ELb0ES3_mN6hipcub16HIPCUB_304000_NS21CountingInputIteratorIllEEPS6_NSA_22TransformInputIteratorIb7NonZeroIiEPilEENS0_5tupleIJPlS6_EEENSJ_IJSD_SD_EEES6_SK_JS6_EEE10hipError_tPvRmT3_T4_T5_T6_T7_T9_mT8_P12ihipStream_tbDpT10_ENKUlT_T0_E_clISt17integral_constantIbLb1EES15_IbLb0EEEEDaS11_S12_EUlS11_E_NS1_11comp_targetILNS1_3genE2ELNS1_11target_archE906ELNS1_3gpuE6ELNS1_3repE0EEENS1_30default_config_static_selectorELNS0_4arch9wavefront6targetE1EEEvT1_.numbered_sgpr, 0
	.set _ZN7rocprim17ROCPRIM_400000_NS6detail17trampoline_kernelINS0_14default_configENS1_25partition_config_selectorILNS1_17partition_subalgoE5ElNS0_10empty_typeEbEEZZNS1_14partition_implILS5_5ELb0ES3_mN6hipcub16HIPCUB_304000_NS21CountingInputIteratorIllEEPS6_NSA_22TransformInputIteratorIb7NonZeroIiEPilEENS0_5tupleIJPlS6_EEENSJ_IJSD_SD_EEES6_SK_JS6_EEE10hipError_tPvRmT3_T4_T5_T6_T7_T9_mT8_P12ihipStream_tbDpT10_ENKUlT_T0_E_clISt17integral_constantIbLb1EES15_IbLb0EEEEDaS11_S12_EUlS11_E_NS1_11comp_targetILNS1_3genE2ELNS1_11target_archE906ELNS1_3gpuE6ELNS1_3repE0EEENS1_30default_config_static_selectorELNS0_4arch9wavefront6targetE1EEEvT1_.num_named_barrier, 0
	.set _ZN7rocprim17ROCPRIM_400000_NS6detail17trampoline_kernelINS0_14default_configENS1_25partition_config_selectorILNS1_17partition_subalgoE5ElNS0_10empty_typeEbEEZZNS1_14partition_implILS5_5ELb0ES3_mN6hipcub16HIPCUB_304000_NS21CountingInputIteratorIllEEPS6_NSA_22TransformInputIteratorIb7NonZeroIiEPilEENS0_5tupleIJPlS6_EEENSJ_IJSD_SD_EEES6_SK_JS6_EEE10hipError_tPvRmT3_T4_T5_T6_T7_T9_mT8_P12ihipStream_tbDpT10_ENKUlT_T0_E_clISt17integral_constantIbLb1EES15_IbLb0EEEEDaS11_S12_EUlS11_E_NS1_11comp_targetILNS1_3genE2ELNS1_11target_archE906ELNS1_3gpuE6ELNS1_3repE0EEENS1_30default_config_static_selectorELNS0_4arch9wavefront6targetE1EEEvT1_.private_seg_size, 0
	.set _ZN7rocprim17ROCPRIM_400000_NS6detail17trampoline_kernelINS0_14default_configENS1_25partition_config_selectorILNS1_17partition_subalgoE5ElNS0_10empty_typeEbEEZZNS1_14partition_implILS5_5ELb0ES3_mN6hipcub16HIPCUB_304000_NS21CountingInputIteratorIllEEPS6_NSA_22TransformInputIteratorIb7NonZeroIiEPilEENS0_5tupleIJPlS6_EEENSJ_IJSD_SD_EEES6_SK_JS6_EEE10hipError_tPvRmT3_T4_T5_T6_T7_T9_mT8_P12ihipStream_tbDpT10_ENKUlT_T0_E_clISt17integral_constantIbLb1EES15_IbLb0EEEEDaS11_S12_EUlS11_E_NS1_11comp_targetILNS1_3genE2ELNS1_11target_archE906ELNS1_3gpuE6ELNS1_3repE0EEENS1_30default_config_static_selectorELNS0_4arch9wavefront6targetE1EEEvT1_.uses_vcc, 0
	.set _ZN7rocprim17ROCPRIM_400000_NS6detail17trampoline_kernelINS0_14default_configENS1_25partition_config_selectorILNS1_17partition_subalgoE5ElNS0_10empty_typeEbEEZZNS1_14partition_implILS5_5ELb0ES3_mN6hipcub16HIPCUB_304000_NS21CountingInputIteratorIllEEPS6_NSA_22TransformInputIteratorIb7NonZeroIiEPilEENS0_5tupleIJPlS6_EEENSJ_IJSD_SD_EEES6_SK_JS6_EEE10hipError_tPvRmT3_T4_T5_T6_T7_T9_mT8_P12ihipStream_tbDpT10_ENKUlT_T0_E_clISt17integral_constantIbLb1EES15_IbLb0EEEEDaS11_S12_EUlS11_E_NS1_11comp_targetILNS1_3genE2ELNS1_11target_archE906ELNS1_3gpuE6ELNS1_3repE0EEENS1_30default_config_static_selectorELNS0_4arch9wavefront6targetE1EEEvT1_.uses_flat_scratch, 0
	.set _ZN7rocprim17ROCPRIM_400000_NS6detail17trampoline_kernelINS0_14default_configENS1_25partition_config_selectorILNS1_17partition_subalgoE5ElNS0_10empty_typeEbEEZZNS1_14partition_implILS5_5ELb0ES3_mN6hipcub16HIPCUB_304000_NS21CountingInputIteratorIllEEPS6_NSA_22TransformInputIteratorIb7NonZeroIiEPilEENS0_5tupleIJPlS6_EEENSJ_IJSD_SD_EEES6_SK_JS6_EEE10hipError_tPvRmT3_T4_T5_T6_T7_T9_mT8_P12ihipStream_tbDpT10_ENKUlT_T0_E_clISt17integral_constantIbLb1EES15_IbLb0EEEEDaS11_S12_EUlS11_E_NS1_11comp_targetILNS1_3genE2ELNS1_11target_archE906ELNS1_3gpuE6ELNS1_3repE0EEENS1_30default_config_static_selectorELNS0_4arch9wavefront6targetE1EEEvT1_.has_dyn_sized_stack, 0
	.set _ZN7rocprim17ROCPRIM_400000_NS6detail17trampoline_kernelINS0_14default_configENS1_25partition_config_selectorILNS1_17partition_subalgoE5ElNS0_10empty_typeEbEEZZNS1_14partition_implILS5_5ELb0ES3_mN6hipcub16HIPCUB_304000_NS21CountingInputIteratorIllEEPS6_NSA_22TransformInputIteratorIb7NonZeroIiEPilEENS0_5tupleIJPlS6_EEENSJ_IJSD_SD_EEES6_SK_JS6_EEE10hipError_tPvRmT3_T4_T5_T6_T7_T9_mT8_P12ihipStream_tbDpT10_ENKUlT_T0_E_clISt17integral_constantIbLb1EES15_IbLb0EEEEDaS11_S12_EUlS11_E_NS1_11comp_targetILNS1_3genE2ELNS1_11target_archE906ELNS1_3gpuE6ELNS1_3repE0EEENS1_30default_config_static_selectorELNS0_4arch9wavefront6targetE1EEEvT1_.has_recursion, 0
	.set _ZN7rocprim17ROCPRIM_400000_NS6detail17trampoline_kernelINS0_14default_configENS1_25partition_config_selectorILNS1_17partition_subalgoE5ElNS0_10empty_typeEbEEZZNS1_14partition_implILS5_5ELb0ES3_mN6hipcub16HIPCUB_304000_NS21CountingInputIteratorIllEEPS6_NSA_22TransformInputIteratorIb7NonZeroIiEPilEENS0_5tupleIJPlS6_EEENSJ_IJSD_SD_EEES6_SK_JS6_EEE10hipError_tPvRmT3_T4_T5_T6_T7_T9_mT8_P12ihipStream_tbDpT10_ENKUlT_T0_E_clISt17integral_constantIbLb1EES15_IbLb0EEEEDaS11_S12_EUlS11_E_NS1_11comp_targetILNS1_3genE2ELNS1_11target_archE906ELNS1_3gpuE6ELNS1_3repE0EEENS1_30default_config_static_selectorELNS0_4arch9wavefront6targetE1EEEvT1_.has_indirect_call, 0
	.section	.AMDGPU.csdata,"",@progbits
; Kernel info:
; codeLenInByte = 0
; TotalNumSgprs: 6
; NumVgprs: 0
; NumAgprs: 0
; TotalNumVgprs: 0
; ScratchSize: 0
; MemoryBound: 0
; FloatMode: 240
; IeeeMode: 1
; LDSByteSize: 0 bytes/workgroup (compile time only)
; SGPRBlocks: 0
; VGPRBlocks: 0
; NumSGPRsForWavesPerEU: 6
; NumVGPRsForWavesPerEU: 1
; AccumOffset: 4
; Occupancy: 8
; WaveLimiterHint : 0
; COMPUTE_PGM_RSRC2:SCRATCH_EN: 0
; COMPUTE_PGM_RSRC2:USER_SGPR: 2
; COMPUTE_PGM_RSRC2:TRAP_HANDLER: 0
; COMPUTE_PGM_RSRC2:TGID_X_EN: 1
; COMPUTE_PGM_RSRC2:TGID_Y_EN: 0
; COMPUTE_PGM_RSRC2:TGID_Z_EN: 0
; COMPUTE_PGM_RSRC2:TIDIG_COMP_CNT: 0
; COMPUTE_PGM_RSRC3_GFX90A:ACCUM_OFFSET: 0
; COMPUTE_PGM_RSRC3_GFX90A:TG_SPLIT: 0
	.section	.text._ZN7rocprim17ROCPRIM_400000_NS6detail17trampoline_kernelINS0_14default_configENS1_25partition_config_selectorILNS1_17partition_subalgoE5ElNS0_10empty_typeEbEEZZNS1_14partition_implILS5_5ELb0ES3_mN6hipcub16HIPCUB_304000_NS21CountingInputIteratorIllEEPS6_NSA_22TransformInputIteratorIb7NonZeroIiEPilEENS0_5tupleIJPlS6_EEENSJ_IJSD_SD_EEES6_SK_JS6_EEE10hipError_tPvRmT3_T4_T5_T6_T7_T9_mT8_P12ihipStream_tbDpT10_ENKUlT_T0_E_clISt17integral_constantIbLb1EES15_IbLb0EEEEDaS11_S12_EUlS11_E_NS1_11comp_targetILNS1_3genE10ELNS1_11target_archE1200ELNS1_3gpuE4ELNS1_3repE0EEENS1_30default_config_static_selectorELNS0_4arch9wavefront6targetE1EEEvT1_,"axG",@progbits,_ZN7rocprim17ROCPRIM_400000_NS6detail17trampoline_kernelINS0_14default_configENS1_25partition_config_selectorILNS1_17partition_subalgoE5ElNS0_10empty_typeEbEEZZNS1_14partition_implILS5_5ELb0ES3_mN6hipcub16HIPCUB_304000_NS21CountingInputIteratorIllEEPS6_NSA_22TransformInputIteratorIb7NonZeroIiEPilEENS0_5tupleIJPlS6_EEENSJ_IJSD_SD_EEES6_SK_JS6_EEE10hipError_tPvRmT3_T4_T5_T6_T7_T9_mT8_P12ihipStream_tbDpT10_ENKUlT_T0_E_clISt17integral_constantIbLb1EES15_IbLb0EEEEDaS11_S12_EUlS11_E_NS1_11comp_targetILNS1_3genE10ELNS1_11target_archE1200ELNS1_3gpuE4ELNS1_3repE0EEENS1_30default_config_static_selectorELNS0_4arch9wavefront6targetE1EEEvT1_,comdat
	.protected	_ZN7rocprim17ROCPRIM_400000_NS6detail17trampoline_kernelINS0_14default_configENS1_25partition_config_selectorILNS1_17partition_subalgoE5ElNS0_10empty_typeEbEEZZNS1_14partition_implILS5_5ELb0ES3_mN6hipcub16HIPCUB_304000_NS21CountingInputIteratorIllEEPS6_NSA_22TransformInputIteratorIb7NonZeroIiEPilEENS0_5tupleIJPlS6_EEENSJ_IJSD_SD_EEES6_SK_JS6_EEE10hipError_tPvRmT3_T4_T5_T6_T7_T9_mT8_P12ihipStream_tbDpT10_ENKUlT_T0_E_clISt17integral_constantIbLb1EES15_IbLb0EEEEDaS11_S12_EUlS11_E_NS1_11comp_targetILNS1_3genE10ELNS1_11target_archE1200ELNS1_3gpuE4ELNS1_3repE0EEENS1_30default_config_static_selectorELNS0_4arch9wavefront6targetE1EEEvT1_ ; -- Begin function _ZN7rocprim17ROCPRIM_400000_NS6detail17trampoline_kernelINS0_14default_configENS1_25partition_config_selectorILNS1_17partition_subalgoE5ElNS0_10empty_typeEbEEZZNS1_14partition_implILS5_5ELb0ES3_mN6hipcub16HIPCUB_304000_NS21CountingInputIteratorIllEEPS6_NSA_22TransformInputIteratorIb7NonZeroIiEPilEENS0_5tupleIJPlS6_EEENSJ_IJSD_SD_EEES6_SK_JS6_EEE10hipError_tPvRmT3_T4_T5_T6_T7_T9_mT8_P12ihipStream_tbDpT10_ENKUlT_T0_E_clISt17integral_constantIbLb1EES15_IbLb0EEEEDaS11_S12_EUlS11_E_NS1_11comp_targetILNS1_3genE10ELNS1_11target_archE1200ELNS1_3gpuE4ELNS1_3repE0EEENS1_30default_config_static_selectorELNS0_4arch9wavefront6targetE1EEEvT1_
	.globl	_ZN7rocprim17ROCPRIM_400000_NS6detail17trampoline_kernelINS0_14default_configENS1_25partition_config_selectorILNS1_17partition_subalgoE5ElNS0_10empty_typeEbEEZZNS1_14partition_implILS5_5ELb0ES3_mN6hipcub16HIPCUB_304000_NS21CountingInputIteratorIllEEPS6_NSA_22TransformInputIteratorIb7NonZeroIiEPilEENS0_5tupleIJPlS6_EEENSJ_IJSD_SD_EEES6_SK_JS6_EEE10hipError_tPvRmT3_T4_T5_T6_T7_T9_mT8_P12ihipStream_tbDpT10_ENKUlT_T0_E_clISt17integral_constantIbLb1EES15_IbLb0EEEEDaS11_S12_EUlS11_E_NS1_11comp_targetILNS1_3genE10ELNS1_11target_archE1200ELNS1_3gpuE4ELNS1_3repE0EEENS1_30default_config_static_selectorELNS0_4arch9wavefront6targetE1EEEvT1_
	.p2align	8
	.type	_ZN7rocprim17ROCPRIM_400000_NS6detail17trampoline_kernelINS0_14default_configENS1_25partition_config_selectorILNS1_17partition_subalgoE5ElNS0_10empty_typeEbEEZZNS1_14partition_implILS5_5ELb0ES3_mN6hipcub16HIPCUB_304000_NS21CountingInputIteratorIllEEPS6_NSA_22TransformInputIteratorIb7NonZeroIiEPilEENS0_5tupleIJPlS6_EEENSJ_IJSD_SD_EEES6_SK_JS6_EEE10hipError_tPvRmT3_T4_T5_T6_T7_T9_mT8_P12ihipStream_tbDpT10_ENKUlT_T0_E_clISt17integral_constantIbLb1EES15_IbLb0EEEEDaS11_S12_EUlS11_E_NS1_11comp_targetILNS1_3genE10ELNS1_11target_archE1200ELNS1_3gpuE4ELNS1_3repE0EEENS1_30default_config_static_selectorELNS0_4arch9wavefront6targetE1EEEvT1_,@function
_ZN7rocprim17ROCPRIM_400000_NS6detail17trampoline_kernelINS0_14default_configENS1_25partition_config_selectorILNS1_17partition_subalgoE5ElNS0_10empty_typeEbEEZZNS1_14partition_implILS5_5ELb0ES3_mN6hipcub16HIPCUB_304000_NS21CountingInputIteratorIllEEPS6_NSA_22TransformInputIteratorIb7NonZeroIiEPilEENS0_5tupleIJPlS6_EEENSJ_IJSD_SD_EEES6_SK_JS6_EEE10hipError_tPvRmT3_T4_T5_T6_T7_T9_mT8_P12ihipStream_tbDpT10_ENKUlT_T0_E_clISt17integral_constantIbLb1EES15_IbLb0EEEEDaS11_S12_EUlS11_E_NS1_11comp_targetILNS1_3genE10ELNS1_11target_archE1200ELNS1_3gpuE4ELNS1_3repE0EEENS1_30default_config_static_selectorELNS0_4arch9wavefront6targetE1EEEvT1_: ; @_ZN7rocprim17ROCPRIM_400000_NS6detail17trampoline_kernelINS0_14default_configENS1_25partition_config_selectorILNS1_17partition_subalgoE5ElNS0_10empty_typeEbEEZZNS1_14partition_implILS5_5ELb0ES3_mN6hipcub16HIPCUB_304000_NS21CountingInputIteratorIllEEPS6_NSA_22TransformInputIteratorIb7NonZeroIiEPilEENS0_5tupleIJPlS6_EEENSJ_IJSD_SD_EEES6_SK_JS6_EEE10hipError_tPvRmT3_T4_T5_T6_T7_T9_mT8_P12ihipStream_tbDpT10_ENKUlT_T0_E_clISt17integral_constantIbLb1EES15_IbLb0EEEEDaS11_S12_EUlS11_E_NS1_11comp_targetILNS1_3genE10ELNS1_11target_archE1200ELNS1_3gpuE4ELNS1_3repE0EEENS1_30default_config_static_selectorELNS0_4arch9wavefront6targetE1EEEvT1_
; %bb.0:
	.section	.rodata,"a",@progbits
	.p2align	6, 0x0
	.amdhsa_kernel _ZN7rocprim17ROCPRIM_400000_NS6detail17trampoline_kernelINS0_14default_configENS1_25partition_config_selectorILNS1_17partition_subalgoE5ElNS0_10empty_typeEbEEZZNS1_14partition_implILS5_5ELb0ES3_mN6hipcub16HIPCUB_304000_NS21CountingInputIteratorIllEEPS6_NSA_22TransformInputIteratorIb7NonZeroIiEPilEENS0_5tupleIJPlS6_EEENSJ_IJSD_SD_EEES6_SK_JS6_EEE10hipError_tPvRmT3_T4_T5_T6_T7_T9_mT8_P12ihipStream_tbDpT10_ENKUlT_T0_E_clISt17integral_constantIbLb1EES15_IbLb0EEEEDaS11_S12_EUlS11_E_NS1_11comp_targetILNS1_3genE10ELNS1_11target_archE1200ELNS1_3gpuE4ELNS1_3repE0EEENS1_30default_config_static_selectorELNS0_4arch9wavefront6targetE1EEEvT1_
		.amdhsa_group_segment_fixed_size 0
		.amdhsa_private_segment_fixed_size 0
		.amdhsa_kernarg_size 120
		.amdhsa_user_sgpr_count 2
		.amdhsa_user_sgpr_dispatch_ptr 0
		.amdhsa_user_sgpr_queue_ptr 0
		.amdhsa_user_sgpr_kernarg_segment_ptr 1
		.amdhsa_user_sgpr_dispatch_id 0
		.amdhsa_user_sgpr_kernarg_preload_length 0
		.amdhsa_user_sgpr_kernarg_preload_offset 0
		.amdhsa_user_sgpr_private_segment_size 0
		.amdhsa_uses_dynamic_stack 0
		.amdhsa_enable_private_segment 0
		.amdhsa_system_sgpr_workgroup_id_x 1
		.amdhsa_system_sgpr_workgroup_id_y 0
		.amdhsa_system_sgpr_workgroup_id_z 0
		.amdhsa_system_sgpr_workgroup_info 0
		.amdhsa_system_vgpr_workitem_id 0
		.amdhsa_next_free_vgpr 1
		.amdhsa_next_free_sgpr 0
		.amdhsa_accum_offset 4
		.amdhsa_reserve_vcc 0
		.amdhsa_float_round_mode_32 0
		.amdhsa_float_round_mode_16_64 0
		.amdhsa_float_denorm_mode_32 3
		.amdhsa_float_denorm_mode_16_64 3
		.amdhsa_dx10_clamp 1
		.amdhsa_ieee_mode 1
		.amdhsa_fp16_overflow 0
		.amdhsa_tg_split 0
		.amdhsa_exception_fp_ieee_invalid_op 0
		.amdhsa_exception_fp_denorm_src 0
		.amdhsa_exception_fp_ieee_div_zero 0
		.amdhsa_exception_fp_ieee_overflow 0
		.amdhsa_exception_fp_ieee_underflow 0
		.amdhsa_exception_fp_ieee_inexact 0
		.amdhsa_exception_int_div_zero 0
	.end_amdhsa_kernel
	.section	.text._ZN7rocprim17ROCPRIM_400000_NS6detail17trampoline_kernelINS0_14default_configENS1_25partition_config_selectorILNS1_17partition_subalgoE5ElNS0_10empty_typeEbEEZZNS1_14partition_implILS5_5ELb0ES3_mN6hipcub16HIPCUB_304000_NS21CountingInputIteratorIllEEPS6_NSA_22TransformInputIteratorIb7NonZeroIiEPilEENS0_5tupleIJPlS6_EEENSJ_IJSD_SD_EEES6_SK_JS6_EEE10hipError_tPvRmT3_T4_T5_T6_T7_T9_mT8_P12ihipStream_tbDpT10_ENKUlT_T0_E_clISt17integral_constantIbLb1EES15_IbLb0EEEEDaS11_S12_EUlS11_E_NS1_11comp_targetILNS1_3genE10ELNS1_11target_archE1200ELNS1_3gpuE4ELNS1_3repE0EEENS1_30default_config_static_selectorELNS0_4arch9wavefront6targetE1EEEvT1_,"axG",@progbits,_ZN7rocprim17ROCPRIM_400000_NS6detail17trampoline_kernelINS0_14default_configENS1_25partition_config_selectorILNS1_17partition_subalgoE5ElNS0_10empty_typeEbEEZZNS1_14partition_implILS5_5ELb0ES3_mN6hipcub16HIPCUB_304000_NS21CountingInputIteratorIllEEPS6_NSA_22TransformInputIteratorIb7NonZeroIiEPilEENS0_5tupleIJPlS6_EEENSJ_IJSD_SD_EEES6_SK_JS6_EEE10hipError_tPvRmT3_T4_T5_T6_T7_T9_mT8_P12ihipStream_tbDpT10_ENKUlT_T0_E_clISt17integral_constantIbLb1EES15_IbLb0EEEEDaS11_S12_EUlS11_E_NS1_11comp_targetILNS1_3genE10ELNS1_11target_archE1200ELNS1_3gpuE4ELNS1_3repE0EEENS1_30default_config_static_selectorELNS0_4arch9wavefront6targetE1EEEvT1_,comdat
.Lfunc_end206:
	.size	_ZN7rocprim17ROCPRIM_400000_NS6detail17trampoline_kernelINS0_14default_configENS1_25partition_config_selectorILNS1_17partition_subalgoE5ElNS0_10empty_typeEbEEZZNS1_14partition_implILS5_5ELb0ES3_mN6hipcub16HIPCUB_304000_NS21CountingInputIteratorIllEEPS6_NSA_22TransformInputIteratorIb7NonZeroIiEPilEENS0_5tupleIJPlS6_EEENSJ_IJSD_SD_EEES6_SK_JS6_EEE10hipError_tPvRmT3_T4_T5_T6_T7_T9_mT8_P12ihipStream_tbDpT10_ENKUlT_T0_E_clISt17integral_constantIbLb1EES15_IbLb0EEEEDaS11_S12_EUlS11_E_NS1_11comp_targetILNS1_3genE10ELNS1_11target_archE1200ELNS1_3gpuE4ELNS1_3repE0EEENS1_30default_config_static_selectorELNS0_4arch9wavefront6targetE1EEEvT1_, .Lfunc_end206-_ZN7rocprim17ROCPRIM_400000_NS6detail17trampoline_kernelINS0_14default_configENS1_25partition_config_selectorILNS1_17partition_subalgoE5ElNS0_10empty_typeEbEEZZNS1_14partition_implILS5_5ELb0ES3_mN6hipcub16HIPCUB_304000_NS21CountingInputIteratorIllEEPS6_NSA_22TransformInputIteratorIb7NonZeroIiEPilEENS0_5tupleIJPlS6_EEENSJ_IJSD_SD_EEES6_SK_JS6_EEE10hipError_tPvRmT3_T4_T5_T6_T7_T9_mT8_P12ihipStream_tbDpT10_ENKUlT_T0_E_clISt17integral_constantIbLb1EES15_IbLb0EEEEDaS11_S12_EUlS11_E_NS1_11comp_targetILNS1_3genE10ELNS1_11target_archE1200ELNS1_3gpuE4ELNS1_3repE0EEENS1_30default_config_static_selectorELNS0_4arch9wavefront6targetE1EEEvT1_
                                        ; -- End function
	.set _ZN7rocprim17ROCPRIM_400000_NS6detail17trampoline_kernelINS0_14default_configENS1_25partition_config_selectorILNS1_17partition_subalgoE5ElNS0_10empty_typeEbEEZZNS1_14partition_implILS5_5ELb0ES3_mN6hipcub16HIPCUB_304000_NS21CountingInputIteratorIllEEPS6_NSA_22TransformInputIteratorIb7NonZeroIiEPilEENS0_5tupleIJPlS6_EEENSJ_IJSD_SD_EEES6_SK_JS6_EEE10hipError_tPvRmT3_T4_T5_T6_T7_T9_mT8_P12ihipStream_tbDpT10_ENKUlT_T0_E_clISt17integral_constantIbLb1EES15_IbLb0EEEEDaS11_S12_EUlS11_E_NS1_11comp_targetILNS1_3genE10ELNS1_11target_archE1200ELNS1_3gpuE4ELNS1_3repE0EEENS1_30default_config_static_selectorELNS0_4arch9wavefront6targetE1EEEvT1_.num_vgpr, 0
	.set _ZN7rocprim17ROCPRIM_400000_NS6detail17trampoline_kernelINS0_14default_configENS1_25partition_config_selectorILNS1_17partition_subalgoE5ElNS0_10empty_typeEbEEZZNS1_14partition_implILS5_5ELb0ES3_mN6hipcub16HIPCUB_304000_NS21CountingInputIteratorIllEEPS6_NSA_22TransformInputIteratorIb7NonZeroIiEPilEENS0_5tupleIJPlS6_EEENSJ_IJSD_SD_EEES6_SK_JS6_EEE10hipError_tPvRmT3_T4_T5_T6_T7_T9_mT8_P12ihipStream_tbDpT10_ENKUlT_T0_E_clISt17integral_constantIbLb1EES15_IbLb0EEEEDaS11_S12_EUlS11_E_NS1_11comp_targetILNS1_3genE10ELNS1_11target_archE1200ELNS1_3gpuE4ELNS1_3repE0EEENS1_30default_config_static_selectorELNS0_4arch9wavefront6targetE1EEEvT1_.num_agpr, 0
	.set _ZN7rocprim17ROCPRIM_400000_NS6detail17trampoline_kernelINS0_14default_configENS1_25partition_config_selectorILNS1_17partition_subalgoE5ElNS0_10empty_typeEbEEZZNS1_14partition_implILS5_5ELb0ES3_mN6hipcub16HIPCUB_304000_NS21CountingInputIteratorIllEEPS6_NSA_22TransformInputIteratorIb7NonZeroIiEPilEENS0_5tupleIJPlS6_EEENSJ_IJSD_SD_EEES6_SK_JS6_EEE10hipError_tPvRmT3_T4_T5_T6_T7_T9_mT8_P12ihipStream_tbDpT10_ENKUlT_T0_E_clISt17integral_constantIbLb1EES15_IbLb0EEEEDaS11_S12_EUlS11_E_NS1_11comp_targetILNS1_3genE10ELNS1_11target_archE1200ELNS1_3gpuE4ELNS1_3repE0EEENS1_30default_config_static_selectorELNS0_4arch9wavefront6targetE1EEEvT1_.numbered_sgpr, 0
	.set _ZN7rocprim17ROCPRIM_400000_NS6detail17trampoline_kernelINS0_14default_configENS1_25partition_config_selectorILNS1_17partition_subalgoE5ElNS0_10empty_typeEbEEZZNS1_14partition_implILS5_5ELb0ES3_mN6hipcub16HIPCUB_304000_NS21CountingInputIteratorIllEEPS6_NSA_22TransformInputIteratorIb7NonZeroIiEPilEENS0_5tupleIJPlS6_EEENSJ_IJSD_SD_EEES6_SK_JS6_EEE10hipError_tPvRmT3_T4_T5_T6_T7_T9_mT8_P12ihipStream_tbDpT10_ENKUlT_T0_E_clISt17integral_constantIbLb1EES15_IbLb0EEEEDaS11_S12_EUlS11_E_NS1_11comp_targetILNS1_3genE10ELNS1_11target_archE1200ELNS1_3gpuE4ELNS1_3repE0EEENS1_30default_config_static_selectorELNS0_4arch9wavefront6targetE1EEEvT1_.num_named_barrier, 0
	.set _ZN7rocprim17ROCPRIM_400000_NS6detail17trampoline_kernelINS0_14default_configENS1_25partition_config_selectorILNS1_17partition_subalgoE5ElNS0_10empty_typeEbEEZZNS1_14partition_implILS5_5ELb0ES3_mN6hipcub16HIPCUB_304000_NS21CountingInputIteratorIllEEPS6_NSA_22TransformInputIteratorIb7NonZeroIiEPilEENS0_5tupleIJPlS6_EEENSJ_IJSD_SD_EEES6_SK_JS6_EEE10hipError_tPvRmT3_T4_T5_T6_T7_T9_mT8_P12ihipStream_tbDpT10_ENKUlT_T0_E_clISt17integral_constantIbLb1EES15_IbLb0EEEEDaS11_S12_EUlS11_E_NS1_11comp_targetILNS1_3genE10ELNS1_11target_archE1200ELNS1_3gpuE4ELNS1_3repE0EEENS1_30default_config_static_selectorELNS0_4arch9wavefront6targetE1EEEvT1_.private_seg_size, 0
	.set _ZN7rocprim17ROCPRIM_400000_NS6detail17trampoline_kernelINS0_14default_configENS1_25partition_config_selectorILNS1_17partition_subalgoE5ElNS0_10empty_typeEbEEZZNS1_14partition_implILS5_5ELb0ES3_mN6hipcub16HIPCUB_304000_NS21CountingInputIteratorIllEEPS6_NSA_22TransformInputIteratorIb7NonZeroIiEPilEENS0_5tupleIJPlS6_EEENSJ_IJSD_SD_EEES6_SK_JS6_EEE10hipError_tPvRmT3_T4_T5_T6_T7_T9_mT8_P12ihipStream_tbDpT10_ENKUlT_T0_E_clISt17integral_constantIbLb1EES15_IbLb0EEEEDaS11_S12_EUlS11_E_NS1_11comp_targetILNS1_3genE10ELNS1_11target_archE1200ELNS1_3gpuE4ELNS1_3repE0EEENS1_30default_config_static_selectorELNS0_4arch9wavefront6targetE1EEEvT1_.uses_vcc, 0
	.set _ZN7rocprim17ROCPRIM_400000_NS6detail17trampoline_kernelINS0_14default_configENS1_25partition_config_selectorILNS1_17partition_subalgoE5ElNS0_10empty_typeEbEEZZNS1_14partition_implILS5_5ELb0ES3_mN6hipcub16HIPCUB_304000_NS21CountingInputIteratorIllEEPS6_NSA_22TransformInputIteratorIb7NonZeroIiEPilEENS0_5tupleIJPlS6_EEENSJ_IJSD_SD_EEES6_SK_JS6_EEE10hipError_tPvRmT3_T4_T5_T6_T7_T9_mT8_P12ihipStream_tbDpT10_ENKUlT_T0_E_clISt17integral_constantIbLb1EES15_IbLb0EEEEDaS11_S12_EUlS11_E_NS1_11comp_targetILNS1_3genE10ELNS1_11target_archE1200ELNS1_3gpuE4ELNS1_3repE0EEENS1_30default_config_static_selectorELNS0_4arch9wavefront6targetE1EEEvT1_.uses_flat_scratch, 0
	.set _ZN7rocprim17ROCPRIM_400000_NS6detail17trampoline_kernelINS0_14default_configENS1_25partition_config_selectorILNS1_17partition_subalgoE5ElNS0_10empty_typeEbEEZZNS1_14partition_implILS5_5ELb0ES3_mN6hipcub16HIPCUB_304000_NS21CountingInputIteratorIllEEPS6_NSA_22TransformInputIteratorIb7NonZeroIiEPilEENS0_5tupleIJPlS6_EEENSJ_IJSD_SD_EEES6_SK_JS6_EEE10hipError_tPvRmT3_T4_T5_T6_T7_T9_mT8_P12ihipStream_tbDpT10_ENKUlT_T0_E_clISt17integral_constantIbLb1EES15_IbLb0EEEEDaS11_S12_EUlS11_E_NS1_11comp_targetILNS1_3genE10ELNS1_11target_archE1200ELNS1_3gpuE4ELNS1_3repE0EEENS1_30default_config_static_selectorELNS0_4arch9wavefront6targetE1EEEvT1_.has_dyn_sized_stack, 0
	.set _ZN7rocprim17ROCPRIM_400000_NS6detail17trampoline_kernelINS0_14default_configENS1_25partition_config_selectorILNS1_17partition_subalgoE5ElNS0_10empty_typeEbEEZZNS1_14partition_implILS5_5ELb0ES3_mN6hipcub16HIPCUB_304000_NS21CountingInputIteratorIllEEPS6_NSA_22TransformInputIteratorIb7NonZeroIiEPilEENS0_5tupleIJPlS6_EEENSJ_IJSD_SD_EEES6_SK_JS6_EEE10hipError_tPvRmT3_T4_T5_T6_T7_T9_mT8_P12ihipStream_tbDpT10_ENKUlT_T0_E_clISt17integral_constantIbLb1EES15_IbLb0EEEEDaS11_S12_EUlS11_E_NS1_11comp_targetILNS1_3genE10ELNS1_11target_archE1200ELNS1_3gpuE4ELNS1_3repE0EEENS1_30default_config_static_selectorELNS0_4arch9wavefront6targetE1EEEvT1_.has_recursion, 0
	.set _ZN7rocprim17ROCPRIM_400000_NS6detail17trampoline_kernelINS0_14default_configENS1_25partition_config_selectorILNS1_17partition_subalgoE5ElNS0_10empty_typeEbEEZZNS1_14partition_implILS5_5ELb0ES3_mN6hipcub16HIPCUB_304000_NS21CountingInputIteratorIllEEPS6_NSA_22TransformInputIteratorIb7NonZeroIiEPilEENS0_5tupleIJPlS6_EEENSJ_IJSD_SD_EEES6_SK_JS6_EEE10hipError_tPvRmT3_T4_T5_T6_T7_T9_mT8_P12ihipStream_tbDpT10_ENKUlT_T0_E_clISt17integral_constantIbLb1EES15_IbLb0EEEEDaS11_S12_EUlS11_E_NS1_11comp_targetILNS1_3genE10ELNS1_11target_archE1200ELNS1_3gpuE4ELNS1_3repE0EEENS1_30default_config_static_selectorELNS0_4arch9wavefront6targetE1EEEvT1_.has_indirect_call, 0
	.section	.AMDGPU.csdata,"",@progbits
; Kernel info:
; codeLenInByte = 0
; TotalNumSgprs: 6
; NumVgprs: 0
; NumAgprs: 0
; TotalNumVgprs: 0
; ScratchSize: 0
; MemoryBound: 0
; FloatMode: 240
; IeeeMode: 1
; LDSByteSize: 0 bytes/workgroup (compile time only)
; SGPRBlocks: 0
; VGPRBlocks: 0
; NumSGPRsForWavesPerEU: 6
; NumVGPRsForWavesPerEU: 1
; AccumOffset: 4
; Occupancy: 8
; WaveLimiterHint : 0
; COMPUTE_PGM_RSRC2:SCRATCH_EN: 0
; COMPUTE_PGM_RSRC2:USER_SGPR: 2
; COMPUTE_PGM_RSRC2:TRAP_HANDLER: 0
; COMPUTE_PGM_RSRC2:TGID_X_EN: 1
; COMPUTE_PGM_RSRC2:TGID_Y_EN: 0
; COMPUTE_PGM_RSRC2:TGID_Z_EN: 0
; COMPUTE_PGM_RSRC2:TIDIG_COMP_CNT: 0
; COMPUTE_PGM_RSRC3_GFX90A:ACCUM_OFFSET: 0
; COMPUTE_PGM_RSRC3_GFX90A:TG_SPLIT: 0
	.section	.text._ZN7rocprim17ROCPRIM_400000_NS6detail17trampoline_kernelINS0_14default_configENS1_25partition_config_selectorILNS1_17partition_subalgoE5ElNS0_10empty_typeEbEEZZNS1_14partition_implILS5_5ELb0ES3_mN6hipcub16HIPCUB_304000_NS21CountingInputIteratorIllEEPS6_NSA_22TransformInputIteratorIb7NonZeroIiEPilEENS0_5tupleIJPlS6_EEENSJ_IJSD_SD_EEES6_SK_JS6_EEE10hipError_tPvRmT3_T4_T5_T6_T7_T9_mT8_P12ihipStream_tbDpT10_ENKUlT_T0_E_clISt17integral_constantIbLb1EES15_IbLb0EEEEDaS11_S12_EUlS11_E_NS1_11comp_targetILNS1_3genE9ELNS1_11target_archE1100ELNS1_3gpuE3ELNS1_3repE0EEENS1_30default_config_static_selectorELNS0_4arch9wavefront6targetE1EEEvT1_,"axG",@progbits,_ZN7rocprim17ROCPRIM_400000_NS6detail17trampoline_kernelINS0_14default_configENS1_25partition_config_selectorILNS1_17partition_subalgoE5ElNS0_10empty_typeEbEEZZNS1_14partition_implILS5_5ELb0ES3_mN6hipcub16HIPCUB_304000_NS21CountingInputIteratorIllEEPS6_NSA_22TransformInputIteratorIb7NonZeroIiEPilEENS0_5tupleIJPlS6_EEENSJ_IJSD_SD_EEES6_SK_JS6_EEE10hipError_tPvRmT3_T4_T5_T6_T7_T9_mT8_P12ihipStream_tbDpT10_ENKUlT_T0_E_clISt17integral_constantIbLb1EES15_IbLb0EEEEDaS11_S12_EUlS11_E_NS1_11comp_targetILNS1_3genE9ELNS1_11target_archE1100ELNS1_3gpuE3ELNS1_3repE0EEENS1_30default_config_static_selectorELNS0_4arch9wavefront6targetE1EEEvT1_,comdat
	.protected	_ZN7rocprim17ROCPRIM_400000_NS6detail17trampoline_kernelINS0_14default_configENS1_25partition_config_selectorILNS1_17partition_subalgoE5ElNS0_10empty_typeEbEEZZNS1_14partition_implILS5_5ELb0ES3_mN6hipcub16HIPCUB_304000_NS21CountingInputIteratorIllEEPS6_NSA_22TransformInputIteratorIb7NonZeroIiEPilEENS0_5tupleIJPlS6_EEENSJ_IJSD_SD_EEES6_SK_JS6_EEE10hipError_tPvRmT3_T4_T5_T6_T7_T9_mT8_P12ihipStream_tbDpT10_ENKUlT_T0_E_clISt17integral_constantIbLb1EES15_IbLb0EEEEDaS11_S12_EUlS11_E_NS1_11comp_targetILNS1_3genE9ELNS1_11target_archE1100ELNS1_3gpuE3ELNS1_3repE0EEENS1_30default_config_static_selectorELNS0_4arch9wavefront6targetE1EEEvT1_ ; -- Begin function _ZN7rocprim17ROCPRIM_400000_NS6detail17trampoline_kernelINS0_14default_configENS1_25partition_config_selectorILNS1_17partition_subalgoE5ElNS0_10empty_typeEbEEZZNS1_14partition_implILS5_5ELb0ES3_mN6hipcub16HIPCUB_304000_NS21CountingInputIteratorIllEEPS6_NSA_22TransformInputIteratorIb7NonZeroIiEPilEENS0_5tupleIJPlS6_EEENSJ_IJSD_SD_EEES6_SK_JS6_EEE10hipError_tPvRmT3_T4_T5_T6_T7_T9_mT8_P12ihipStream_tbDpT10_ENKUlT_T0_E_clISt17integral_constantIbLb1EES15_IbLb0EEEEDaS11_S12_EUlS11_E_NS1_11comp_targetILNS1_3genE9ELNS1_11target_archE1100ELNS1_3gpuE3ELNS1_3repE0EEENS1_30default_config_static_selectorELNS0_4arch9wavefront6targetE1EEEvT1_
	.globl	_ZN7rocprim17ROCPRIM_400000_NS6detail17trampoline_kernelINS0_14default_configENS1_25partition_config_selectorILNS1_17partition_subalgoE5ElNS0_10empty_typeEbEEZZNS1_14partition_implILS5_5ELb0ES3_mN6hipcub16HIPCUB_304000_NS21CountingInputIteratorIllEEPS6_NSA_22TransformInputIteratorIb7NonZeroIiEPilEENS0_5tupleIJPlS6_EEENSJ_IJSD_SD_EEES6_SK_JS6_EEE10hipError_tPvRmT3_T4_T5_T6_T7_T9_mT8_P12ihipStream_tbDpT10_ENKUlT_T0_E_clISt17integral_constantIbLb1EES15_IbLb0EEEEDaS11_S12_EUlS11_E_NS1_11comp_targetILNS1_3genE9ELNS1_11target_archE1100ELNS1_3gpuE3ELNS1_3repE0EEENS1_30default_config_static_selectorELNS0_4arch9wavefront6targetE1EEEvT1_
	.p2align	8
	.type	_ZN7rocprim17ROCPRIM_400000_NS6detail17trampoline_kernelINS0_14default_configENS1_25partition_config_selectorILNS1_17partition_subalgoE5ElNS0_10empty_typeEbEEZZNS1_14partition_implILS5_5ELb0ES3_mN6hipcub16HIPCUB_304000_NS21CountingInputIteratorIllEEPS6_NSA_22TransformInputIteratorIb7NonZeroIiEPilEENS0_5tupleIJPlS6_EEENSJ_IJSD_SD_EEES6_SK_JS6_EEE10hipError_tPvRmT3_T4_T5_T6_T7_T9_mT8_P12ihipStream_tbDpT10_ENKUlT_T0_E_clISt17integral_constantIbLb1EES15_IbLb0EEEEDaS11_S12_EUlS11_E_NS1_11comp_targetILNS1_3genE9ELNS1_11target_archE1100ELNS1_3gpuE3ELNS1_3repE0EEENS1_30default_config_static_selectorELNS0_4arch9wavefront6targetE1EEEvT1_,@function
_ZN7rocprim17ROCPRIM_400000_NS6detail17trampoline_kernelINS0_14default_configENS1_25partition_config_selectorILNS1_17partition_subalgoE5ElNS0_10empty_typeEbEEZZNS1_14partition_implILS5_5ELb0ES3_mN6hipcub16HIPCUB_304000_NS21CountingInputIteratorIllEEPS6_NSA_22TransformInputIteratorIb7NonZeroIiEPilEENS0_5tupleIJPlS6_EEENSJ_IJSD_SD_EEES6_SK_JS6_EEE10hipError_tPvRmT3_T4_T5_T6_T7_T9_mT8_P12ihipStream_tbDpT10_ENKUlT_T0_E_clISt17integral_constantIbLb1EES15_IbLb0EEEEDaS11_S12_EUlS11_E_NS1_11comp_targetILNS1_3genE9ELNS1_11target_archE1100ELNS1_3gpuE3ELNS1_3repE0EEENS1_30default_config_static_selectorELNS0_4arch9wavefront6targetE1EEEvT1_: ; @_ZN7rocprim17ROCPRIM_400000_NS6detail17trampoline_kernelINS0_14default_configENS1_25partition_config_selectorILNS1_17partition_subalgoE5ElNS0_10empty_typeEbEEZZNS1_14partition_implILS5_5ELb0ES3_mN6hipcub16HIPCUB_304000_NS21CountingInputIteratorIllEEPS6_NSA_22TransformInputIteratorIb7NonZeroIiEPilEENS0_5tupleIJPlS6_EEENSJ_IJSD_SD_EEES6_SK_JS6_EEE10hipError_tPvRmT3_T4_T5_T6_T7_T9_mT8_P12ihipStream_tbDpT10_ENKUlT_T0_E_clISt17integral_constantIbLb1EES15_IbLb0EEEEDaS11_S12_EUlS11_E_NS1_11comp_targetILNS1_3genE9ELNS1_11target_archE1100ELNS1_3gpuE3ELNS1_3repE0EEENS1_30default_config_static_selectorELNS0_4arch9wavefront6targetE1EEEvT1_
; %bb.0:
	.section	.rodata,"a",@progbits
	.p2align	6, 0x0
	.amdhsa_kernel _ZN7rocprim17ROCPRIM_400000_NS6detail17trampoline_kernelINS0_14default_configENS1_25partition_config_selectorILNS1_17partition_subalgoE5ElNS0_10empty_typeEbEEZZNS1_14partition_implILS5_5ELb0ES3_mN6hipcub16HIPCUB_304000_NS21CountingInputIteratorIllEEPS6_NSA_22TransformInputIteratorIb7NonZeroIiEPilEENS0_5tupleIJPlS6_EEENSJ_IJSD_SD_EEES6_SK_JS6_EEE10hipError_tPvRmT3_T4_T5_T6_T7_T9_mT8_P12ihipStream_tbDpT10_ENKUlT_T0_E_clISt17integral_constantIbLb1EES15_IbLb0EEEEDaS11_S12_EUlS11_E_NS1_11comp_targetILNS1_3genE9ELNS1_11target_archE1100ELNS1_3gpuE3ELNS1_3repE0EEENS1_30default_config_static_selectorELNS0_4arch9wavefront6targetE1EEEvT1_
		.amdhsa_group_segment_fixed_size 0
		.amdhsa_private_segment_fixed_size 0
		.amdhsa_kernarg_size 120
		.amdhsa_user_sgpr_count 2
		.amdhsa_user_sgpr_dispatch_ptr 0
		.amdhsa_user_sgpr_queue_ptr 0
		.amdhsa_user_sgpr_kernarg_segment_ptr 1
		.amdhsa_user_sgpr_dispatch_id 0
		.amdhsa_user_sgpr_kernarg_preload_length 0
		.amdhsa_user_sgpr_kernarg_preload_offset 0
		.amdhsa_user_sgpr_private_segment_size 0
		.amdhsa_uses_dynamic_stack 0
		.amdhsa_enable_private_segment 0
		.amdhsa_system_sgpr_workgroup_id_x 1
		.amdhsa_system_sgpr_workgroup_id_y 0
		.amdhsa_system_sgpr_workgroup_id_z 0
		.amdhsa_system_sgpr_workgroup_info 0
		.amdhsa_system_vgpr_workitem_id 0
		.amdhsa_next_free_vgpr 1
		.amdhsa_next_free_sgpr 0
		.amdhsa_accum_offset 4
		.amdhsa_reserve_vcc 0
		.amdhsa_float_round_mode_32 0
		.amdhsa_float_round_mode_16_64 0
		.amdhsa_float_denorm_mode_32 3
		.amdhsa_float_denorm_mode_16_64 3
		.amdhsa_dx10_clamp 1
		.amdhsa_ieee_mode 1
		.amdhsa_fp16_overflow 0
		.amdhsa_tg_split 0
		.amdhsa_exception_fp_ieee_invalid_op 0
		.amdhsa_exception_fp_denorm_src 0
		.amdhsa_exception_fp_ieee_div_zero 0
		.amdhsa_exception_fp_ieee_overflow 0
		.amdhsa_exception_fp_ieee_underflow 0
		.amdhsa_exception_fp_ieee_inexact 0
		.amdhsa_exception_int_div_zero 0
	.end_amdhsa_kernel
	.section	.text._ZN7rocprim17ROCPRIM_400000_NS6detail17trampoline_kernelINS0_14default_configENS1_25partition_config_selectorILNS1_17partition_subalgoE5ElNS0_10empty_typeEbEEZZNS1_14partition_implILS5_5ELb0ES3_mN6hipcub16HIPCUB_304000_NS21CountingInputIteratorIllEEPS6_NSA_22TransformInputIteratorIb7NonZeroIiEPilEENS0_5tupleIJPlS6_EEENSJ_IJSD_SD_EEES6_SK_JS6_EEE10hipError_tPvRmT3_T4_T5_T6_T7_T9_mT8_P12ihipStream_tbDpT10_ENKUlT_T0_E_clISt17integral_constantIbLb1EES15_IbLb0EEEEDaS11_S12_EUlS11_E_NS1_11comp_targetILNS1_3genE9ELNS1_11target_archE1100ELNS1_3gpuE3ELNS1_3repE0EEENS1_30default_config_static_selectorELNS0_4arch9wavefront6targetE1EEEvT1_,"axG",@progbits,_ZN7rocprim17ROCPRIM_400000_NS6detail17trampoline_kernelINS0_14default_configENS1_25partition_config_selectorILNS1_17partition_subalgoE5ElNS0_10empty_typeEbEEZZNS1_14partition_implILS5_5ELb0ES3_mN6hipcub16HIPCUB_304000_NS21CountingInputIteratorIllEEPS6_NSA_22TransformInputIteratorIb7NonZeroIiEPilEENS0_5tupleIJPlS6_EEENSJ_IJSD_SD_EEES6_SK_JS6_EEE10hipError_tPvRmT3_T4_T5_T6_T7_T9_mT8_P12ihipStream_tbDpT10_ENKUlT_T0_E_clISt17integral_constantIbLb1EES15_IbLb0EEEEDaS11_S12_EUlS11_E_NS1_11comp_targetILNS1_3genE9ELNS1_11target_archE1100ELNS1_3gpuE3ELNS1_3repE0EEENS1_30default_config_static_selectorELNS0_4arch9wavefront6targetE1EEEvT1_,comdat
.Lfunc_end207:
	.size	_ZN7rocprim17ROCPRIM_400000_NS6detail17trampoline_kernelINS0_14default_configENS1_25partition_config_selectorILNS1_17partition_subalgoE5ElNS0_10empty_typeEbEEZZNS1_14partition_implILS5_5ELb0ES3_mN6hipcub16HIPCUB_304000_NS21CountingInputIteratorIllEEPS6_NSA_22TransformInputIteratorIb7NonZeroIiEPilEENS0_5tupleIJPlS6_EEENSJ_IJSD_SD_EEES6_SK_JS6_EEE10hipError_tPvRmT3_T4_T5_T6_T7_T9_mT8_P12ihipStream_tbDpT10_ENKUlT_T0_E_clISt17integral_constantIbLb1EES15_IbLb0EEEEDaS11_S12_EUlS11_E_NS1_11comp_targetILNS1_3genE9ELNS1_11target_archE1100ELNS1_3gpuE3ELNS1_3repE0EEENS1_30default_config_static_selectorELNS0_4arch9wavefront6targetE1EEEvT1_, .Lfunc_end207-_ZN7rocprim17ROCPRIM_400000_NS6detail17trampoline_kernelINS0_14default_configENS1_25partition_config_selectorILNS1_17partition_subalgoE5ElNS0_10empty_typeEbEEZZNS1_14partition_implILS5_5ELb0ES3_mN6hipcub16HIPCUB_304000_NS21CountingInputIteratorIllEEPS6_NSA_22TransformInputIteratorIb7NonZeroIiEPilEENS0_5tupleIJPlS6_EEENSJ_IJSD_SD_EEES6_SK_JS6_EEE10hipError_tPvRmT3_T4_T5_T6_T7_T9_mT8_P12ihipStream_tbDpT10_ENKUlT_T0_E_clISt17integral_constantIbLb1EES15_IbLb0EEEEDaS11_S12_EUlS11_E_NS1_11comp_targetILNS1_3genE9ELNS1_11target_archE1100ELNS1_3gpuE3ELNS1_3repE0EEENS1_30default_config_static_selectorELNS0_4arch9wavefront6targetE1EEEvT1_
                                        ; -- End function
	.set _ZN7rocprim17ROCPRIM_400000_NS6detail17trampoline_kernelINS0_14default_configENS1_25partition_config_selectorILNS1_17partition_subalgoE5ElNS0_10empty_typeEbEEZZNS1_14partition_implILS5_5ELb0ES3_mN6hipcub16HIPCUB_304000_NS21CountingInputIteratorIllEEPS6_NSA_22TransformInputIteratorIb7NonZeroIiEPilEENS0_5tupleIJPlS6_EEENSJ_IJSD_SD_EEES6_SK_JS6_EEE10hipError_tPvRmT3_T4_T5_T6_T7_T9_mT8_P12ihipStream_tbDpT10_ENKUlT_T0_E_clISt17integral_constantIbLb1EES15_IbLb0EEEEDaS11_S12_EUlS11_E_NS1_11comp_targetILNS1_3genE9ELNS1_11target_archE1100ELNS1_3gpuE3ELNS1_3repE0EEENS1_30default_config_static_selectorELNS0_4arch9wavefront6targetE1EEEvT1_.num_vgpr, 0
	.set _ZN7rocprim17ROCPRIM_400000_NS6detail17trampoline_kernelINS0_14default_configENS1_25partition_config_selectorILNS1_17partition_subalgoE5ElNS0_10empty_typeEbEEZZNS1_14partition_implILS5_5ELb0ES3_mN6hipcub16HIPCUB_304000_NS21CountingInputIteratorIllEEPS6_NSA_22TransformInputIteratorIb7NonZeroIiEPilEENS0_5tupleIJPlS6_EEENSJ_IJSD_SD_EEES6_SK_JS6_EEE10hipError_tPvRmT3_T4_T5_T6_T7_T9_mT8_P12ihipStream_tbDpT10_ENKUlT_T0_E_clISt17integral_constantIbLb1EES15_IbLb0EEEEDaS11_S12_EUlS11_E_NS1_11comp_targetILNS1_3genE9ELNS1_11target_archE1100ELNS1_3gpuE3ELNS1_3repE0EEENS1_30default_config_static_selectorELNS0_4arch9wavefront6targetE1EEEvT1_.num_agpr, 0
	.set _ZN7rocprim17ROCPRIM_400000_NS6detail17trampoline_kernelINS0_14default_configENS1_25partition_config_selectorILNS1_17partition_subalgoE5ElNS0_10empty_typeEbEEZZNS1_14partition_implILS5_5ELb0ES3_mN6hipcub16HIPCUB_304000_NS21CountingInputIteratorIllEEPS6_NSA_22TransformInputIteratorIb7NonZeroIiEPilEENS0_5tupleIJPlS6_EEENSJ_IJSD_SD_EEES6_SK_JS6_EEE10hipError_tPvRmT3_T4_T5_T6_T7_T9_mT8_P12ihipStream_tbDpT10_ENKUlT_T0_E_clISt17integral_constantIbLb1EES15_IbLb0EEEEDaS11_S12_EUlS11_E_NS1_11comp_targetILNS1_3genE9ELNS1_11target_archE1100ELNS1_3gpuE3ELNS1_3repE0EEENS1_30default_config_static_selectorELNS0_4arch9wavefront6targetE1EEEvT1_.numbered_sgpr, 0
	.set _ZN7rocprim17ROCPRIM_400000_NS6detail17trampoline_kernelINS0_14default_configENS1_25partition_config_selectorILNS1_17partition_subalgoE5ElNS0_10empty_typeEbEEZZNS1_14partition_implILS5_5ELb0ES3_mN6hipcub16HIPCUB_304000_NS21CountingInputIteratorIllEEPS6_NSA_22TransformInputIteratorIb7NonZeroIiEPilEENS0_5tupleIJPlS6_EEENSJ_IJSD_SD_EEES6_SK_JS6_EEE10hipError_tPvRmT3_T4_T5_T6_T7_T9_mT8_P12ihipStream_tbDpT10_ENKUlT_T0_E_clISt17integral_constantIbLb1EES15_IbLb0EEEEDaS11_S12_EUlS11_E_NS1_11comp_targetILNS1_3genE9ELNS1_11target_archE1100ELNS1_3gpuE3ELNS1_3repE0EEENS1_30default_config_static_selectorELNS0_4arch9wavefront6targetE1EEEvT1_.num_named_barrier, 0
	.set _ZN7rocprim17ROCPRIM_400000_NS6detail17trampoline_kernelINS0_14default_configENS1_25partition_config_selectorILNS1_17partition_subalgoE5ElNS0_10empty_typeEbEEZZNS1_14partition_implILS5_5ELb0ES3_mN6hipcub16HIPCUB_304000_NS21CountingInputIteratorIllEEPS6_NSA_22TransformInputIteratorIb7NonZeroIiEPilEENS0_5tupleIJPlS6_EEENSJ_IJSD_SD_EEES6_SK_JS6_EEE10hipError_tPvRmT3_T4_T5_T6_T7_T9_mT8_P12ihipStream_tbDpT10_ENKUlT_T0_E_clISt17integral_constantIbLb1EES15_IbLb0EEEEDaS11_S12_EUlS11_E_NS1_11comp_targetILNS1_3genE9ELNS1_11target_archE1100ELNS1_3gpuE3ELNS1_3repE0EEENS1_30default_config_static_selectorELNS0_4arch9wavefront6targetE1EEEvT1_.private_seg_size, 0
	.set _ZN7rocprim17ROCPRIM_400000_NS6detail17trampoline_kernelINS0_14default_configENS1_25partition_config_selectorILNS1_17partition_subalgoE5ElNS0_10empty_typeEbEEZZNS1_14partition_implILS5_5ELb0ES3_mN6hipcub16HIPCUB_304000_NS21CountingInputIteratorIllEEPS6_NSA_22TransformInputIteratorIb7NonZeroIiEPilEENS0_5tupleIJPlS6_EEENSJ_IJSD_SD_EEES6_SK_JS6_EEE10hipError_tPvRmT3_T4_T5_T6_T7_T9_mT8_P12ihipStream_tbDpT10_ENKUlT_T0_E_clISt17integral_constantIbLb1EES15_IbLb0EEEEDaS11_S12_EUlS11_E_NS1_11comp_targetILNS1_3genE9ELNS1_11target_archE1100ELNS1_3gpuE3ELNS1_3repE0EEENS1_30default_config_static_selectorELNS0_4arch9wavefront6targetE1EEEvT1_.uses_vcc, 0
	.set _ZN7rocprim17ROCPRIM_400000_NS6detail17trampoline_kernelINS0_14default_configENS1_25partition_config_selectorILNS1_17partition_subalgoE5ElNS0_10empty_typeEbEEZZNS1_14partition_implILS5_5ELb0ES3_mN6hipcub16HIPCUB_304000_NS21CountingInputIteratorIllEEPS6_NSA_22TransformInputIteratorIb7NonZeroIiEPilEENS0_5tupleIJPlS6_EEENSJ_IJSD_SD_EEES6_SK_JS6_EEE10hipError_tPvRmT3_T4_T5_T6_T7_T9_mT8_P12ihipStream_tbDpT10_ENKUlT_T0_E_clISt17integral_constantIbLb1EES15_IbLb0EEEEDaS11_S12_EUlS11_E_NS1_11comp_targetILNS1_3genE9ELNS1_11target_archE1100ELNS1_3gpuE3ELNS1_3repE0EEENS1_30default_config_static_selectorELNS0_4arch9wavefront6targetE1EEEvT1_.uses_flat_scratch, 0
	.set _ZN7rocprim17ROCPRIM_400000_NS6detail17trampoline_kernelINS0_14default_configENS1_25partition_config_selectorILNS1_17partition_subalgoE5ElNS0_10empty_typeEbEEZZNS1_14partition_implILS5_5ELb0ES3_mN6hipcub16HIPCUB_304000_NS21CountingInputIteratorIllEEPS6_NSA_22TransformInputIteratorIb7NonZeroIiEPilEENS0_5tupleIJPlS6_EEENSJ_IJSD_SD_EEES6_SK_JS6_EEE10hipError_tPvRmT3_T4_T5_T6_T7_T9_mT8_P12ihipStream_tbDpT10_ENKUlT_T0_E_clISt17integral_constantIbLb1EES15_IbLb0EEEEDaS11_S12_EUlS11_E_NS1_11comp_targetILNS1_3genE9ELNS1_11target_archE1100ELNS1_3gpuE3ELNS1_3repE0EEENS1_30default_config_static_selectorELNS0_4arch9wavefront6targetE1EEEvT1_.has_dyn_sized_stack, 0
	.set _ZN7rocprim17ROCPRIM_400000_NS6detail17trampoline_kernelINS0_14default_configENS1_25partition_config_selectorILNS1_17partition_subalgoE5ElNS0_10empty_typeEbEEZZNS1_14partition_implILS5_5ELb0ES3_mN6hipcub16HIPCUB_304000_NS21CountingInputIteratorIllEEPS6_NSA_22TransformInputIteratorIb7NonZeroIiEPilEENS0_5tupleIJPlS6_EEENSJ_IJSD_SD_EEES6_SK_JS6_EEE10hipError_tPvRmT3_T4_T5_T6_T7_T9_mT8_P12ihipStream_tbDpT10_ENKUlT_T0_E_clISt17integral_constantIbLb1EES15_IbLb0EEEEDaS11_S12_EUlS11_E_NS1_11comp_targetILNS1_3genE9ELNS1_11target_archE1100ELNS1_3gpuE3ELNS1_3repE0EEENS1_30default_config_static_selectorELNS0_4arch9wavefront6targetE1EEEvT1_.has_recursion, 0
	.set _ZN7rocprim17ROCPRIM_400000_NS6detail17trampoline_kernelINS0_14default_configENS1_25partition_config_selectorILNS1_17partition_subalgoE5ElNS0_10empty_typeEbEEZZNS1_14partition_implILS5_5ELb0ES3_mN6hipcub16HIPCUB_304000_NS21CountingInputIteratorIllEEPS6_NSA_22TransformInputIteratorIb7NonZeroIiEPilEENS0_5tupleIJPlS6_EEENSJ_IJSD_SD_EEES6_SK_JS6_EEE10hipError_tPvRmT3_T4_T5_T6_T7_T9_mT8_P12ihipStream_tbDpT10_ENKUlT_T0_E_clISt17integral_constantIbLb1EES15_IbLb0EEEEDaS11_S12_EUlS11_E_NS1_11comp_targetILNS1_3genE9ELNS1_11target_archE1100ELNS1_3gpuE3ELNS1_3repE0EEENS1_30default_config_static_selectorELNS0_4arch9wavefront6targetE1EEEvT1_.has_indirect_call, 0
	.section	.AMDGPU.csdata,"",@progbits
; Kernel info:
; codeLenInByte = 0
; TotalNumSgprs: 6
; NumVgprs: 0
; NumAgprs: 0
; TotalNumVgprs: 0
; ScratchSize: 0
; MemoryBound: 0
; FloatMode: 240
; IeeeMode: 1
; LDSByteSize: 0 bytes/workgroup (compile time only)
; SGPRBlocks: 0
; VGPRBlocks: 0
; NumSGPRsForWavesPerEU: 6
; NumVGPRsForWavesPerEU: 1
; AccumOffset: 4
; Occupancy: 8
; WaveLimiterHint : 0
; COMPUTE_PGM_RSRC2:SCRATCH_EN: 0
; COMPUTE_PGM_RSRC2:USER_SGPR: 2
; COMPUTE_PGM_RSRC2:TRAP_HANDLER: 0
; COMPUTE_PGM_RSRC2:TGID_X_EN: 1
; COMPUTE_PGM_RSRC2:TGID_Y_EN: 0
; COMPUTE_PGM_RSRC2:TGID_Z_EN: 0
; COMPUTE_PGM_RSRC2:TIDIG_COMP_CNT: 0
; COMPUTE_PGM_RSRC3_GFX90A:ACCUM_OFFSET: 0
; COMPUTE_PGM_RSRC3_GFX90A:TG_SPLIT: 0
	.section	.text._ZN7rocprim17ROCPRIM_400000_NS6detail17trampoline_kernelINS0_14default_configENS1_25partition_config_selectorILNS1_17partition_subalgoE5ElNS0_10empty_typeEbEEZZNS1_14partition_implILS5_5ELb0ES3_mN6hipcub16HIPCUB_304000_NS21CountingInputIteratorIllEEPS6_NSA_22TransformInputIteratorIb7NonZeroIiEPilEENS0_5tupleIJPlS6_EEENSJ_IJSD_SD_EEES6_SK_JS6_EEE10hipError_tPvRmT3_T4_T5_T6_T7_T9_mT8_P12ihipStream_tbDpT10_ENKUlT_T0_E_clISt17integral_constantIbLb1EES15_IbLb0EEEEDaS11_S12_EUlS11_E_NS1_11comp_targetILNS1_3genE8ELNS1_11target_archE1030ELNS1_3gpuE2ELNS1_3repE0EEENS1_30default_config_static_selectorELNS0_4arch9wavefront6targetE1EEEvT1_,"axG",@progbits,_ZN7rocprim17ROCPRIM_400000_NS6detail17trampoline_kernelINS0_14default_configENS1_25partition_config_selectorILNS1_17partition_subalgoE5ElNS0_10empty_typeEbEEZZNS1_14partition_implILS5_5ELb0ES3_mN6hipcub16HIPCUB_304000_NS21CountingInputIteratorIllEEPS6_NSA_22TransformInputIteratorIb7NonZeroIiEPilEENS0_5tupleIJPlS6_EEENSJ_IJSD_SD_EEES6_SK_JS6_EEE10hipError_tPvRmT3_T4_T5_T6_T7_T9_mT8_P12ihipStream_tbDpT10_ENKUlT_T0_E_clISt17integral_constantIbLb1EES15_IbLb0EEEEDaS11_S12_EUlS11_E_NS1_11comp_targetILNS1_3genE8ELNS1_11target_archE1030ELNS1_3gpuE2ELNS1_3repE0EEENS1_30default_config_static_selectorELNS0_4arch9wavefront6targetE1EEEvT1_,comdat
	.protected	_ZN7rocprim17ROCPRIM_400000_NS6detail17trampoline_kernelINS0_14default_configENS1_25partition_config_selectorILNS1_17partition_subalgoE5ElNS0_10empty_typeEbEEZZNS1_14partition_implILS5_5ELb0ES3_mN6hipcub16HIPCUB_304000_NS21CountingInputIteratorIllEEPS6_NSA_22TransformInputIteratorIb7NonZeroIiEPilEENS0_5tupleIJPlS6_EEENSJ_IJSD_SD_EEES6_SK_JS6_EEE10hipError_tPvRmT3_T4_T5_T6_T7_T9_mT8_P12ihipStream_tbDpT10_ENKUlT_T0_E_clISt17integral_constantIbLb1EES15_IbLb0EEEEDaS11_S12_EUlS11_E_NS1_11comp_targetILNS1_3genE8ELNS1_11target_archE1030ELNS1_3gpuE2ELNS1_3repE0EEENS1_30default_config_static_selectorELNS0_4arch9wavefront6targetE1EEEvT1_ ; -- Begin function _ZN7rocprim17ROCPRIM_400000_NS6detail17trampoline_kernelINS0_14default_configENS1_25partition_config_selectorILNS1_17partition_subalgoE5ElNS0_10empty_typeEbEEZZNS1_14partition_implILS5_5ELb0ES3_mN6hipcub16HIPCUB_304000_NS21CountingInputIteratorIllEEPS6_NSA_22TransformInputIteratorIb7NonZeroIiEPilEENS0_5tupleIJPlS6_EEENSJ_IJSD_SD_EEES6_SK_JS6_EEE10hipError_tPvRmT3_T4_T5_T6_T7_T9_mT8_P12ihipStream_tbDpT10_ENKUlT_T0_E_clISt17integral_constantIbLb1EES15_IbLb0EEEEDaS11_S12_EUlS11_E_NS1_11comp_targetILNS1_3genE8ELNS1_11target_archE1030ELNS1_3gpuE2ELNS1_3repE0EEENS1_30default_config_static_selectorELNS0_4arch9wavefront6targetE1EEEvT1_
	.globl	_ZN7rocprim17ROCPRIM_400000_NS6detail17trampoline_kernelINS0_14default_configENS1_25partition_config_selectorILNS1_17partition_subalgoE5ElNS0_10empty_typeEbEEZZNS1_14partition_implILS5_5ELb0ES3_mN6hipcub16HIPCUB_304000_NS21CountingInputIteratorIllEEPS6_NSA_22TransformInputIteratorIb7NonZeroIiEPilEENS0_5tupleIJPlS6_EEENSJ_IJSD_SD_EEES6_SK_JS6_EEE10hipError_tPvRmT3_T4_T5_T6_T7_T9_mT8_P12ihipStream_tbDpT10_ENKUlT_T0_E_clISt17integral_constantIbLb1EES15_IbLb0EEEEDaS11_S12_EUlS11_E_NS1_11comp_targetILNS1_3genE8ELNS1_11target_archE1030ELNS1_3gpuE2ELNS1_3repE0EEENS1_30default_config_static_selectorELNS0_4arch9wavefront6targetE1EEEvT1_
	.p2align	8
	.type	_ZN7rocprim17ROCPRIM_400000_NS6detail17trampoline_kernelINS0_14default_configENS1_25partition_config_selectorILNS1_17partition_subalgoE5ElNS0_10empty_typeEbEEZZNS1_14partition_implILS5_5ELb0ES3_mN6hipcub16HIPCUB_304000_NS21CountingInputIteratorIllEEPS6_NSA_22TransformInputIteratorIb7NonZeroIiEPilEENS0_5tupleIJPlS6_EEENSJ_IJSD_SD_EEES6_SK_JS6_EEE10hipError_tPvRmT3_T4_T5_T6_T7_T9_mT8_P12ihipStream_tbDpT10_ENKUlT_T0_E_clISt17integral_constantIbLb1EES15_IbLb0EEEEDaS11_S12_EUlS11_E_NS1_11comp_targetILNS1_3genE8ELNS1_11target_archE1030ELNS1_3gpuE2ELNS1_3repE0EEENS1_30default_config_static_selectorELNS0_4arch9wavefront6targetE1EEEvT1_,@function
_ZN7rocprim17ROCPRIM_400000_NS6detail17trampoline_kernelINS0_14default_configENS1_25partition_config_selectorILNS1_17partition_subalgoE5ElNS0_10empty_typeEbEEZZNS1_14partition_implILS5_5ELb0ES3_mN6hipcub16HIPCUB_304000_NS21CountingInputIteratorIllEEPS6_NSA_22TransformInputIteratorIb7NonZeroIiEPilEENS0_5tupleIJPlS6_EEENSJ_IJSD_SD_EEES6_SK_JS6_EEE10hipError_tPvRmT3_T4_T5_T6_T7_T9_mT8_P12ihipStream_tbDpT10_ENKUlT_T0_E_clISt17integral_constantIbLb1EES15_IbLb0EEEEDaS11_S12_EUlS11_E_NS1_11comp_targetILNS1_3genE8ELNS1_11target_archE1030ELNS1_3gpuE2ELNS1_3repE0EEENS1_30default_config_static_selectorELNS0_4arch9wavefront6targetE1EEEvT1_: ; @_ZN7rocprim17ROCPRIM_400000_NS6detail17trampoline_kernelINS0_14default_configENS1_25partition_config_selectorILNS1_17partition_subalgoE5ElNS0_10empty_typeEbEEZZNS1_14partition_implILS5_5ELb0ES3_mN6hipcub16HIPCUB_304000_NS21CountingInputIteratorIllEEPS6_NSA_22TransformInputIteratorIb7NonZeroIiEPilEENS0_5tupleIJPlS6_EEENSJ_IJSD_SD_EEES6_SK_JS6_EEE10hipError_tPvRmT3_T4_T5_T6_T7_T9_mT8_P12ihipStream_tbDpT10_ENKUlT_T0_E_clISt17integral_constantIbLb1EES15_IbLb0EEEEDaS11_S12_EUlS11_E_NS1_11comp_targetILNS1_3genE8ELNS1_11target_archE1030ELNS1_3gpuE2ELNS1_3repE0EEENS1_30default_config_static_selectorELNS0_4arch9wavefront6targetE1EEEvT1_
; %bb.0:
	.section	.rodata,"a",@progbits
	.p2align	6, 0x0
	.amdhsa_kernel _ZN7rocprim17ROCPRIM_400000_NS6detail17trampoline_kernelINS0_14default_configENS1_25partition_config_selectorILNS1_17partition_subalgoE5ElNS0_10empty_typeEbEEZZNS1_14partition_implILS5_5ELb0ES3_mN6hipcub16HIPCUB_304000_NS21CountingInputIteratorIllEEPS6_NSA_22TransformInputIteratorIb7NonZeroIiEPilEENS0_5tupleIJPlS6_EEENSJ_IJSD_SD_EEES6_SK_JS6_EEE10hipError_tPvRmT3_T4_T5_T6_T7_T9_mT8_P12ihipStream_tbDpT10_ENKUlT_T0_E_clISt17integral_constantIbLb1EES15_IbLb0EEEEDaS11_S12_EUlS11_E_NS1_11comp_targetILNS1_3genE8ELNS1_11target_archE1030ELNS1_3gpuE2ELNS1_3repE0EEENS1_30default_config_static_selectorELNS0_4arch9wavefront6targetE1EEEvT1_
		.amdhsa_group_segment_fixed_size 0
		.amdhsa_private_segment_fixed_size 0
		.amdhsa_kernarg_size 120
		.amdhsa_user_sgpr_count 2
		.amdhsa_user_sgpr_dispatch_ptr 0
		.amdhsa_user_sgpr_queue_ptr 0
		.amdhsa_user_sgpr_kernarg_segment_ptr 1
		.amdhsa_user_sgpr_dispatch_id 0
		.amdhsa_user_sgpr_kernarg_preload_length 0
		.amdhsa_user_sgpr_kernarg_preload_offset 0
		.amdhsa_user_sgpr_private_segment_size 0
		.amdhsa_uses_dynamic_stack 0
		.amdhsa_enable_private_segment 0
		.amdhsa_system_sgpr_workgroup_id_x 1
		.amdhsa_system_sgpr_workgroup_id_y 0
		.amdhsa_system_sgpr_workgroup_id_z 0
		.amdhsa_system_sgpr_workgroup_info 0
		.amdhsa_system_vgpr_workitem_id 0
		.amdhsa_next_free_vgpr 1
		.amdhsa_next_free_sgpr 0
		.amdhsa_accum_offset 4
		.amdhsa_reserve_vcc 0
		.amdhsa_float_round_mode_32 0
		.amdhsa_float_round_mode_16_64 0
		.amdhsa_float_denorm_mode_32 3
		.amdhsa_float_denorm_mode_16_64 3
		.amdhsa_dx10_clamp 1
		.amdhsa_ieee_mode 1
		.amdhsa_fp16_overflow 0
		.amdhsa_tg_split 0
		.amdhsa_exception_fp_ieee_invalid_op 0
		.amdhsa_exception_fp_denorm_src 0
		.amdhsa_exception_fp_ieee_div_zero 0
		.amdhsa_exception_fp_ieee_overflow 0
		.amdhsa_exception_fp_ieee_underflow 0
		.amdhsa_exception_fp_ieee_inexact 0
		.amdhsa_exception_int_div_zero 0
	.end_amdhsa_kernel
	.section	.text._ZN7rocprim17ROCPRIM_400000_NS6detail17trampoline_kernelINS0_14default_configENS1_25partition_config_selectorILNS1_17partition_subalgoE5ElNS0_10empty_typeEbEEZZNS1_14partition_implILS5_5ELb0ES3_mN6hipcub16HIPCUB_304000_NS21CountingInputIteratorIllEEPS6_NSA_22TransformInputIteratorIb7NonZeroIiEPilEENS0_5tupleIJPlS6_EEENSJ_IJSD_SD_EEES6_SK_JS6_EEE10hipError_tPvRmT3_T4_T5_T6_T7_T9_mT8_P12ihipStream_tbDpT10_ENKUlT_T0_E_clISt17integral_constantIbLb1EES15_IbLb0EEEEDaS11_S12_EUlS11_E_NS1_11comp_targetILNS1_3genE8ELNS1_11target_archE1030ELNS1_3gpuE2ELNS1_3repE0EEENS1_30default_config_static_selectorELNS0_4arch9wavefront6targetE1EEEvT1_,"axG",@progbits,_ZN7rocprim17ROCPRIM_400000_NS6detail17trampoline_kernelINS0_14default_configENS1_25partition_config_selectorILNS1_17partition_subalgoE5ElNS0_10empty_typeEbEEZZNS1_14partition_implILS5_5ELb0ES3_mN6hipcub16HIPCUB_304000_NS21CountingInputIteratorIllEEPS6_NSA_22TransformInputIteratorIb7NonZeroIiEPilEENS0_5tupleIJPlS6_EEENSJ_IJSD_SD_EEES6_SK_JS6_EEE10hipError_tPvRmT3_T4_T5_T6_T7_T9_mT8_P12ihipStream_tbDpT10_ENKUlT_T0_E_clISt17integral_constantIbLb1EES15_IbLb0EEEEDaS11_S12_EUlS11_E_NS1_11comp_targetILNS1_3genE8ELNS1_11target_archE1030ELNS1_3gpuE2ELNS1_3repE0EEENS1_30default_config_static_selectorELNS0_4arch9wavefront6targetE1EEEvT1_,comdat
.Lfunc_end208:
	.size	_ZN7rocprim17ROCPRIM_400000_NS6detail17trampoline_kernelINS0_14default_configENS1_25partition_config_selectorILNS1_17partition_subalgoE5ElNS0_10empty_typeEbEEZZNS1_14partition_implILS5_5ELb0ES3_mN6hipcub16HIPCUB_304000_NS21CountingInputIteratorIllEEPS6_NSA_22TransformInputIteratorIb7NonZeroIiEPilEENS0_5tupleIJPlS6_EEENSJ_IJSD_SD_EEES6_SK_JS6_EEE10hipError_tPvRmT3_T4_T5_T6_T7_T9_mT8_P12ihipStream_tbDpT10_ENKUlT_T0_E_clISt17integral_constantIbLb1EES15_IbLb0EEEEDaS11_S12_EUlS11_E_NS1_11comp_targetILNS1_3genE8ELNS1_11target_archE1030ELNS1_3gpuE2ELNS1_3repE0EEENS1_30default_config_static_selectorELNS0_4arch9wavefront6targetE1EEEvT1_, .Lfunc_end208-_ZN7rocprim17ROCPRIM_400000_NS6detail17trampoline_kernelINS0_14default_configENS1_25partition_config_selectorILNS1_17partition_subalgoE5ElNS0_10empty_typeEbEEZZNS1_14partition_implILS5_5ELb0ES3_mN6hipcub16HIPCUB_304000_NS21CountingInputIteratorIllEEPS6_NSA_22TransformInputIteratorIb7NonZeroIiEPilEENS0_5tupleIJPlS6_EEENSJ_IJSD_SD_EEES6_SK_JS6_EEE10hipError_tPvRmT3_T4_T5_T6_T7_T9_mT8_P12ihipStream_tbDpT10_ENKUlT_T0_E_clISt17integral_constantIbLb1EES15_IbLb0EEEEDaS11_S12_EUlS11_E_NS1_11comp_targetILNS1_3genE8ELNS1_11target_archE1030ELNS1_3gpuE2ELNS1_3repE0EEENS1_30default_config_static_selectorELNS0_4arch9wavefront6targetE1EEEvT1_
                                        ; -- End function
	.set _ZN7rocprim17ROCPRIM_400000_NS6detail17trampoline_kernelINS0_14default_configENS1_25partition_config_selectorILNS1_17partition_subalgoE5ElNS0_10empty_typeEbEEZZNS1_14partition_implILS5_5ELb0ES3_mN6hipcub16HIPCUB_304000_NS21CountingInputIteratorIllEEPS6_NSA_22TransformInputIteratorIb7NonZeroIiEPilEENS0_5tupleIJPlS6_EEENSJ_IJSD_SD_EEES6_SK_JS6_EEE10hipError_tPvRmT3_T4_T5_T6_T7_T9_mT8_P12ihipStream_tbDpT10_ENKUlT_T0_E_clISt17integral_constantIbLb1EES15_IbLb0EEEEDaS11_S12_EUlS11_E_NS1_11comp_targetILNS1_3genE8ELNS1_11target_archE1030ELNS1_3gpuE2ELNS1_3repE0EEENS1_30default_config_static_selectorELNS0_4arch9wavefront6targetE1EEEvT1_.num_vgpr, 0
	.set _ZN7rocprim17ROCPRIM_400000_NS6detail17trampoline_kernelINS0_14default_configENS1_25partition_config_selectorILNS1_17partition_subalgoE5ElNS0_10empty_typeEbEEZZNS1_14partition_implILS5_5ELb0ES3_mN6hipcub16HIPCUB_304000_NS21CountingInputIteratorIllEEPS6_NSA_22TransformInputIteratorIb7NonZeroIiEPilEENS0_5tupleIJPlS6_EEENSJ_IJSD_SD_EEES6_SK_JS6_EEE10hipError_tPvRmT3_T4_T5_T6_T7_T9_mT8_P12ihipStream_tbDpT10_ENKUlT_T0_E_clISt17integral_constantIbLb1EES15_IbLb0EEEEDaS11_S12_EUlS11_E_NS1_11comp_targetILNS1_3genE8ELNS1_11target_archE1030ELNS1_3gpuE2ELNS1_3repE0EEENS1_30default_config_static_selectorELNS0_4arch9wavefront6targetE1EEEvT1_.num_agpr, 0
	.set _ZN7rocprim17ROCPRIM_400000_NS6detail17trampoline_kernelINS0_14default_configENS1_25partition_config_selectorILNS1_17partition_subalgoE5ElNS0_10empty_typeEbEEZZNS1_14partition_implILS5_5ELb0ES3_mN6hipcub16HIPCUB_304000_NS21CountingInputIteratorIllEEPS6_NSA_22TransformInputIteratorIb7NonZeroIiEPilEENS0_5tupleIJPlS6_EEENSJ_IJSD_SD_EEES6_SK_JS6_EEE10hipError_tPvRmT3_T4_T5_T6_T7_T9_mT8_P12ihipStream_tbDpT10_ENKUlT_T0_E_clISt17integral_constantIbLb1EES15_IbLb0EEEEDaS11_S12_EUlS11_E_NS1_11comp_targetILNS1_3genE8ELNS1_11target_archE1030ELNS1_3gpuE2ELNS1_3repE0EEENS1_30default_config_static_selectorELNS0_4arch9wavefront6targetE1EEEvT1_.numbered_sgpr, 0
	.set _ZN7rocprim17ROCPRIM_400000_NS6detail17trampoline_kernelINS0_14default_configENS1_25partition_config_selectorILNS1_17partition_subalgoE5ElNS0_10empty_typeEbEEZZNS1_14partition_implILS5_5ELb0ES3_mN6hipcub16HIPCUB_304000_NS21CountingInputIteratorIllEEPS6_NSA_22TransformInputIteratorIb7NonZeroIiEPilEENS0_5tupleIJPlS6_EEENSJ_IJSD_SD_EEES6_SK_JS6_EEE10hipError_tPvRmT3_T4_T5_T6_T7_T9_mT8_P12ihipStream_tbDpT10_ENKUlT_T0_E_clISt17integral_constantIbLb1EES15_IbLb0EEEEDaS11_S12_EUlS11_E_NS1_11comp_targetILNS1_3genE8ELNS1_11target_archE1030ELNS1_3gpuE2ELNS1_3repE0EEENS1_30default_config_static_selectorELNS0_4arch9wavefront6targetE1EEEvT1_.num_named_barrier, 0
	.set _ZN7rocprim17ROCPRIM_400000_NS6detail17trampoline_kernelINS0_14default_configENS1_25partition_config_selectorILNS1_17partition_subalgoE5ElNS0_10empty_typeEbEEZZNS1_14partition_implILS5_5ELb0ES3_mN6hipcub16HIPCUB_304000_NS21CountingInputIteratorIllEEPS6_NSA_22TransformInputIteratorIb7NonZeroIiEPilEENS0_5tupleIJPlS6_EEENSJ_IJSD_SD_EEES6_SK_JS6_EEE10hipError_tPvRmT3_T4_T5_T6_T7_T9_mT8_P12ihipStream_tbDpT10_ENKUlT_T0_E_clISt17integral_constantIbLb1EES15_IbLb0EEEEDaS11_S12_EUlS11_E_NS1_11comp_targetILNS1_3genE8ELNS1_11target_archE1030ELNS1_3gpuE2ELNS1_3repE0EEENS1_30default_config_static_selectorELNS0_4arch9wavefront6targetE1EEEvT1_.private_seg_size, 0
	.set _ZN7rocprim17ROCPRIM_400000_NS6detail17trampoline_kernelINS0_14default_configENS1_25partition_config_selectorILNS1_17partition_subalgoE5ElNS0_10empty_typeEbEEZZNS1_14partition_implILS5_5ELb0ES3_mN6hipcub16HIPCUB_304000_NS21CountingInputIteratorIllEEPS6_NSA_22TransformInputIteratorIb7NonZeroIiEPilEENS0_5tupleIJPlS6_EEENSJ_IJSD_SD_EEES6_SK_JS6_EEE10hipError_tPvRmT3_T4_T5_T6_T7_T9_mT8_P12ihipStream_tbDpT10_ENKUlT_T0_E_clISt17integral_constantIbLb1EES15_IbLb0EEEEDaS11_S12_EUlS11_E_NS1_11comp_targetILNS1_3genE8ELNS1_11target_archE1030ELNS1_3gpuE2ELNS1_3repE0EEENS1_30default_config_static_selectorELNS0_4arch9wavefront6targetE1EEEvT1_.uses_vcc, 0
	.set _ZN7rocprim17ROCPRIM_400000_NS6detail17trampoline_kernelINS0_14default_configENS1_25partition_config_selectorILNS1_17partition_subalgoE5ElNS0_10empty_typeEbEEZZNS1_14partition_implILS5_5ELb0ES3_mN6hipcub16HIPCUB_304000_NS21CountingInputIteratorIllEEPS6_NSA_22TransformInputIteratorIb7NonZeroIiEPilEENS0_5tupleIJPlS6_EEENSJ_IJSD_SD_EEES6_SK_JS6_EEE10hipError_tPvRmT3_T4_T5_T6_T7_T9_mT8_P12ihipStream_tbDpT10_ENKUlT_T0_E_clISt17integral_constantIbLb1EES15_IbLb0EEEEDaS11_S12_EUlS11_E_NS1_11comp_targetILNS1_3genE8ELNS1_11target_archE1030ELNS1_3gpuE2ELNS1_3repE0EEENS1_30default_config_static_selectorELNS0_4arch9wavefront6targetE1EEEvT1_.uses_flat_scratch, 0
	.set _ZN7rocprim17ROCPRIM_400000_NS6detail17trampoline_kernelINS0_14default_configENS1_25partition_config_selectorILNS1_17partition_subalgoE5ElNS0_10empty_typeEbEEZZNS1_14partition_implILS5_5ELb0ES3_mN6hipcub16HIPCUB_304000_NS21CountingInputIteratorIllEEPS6_NSA_22TransformInputIteratorIb7NonZeroIiEPilEENS0_5tupleIJPlS6_EEENSJ_IJSD_SD_EEES6_SK_JS6_EEE10hipError_tPvRmT3_T4_T5_T6_T7_T9_mT8_P12ihipStream_tbDpT10_ENKUlT_T0_E_clISt17integral_constantIbLb1EES15_IbLb0EEEEDaS11_S12_EUlS11_E_NS1_11comp_targetILNS1_3genE8ELNS1_11target_archE1030ELNS1_3gpuE2ELNS1_3repE0EEENS1_30default_config_static_selectorELNS0_4arch9wavefront6targetE1EEEvT1_.has_dyn_sized_stack, 0
	.set _ZN7rocprim17ROCPRIM_400000_NS6detail17trampoline_kernelINS0_14default_configENS1_25partition_config_selectorILNS1_17partition_subalgoE5ElNS0_10empty_typeEbEEZZNS1_14partition_implILS5_5ELb0ES3_mN6hipcub16HIPCUB_304000_NS21CountingInputIteratorIllEEPS6_NSA_22TransformInputIteratorIb7NonZeroIiEPilEENS0_5tupleIJPlS6_EEENSJ_IJSD_SD_EEES6_SK_JS6_EEE10hipError_tPvRmT3_T4_T5_T6_T7_T9_mT8_P12ihipStream_tbDpT10_ENKUlT_T0_E_clISt17integral_constantIbLb1EES15_IbLb0EEEEDaS11_S12_EUlS11_E_NS1_11comp_targetILNS1_3genE8ELNS1_11target_archE1030ELNS1_3gpuE2ELNS1_3repE0EEENS1_30default_config_static_selectorELNS0_4arch9wavefront6targetE1EEEvT1_.has_recursion, 0
	.set _ZN7rocprim17ROCPRIM_400000_NS6detail17trampoline_kernelINS0_14default_configENS1_25partition_config_selectorILNS1_17partition_subalgoE5ElNS0_10empty_typeEbEEZZNS1_14partition_implILS5_5ELb0ES3_mN6hipcub16HIPCUB_304000_NS21CountingInputIteratorIllEEPS6_NSA_22TransformInputIteratorIb7NonZeroIiEPilEENS0_5tupleIJPlS6_EEENSJ_IJSD_SD_EEES6_SK_JS6_EEE10hipError_tPvRmT3_T4_T5_T6_T7_T9_mT8_P12ihipStream_tbDpT10_ENKUlT_T0_E_clISt17integral_constantIbLb1EES15_IbLb0EEEEDaS11_S12_EUlS11_E_NS1_11comp_targetILNS1_3genE8ELNS1_11target_archE1030ELNS1_3gpuE2ELNS1_3repE0EEENS1_30default_config_static_selectorELNS0_4arch9wavefront6targetE1EEEvT1_.has_indirect_call, 0
	.section	.AMDGPU.csdata,"",@progbits
; Kernel info:
; codeLenInByte = 0
; TotalNumSgprs: 6
; NumVgprs: 0
; NumAgprs: 0
; TotalNumVgprs: 0
; ScratchSize: 0
; MemoryBound: 0
; FloatMode: 240
; IeeeMode: 1
; LDSByteSize: 0 bytes/workgroup (compile time only)
; SGPRBlocks: 0
; VGPRBlocks: 0
; NumSGPRsForWavesPerEU: 6
; NumVGPRsForWavesPerEU: 1
; AccumOffset: 4
; Occupancy: 8
; WaveLimiterHint : 0
; COMPUTE_PGM_RSRC2:SCRATCH_EN: 0
; COMPUTE_PGM_RSRC2:USER_SGPR: 2
; COMPUTE_PGM_RSRC2:TRAP_HANDLER: 0
; COMPUTE_PGM_RSRC2:TGID_X_EN: 1
; COMPUTE_PGM_RSRC2:TGID_Y_EN: 0
; COMPUTE_PGM_RSRC2:TGID_Z_EN: 0
; COMPUTE_PGM_RSRC2:TIDIG_COMP_CNT: 0
; COMPUTE_PGM_RSRC3_GFX90A:ACCUM_OFFSET: 0
; COMPUTE_PGM_RSRC3_GFX90A:TG_SPLIT: 0
	.section	.text._ZN7rocprim17ROCPRIM_400000_NS6detail17trampoline_kernelINS0_14default_configENS1_25partition_config_selectorILNS1_17partition_subalgoE5ElNS0_10empty_typeEbEEZZNS1_14partition_implILS5_5ELb0ES3_mN6hipcub16HIPCUB_304000_NS21CountingInputIteratorIllEEPS6_NSA_22TransformInputIteratorIb7NonZeroIiEPilEENS0_5tupleIJPlS6_EEENSJ_IJSD_SD_EEES6_SK_JS6_EEE10hipError_tPvRmT3_T4_T5_T6_T7_T9_mT8_P12ihipStream_tbDpT10_ENKUlT_T0_E_clISt17integral_constantIbLb0EES15_IbLb1EEEEDaS11_S12_EUlS11_E_NS1_11comp_targetILNS1_3genE0ELNS1_11target_archE4294967295ELNS1_3gpuE0ELNS1_3repE0EEENS1_30default_config_static_selectorELNS0_4arch9wavefront6targetE1EEEvT1_,"axG",@progbits,_ZN7rocprim17ROCPRIM_400000_NS6detail17trampoline_kernelINS0_14default_configENS1_25partition_config_selectorILNS1_17partition_subalgoE5ElNS0_10empty_typeEbEEZZNS1_14partition_implILS5_5ELb0ES3_mN6hipcub16HIPCUB_304000_NS21CountingInputIteratorIllEEPS6_NSA_22TransformInputIteratorIb7NonZeroIiEPilEENS0_5tupleIJPlS6_EEENSJ_IJSD_SD_EEES6_SK_JS6_EEE10hipError_tPvRmT3_T4_T5_T6_T7_T9_mT8_P12ihipStream_tbDpT10_ENKUlT_T0_E_clISt17integral_constantIbLb0EES15_IbLb1EEEEDaS11_S12_EUlS11_E_NS1_11comp_targetILNS1_3genE0ELNS1_11target_archE4294967295ELNS1_3gpuE0ELNS1_3repE0EEENS1_30default_config_static_selectorELNS0_4arch9wavefront6targetE1EEEvT1_,comdat
	.protected	_ZN7rocprim17ROCPRIM_400000_NS6detail17trampoline_kernelINS0_14default_configENS1_25partition_config_selectorILNS1_17partition_subalgoE5ElNS0_10empty_typeEbEEZZNS1_14partition_implILS5_5ELb0ES3_mN6hipcub16HIPCUB_304000_NS21CountingInputIteratorIllEEPS6_NSA_22TransformInputIteratorIb7NonZeroIiEPilEENS0_5tupleIJPlS6_EEENSJ_IJSD_SD_EEES6_SK_JS6_EEE10hipError_tPvRmT3_T4_T5_T6_T7_T9_mT8_P12ihipStream_tbDpT10_ENKUlT_T0_E_clISt17integral_constantIbLb0EES15_IbLb1EEEEDaS11_S12_EUlS11_E_NS1_11comp_targetILNS1_3genE0ELNS1_11target_archE4294967295ELNS1_3gpuE0ELNS1_3repE0EEENS1_30default_config_static_selectorELNS0_4arch9wavefront6targetE1EEEvT1_ ; -- Begin function _ZN7rocprim17ROCPRIM_400000_NS6detail17trampoline_kernelINS0_14default_configENS1_25partition_config_selectorILNS1_17partition_subalgoE5ElNS0_10empty_typeEbEEZZNS1_14partition_implILS5_5ELb0ES3_mN6hipcub16HIPCUB_304000_NS21CountingInputIteratorIllEEPS6_NSA_22TransformInputIteratorIb7NonZeroIiEPilEENS0_5tupleIJPlS6_EEENSJ_IJSD_SD_EEES6_SK_JS6_EEE10hipError_tPvRmT3_T4_T5_T6_T7_T9_mT8_P12ihipStream_tbDpT10_ENKUlT_T0_E_clISt17integral_constantIbLb0EES15_IbLb1EEEEDaS11_S12_EUlS11_E_NS1_11comp_targetILNS1_3genE0ELNS1_11target_archE4294967295ELNS1_3gpuE0ELNS1_3repE0EEENS1_30default_config_static_selectorELNS0_4arch9wavefront6targetE1EEEvT1_
	.globl	_ZN7rocprim17ROCPRIM_400000_NS6detail17trampoline_kernelINS0_14default_configENS1_25partition_config_selectorILNS1_17partition_subalgoE5ElNS0_10empty_typeEbEEZZNS1_14partition_implILS5_5ELb0ES3_mN6hipcub16HIPCUB_304000_NS21CountingInputIteratorIllEEPS6_NSA_22TransformInputIteratorIb7NonZeroIiEPilEENS0_5tupleIJPlS6_EEENSJ_IJSD_SD_EEES6_SK_JS6_EEE10hipError_tPvRmT3_T4_T5_T6_T7_T9_mT8_P12ihipStream_tbDpT10_ENKUlT_T0_E_clISt17integral_constantIbLb0EES15_IbLb1EEEEDaS11_S12_EUlS11_E_NS1_11comp_targetILNS1_3genE0ELNS1_11target_archE4294967295ELNS1_3gpuE0ELNS1_3repE0EEENS1_30default_config_static_selectorELNS0_4arch9wavefront6targetE1EEEvT1_
	.p2align	8
	.type	_ZN7rocprim17ROCPRIM_400000_NS6detail17trampoline_kernelINS0_14default_configENS1_25partition_config_selectorILNS1_17partition_subalgoE5ElNS0_10empty_typeEbEEZZNS1_14partition_implILS5_5ELb0ES3_mN6hipcub16HIPCUB_304000_NS21CountingInputIteratorIllEEPS6_NSA_22TransformInputIteratorIb7NonZeroIiEPilEENS0_5tupleIJPlS6_EEENSJ_IJSD_SD_EEES6_SK_JS6_EEE10hipError_tPvRmT3_T4_T5_T6_T7_T9_mT8_P12ihipStream_tbDpT10_ENKUlT_T0_E_clISt17integral_constantIbLb0EES15_IbLb1EEEEDaS11_S12_EUlS11_E_NS1_11comp_targetILNS1_3genE0ELNS1_11target_archE4294967295ELNS1_3gpuE0ELNS1_3repE0EEENS1_30default_config_static_selectorELNS0_4arch9wavefront6targetE1EEEvT1_,@function
_ZN7rocprim17ROCPRIM_400000_NS6detail17trampoline_kernelINS0_14default_configENS1_25partition_config_selectorILNS1_17partition_subalgoE5ElNS0_10empty_typeEbEEZZNS1_14partition_implILS5_5ELb0ES3_mN6hipcub16HIPCUB_304000_NS21CountingInputIteratorIllEEPS6_NSA_22TransformInputIteratorIb7NonZeroIiEPilEENS0_5tupleIJPlS6_EEENSJ_IJSD_SD_EEES6_SK_JS6_EEE10hipError_tPvRmT3_T4_T5_T6_T7_T9_mT8_P12ihipStream_tbDpT10_ENKUlT_T0_E_clISt17integral_constantIbLb0EES15_IbLb1EEEEDaS11_S12_EUlS11_E_NS1_11comp_targetILNS1_3genE0ELNS1_11target_archE4294967295ELNS1_3gpuE0ELNS1_3repE0EEENS1_30default_config_static_selectorELNS0_4arch9wavefront6targetE1EEEvT1_: ; @_ZN7rocprim17ROCPRIM_400000_NS6detail17trampoline_kernelINS0_14default_configENS1_25partition_config_selectorILNS1_17partition_subalgoE5ElNS0_10empty_typeEbEEZZNS1_14partition_implILS5_5ELb0ES3_mN6hipcub16HIPCUB_304000_NS21CountingInputIteratorIllEEPS6_NSA_22TransformInputIteratorIb7NonZeroIiEPilEENS0_5tupleIJPlS6_EEENSJ_IJSD_SD_EEES6_SK_JS6_EEE10hipError_tPvRmT3_T4_T5_T6_T7_T9_mT8_P12ihipStream_tbDpT10_ENKUlT_T0_E_clISt17integral_constantIbLb0EES15_IbLb1EEEEDaS11_S12_EUlS11_E_NS1_11comp_targetILNS1_3genE0ELNS1_11target_archE4294967295ELNS1_3gpuE0ELNS1_3repE0EEENS1_30default_config_static_selectorELNS0_4arch9wavefront6targetE1EEEvT1_
; %bb.0:
	s_load_dwordx2 s[2:3], s[0:1], 0x20
	s_load_dwordx4 s[12:15], s[0:1], 0x48
	s_load_dwordx2 s[8:9], s[0:1], 0x58
	s_load_dwordx2 s[20:21], s[0:1], 0x68
	v_cmp_eq_u32_e64 s[10:11], 0, v0
	s_and_saveexec_b64 s[4:5], s[10:11]
	s_cbranch_execz .LBB209_4
; %bb.1:
	s_mov_b64 s[16:17], exec
	v_mbcnt_lo_u32_b32 v1, s16, 0
	v_mbcnt_hi_u32_b32 v1, s17, v1
	v_cmp_eq_u32_e32 vcc, 0, v1
                                        ; implicit-def: $vgpr2
	s_and_saveexec_b64 s[6:7], vcc
	s_cbranch_execz .LBB209_3
; %bb.2:
	s_load_dwordx2 s[18:19], s[0:1], 0x78
	s_bcnt1_i32_b64 s16, s[16:17]
	v_mov_b32_e32 v2, 0
	v_mov_b32_e32 v3, s16
	s_waitcnt lgkmcnt(0)
	global_atomic_add v2, v2, v3, s[18:19] sc0
.LBB209_3:
	s_or_b64 exec, exec, s[6:7]
	s_waitcnt vmcnt(0)
	v_readfirstlane_b32 s6, v2
	v_mov_b32_e32 v2, 0
	s_nop 0
	v_add_u32_e32 v1, s6, v1
	ds_write_b32 v2, v1
.LBB209_4:
	s_or_b64 exec, exec, s[4:5]
	v_mov_b32_e32 v1, 0
	s_load_dwordx4 s[4:7], s[0:1], 0x8
	s_load_dwordx2 s[16:17], s[0:1], 0x30
	s_load_dword s18, s[0:1], 0x70
	s_waitcnt lgkmcnt(0)
	s_barrier
	ds_read_b32 v2, v1
	s_waitcnt lgkmcnt(0)
	s_barrier
	global_load_dwordx2 v[10:11], v1, s[14:15]
	s_add_u32 s22, s6, s4
	s_mul_i32 s0, s18, 0x380
	s_addc_u32 s23, s7, s5
	s_add_i32 s1, s0, s6
	s_add_i32 s14, s18, -1
	s_sub_i32 s25, s8, s1
	s_add_u32 s0, s6, s0
	v_readfirstlane_b32 s24, v2
	s_addc_u32 s1, s7, 0
	v_mov_b64_e32 v[2:3], s[0:1]
	s_cmp_eq_u32 s24, s14
	v_cmp_le_u64_e32 vcc, s[8:9], v[2:3]
	s_cselect_b64 s[14:15], -1, 0
	s_and_b64 s[8:9], vcc, s[14:15]
	s_xor_b64 s[18:19], s[8:9], -1
	s_mul_i32 s4, s24, 0x380
	s_mov_b32 s5, 0
	s_mov_b64 s[0:1], -1
	s_and_b64 vcc, exec, s[18:19]
	s_cbranch_vccz .LBB209_6
; %bb.5:
	s_add_u32 s0, s4, s22
	s_addc_u32 s1, 0, s23
	v_lshl_add_u64 v[2:3], s[0:1], 0, v[0:1]
	s_mov_b64 s[0:1], 0x80
	v_lshl_add_u64 v[4:5], v[2:3], 0, s[0:1]
	s_mov_b64 s[0:1], 0x100
	;; [unrolled: 2-line block ×6, first 2 shown]
	v_lshlrev_b32_e32 v1, 3, v0
	v_lshl_add_u64 v[16:17], v[2:3], 0, s[0:1]
	ds_write2st64_b64 v1, v[2:3], v[4:5] offset1:2
	ds_write2st64_b64 v1, v[6:7], v[8:9] offset0:4 offset1:6
	ds_write2st64_b64 v1, v[12:13], v[14:15] offset0:8 offset1:10
	ds_write_b64 v1, v[16:17] offset:6144
	s_waitcnt lgkmcnt(0)
	s_barrier
	s_mov_b64 s[0:1], 0
.LBB209_6:
	s_add_i32 s8, s25, 0x380
	s_andn2_b64 vcc, exec, s[0:1]
	v_cmp_gt_u32_e64 s[0:1], s8, v0
	s_cbranch_vccnz .LBB209_8
; %bb.7:
	s_add_u32 s22, s22, s4
	v_mov_b32_e32 v1, 0
	s_addc_u32 s23, s23, 0
	v_or_b32_e32 v4, 0x80, v0
	v_mov_b32_e32 v5, v1
	v_lshl_add_u64 v[6:7], s[22:23], 0, v[4:5]
	v_cmp_gt_u32_e32 vcc, s8, v4
	v_lshl_add_u64 v[2:3], s[22:23], 0, v[0:1]
	v_cndmask_b32_e64 v3, 0, v3, s[0:1]
	v_cndmask_b32_e32 v5, 0, v7, vcc
	v_cndmask_b32_e32 v4, 0, v6, vcc
	v_or_b32_e32 v6, 0x100, v0
	v_mov_b32_e32 v7, v1
	v_lshl_add_u64 v[8:9], s[22:23], 0, v[6:7]
	v_cmp_gt_u32_e32 vcc, s8, v6
	v_cndmask_b32_e64 v2, 0, v2, s[0:1]
	s_nop 0
	v_cndmask_b32_e32 v7, 0, v9, vcc
	v_cndmask_b32_e32 v6, 0, v8, vcc
	v_or_b32_e32 v8, 0x180, v0
	v_mov_b32_e32 v9, v1
	v_lshl_add_u64 v[12:13], s[22:23], 0, v[8:9]
	v_cmp_gt_u32_e32 vcc, s8, v8
	s_nop 1
	v_cndmask_b32_e32 v9, 0, v13, vcc
	v_cndmask_b32_e32 v8, 0, v12, vcc
	v_or_b32_e32 v12, 0x200, v0
	v_mov_b32_e32 v13, v1
	v_lshl_add_u64 v[14:15], s[22:23], 0, v[12:13]
	v_cmp_gt_u32_e32 vcc, s8, v12
	;; [unrolled: 7-line block ×4, first 2 shown]
	v_lshlrev_b32_e32 v1, 3, v0
	s_nop 0
	v_cndmask_b32_e32 v17, 0, v19, vcc
	v_cndmask_b32_e32 v16, 0, v18, vcc
	ds_write2st64_b64 v1, v[2:3], v[4:5] offset1:2
	ds_write2st64_b64 v1, v[6:7], v[8:9] offset0:4 offset1:6
	ds_write2st64_b64 v1, v[12:13], v[14:15] offset0:8 offset1:10
	ds_write_b64 v1, v[16:17] offset:6144
	s_waitcnt lgkmcnt(0)
	s_barrier
.LBB209_8:
	v_mul_u32_u24_e32 v1, 7, v0
	v_lshlrev_b32_e32 v3, 3, v1
	ds_read2_b64 v[68:71], v3 offset1:1
	ds_read2_b64 v[64:67], v3 offset0:2 offset1:3
	ds_read2_b64 v[60:63], v3 offset0:4 offset1:5
	ds_read_b64 v[12:13], v3 offset:48
	s_lshl_b64 s[0:1], s[6:7], 2
	s_add_u32 s2, s2, s0
	s_addc_u32 s3, s3, s1
	s_lshl_b64 s[0:1], s[4:5], 2
	s_add_u32 s0, s2, s0
	s_addc_u32 s1, s3, s1
	s_mov_b64 s[2:3], -1
	s_and_b64 vcc, exec, s[18:19]
	v_lshlrev_b32_e32 v4, 2, v0
	s_waitcnt lgkmcnt(0)
	s_barrier
	s_cbranch_vccz .LBB209_10
; %bb.9:
	global_load_dword v1, v4, s[0:1]
	global_load_dword v2, v4, s[0:1] offset:512
	global_load_dword v5, v4, s[0:1] offset:1024
	;; [unrolled: 1-line block ×6, first 2 shown]
	s_mov_b64 s[2:3], 0
	s_waitcnt vmcnt(6)
	v_cmp_ne_u32_e32 vcc, 0, v1
	s_nop 1
	v_cndmask_b32_e64 v1, 0, 1, vcc
	s_waitcnt vmcnt(5)
	v_cmp_ne_u32_e32 vcc, 0, v2
	s_nop 1
	v_cndmask_b32_e64 v2, 0, 1, vcc
	;; [unrolled: 4-line block ×7, first 2 shown]
	ds_write_b8 v0, v1
	ds_write_b8 v0, v2 offset:128
	ds_write_b8 v0, v5 offset:256
	;; [unrolled: 1-line block ×6, first 2 shown]
	s_waitcnt lgkmcnt(0)
	s_barrier
.LBB209_10:
	s_andn2_b64 vcc, exec, s[2:3]
	s_cbranch_vccnz .LBB209_26
; %bb.11:
	v_mov_b32_e32 v2, 0
	v_cmp_gt_u32_e32 vcc, s8, v0
	s_mov_b32 s4, 0
	v_mov_b32_e32 v1, v2
	v_mov_b32_e32 v5, v2
	s_and_saveexec_b64 s[2:3], vcc
	s_cbranch_execz .LBB209_13
; %bb.12:
	global_load_dword v1, v4, s[0:1]
	s_waitcnt vmcnt(0)
	v_cmp_ne_u32_e32 vcc, 0, v1
	s_nop 1
	v_cndmask_b32_e64 v2, 0, 1, vcc
	v_mov_b32_e32 v1, s4
	v_mov_b32_e32 v5, v2
.LBB209_13:
	s_or_b64 exec, exec, s[2:3]
	v_or_b32_e32 v6, 0x80, v0
	v_cmp_gt_u32_e32 vcc, s8, v6
	s_and_saveexec_b64 s[2:3], vcc
	s_cbranch_execz .LBB209_15
; %bb.14:
	global_load_dword v6, v4, s[0:1] offset:512
	v_mov_b32_e32 v8, 8
	v_lshrrev_b32_e32 v7, 16, v2
	s_mov_b32 s4, 0xc0c0304
	s_movk_i32 s5, 0xff
	v_lshrrev_b32_sdwa v8, v8, v1 dst_sel:BYTE_1 dst_unused:UNUSED_PAD src0_sel:DWORD src1_sel:DWORD
	v_bfe_u32 v9, v1, 16, 8
	v_perm_b32 v7, v7, v2, s4
	v_bitop3_b16 v1, v1, v8, s5 bitop3:0xec
	v_and_b32_e32 v1, 0xffff, v1
	v_lshl_or_b32 v1, v9, 16, v1
	s_waitcnt vmcnt(0)
	v_cmp_ne_u32_e32 vcc, 0, v6
	s_nop 1
	v_cndmask_b32_e64 v6, 0, 1, vcc
	v_lshlrev_b16_e32 v6, 8, v6
	v_bitop3_b16 v2, v2, v6, s5 bitop3:0xec
	v_and_b32_e32 v2, 0xffff, v2
	v_lshl_or_b32 v2, v7, 16, v2
.LBB209_15:
	s_or_b64 exec, exec, s[2:3]
	v_or_b32_e32 v6, 0x100, v0
	v_cmp_gt_u32_e32 vcc, s8, v6
	s_and_saveexec_b64 s[2:3], vcc
	s_cbranch_execz .LBB209_17
; %bb.16:
	global_load_dword v6, v4, s[0:1] offset:1024
	v_mov_b32_e32 v8, 8
	v_lshrrev_b32_e32 v7, 24, v2
	s_movk_i32 s5, 0xff
	v_lshrrev_b32_sdwa v8, v8, v1 dst_sel:BYTE_1 dst_unused:UNUSED_PAD src0_sel:DWORD src1_sel:DWORD
	s_mov_b32 s4, 0xc0c0104
	v_bfe_u32 v9, v1, 16, 8
	v_lshlrev_b16_e32 v7, 8, v7
	v_bitop3_b16 v1, v1, v8, s5 bitop3:0xec
	v_perm_b32 v2, v2, v2, s4
	v_and_b32_e32 v1, 0xffff, v1
	v_lshl_or_b32 v1, v9, 16, v1
	s_waitcnt vmcnt(0)
	v_cmp_ne_u32_e32 vcc, 0, v6
	s_nop 1
	v_cndmask_b32_e64 v6, 0, 1, vcc
	v_or_b32_sdwa v6, v6, v7 dst_sel:WORD_1 dst_unused:UNUSED_PAD src0_sel:DWORD src1_sel:DWORD
	s_nop 0
	v_or_b32_e32 v2, v2, v6
.LBB209_17:
	s_or_b64 exec, exec, s[2:3]
	v_or_b32_e32 v6, 0x180, v0
	v_cmp_gt_u32_e32 vcc, s8, v6
	s_and_saveexec_b64 s[2:3], vcc
	s_cbranch_execz .LBB209_19
; %bb.18:
	global_load_dword v6, v4, s[0:1] offset:1536
	v_mov_b32_e32 v8, 8
	v_lshrrev_b32_e32 v7, 16, v2
	s_movk_i32 s4, 0xff
	v_lshrrev_b32_sdwa v8, v8, v1 dst_sel:BYTE_1 dst_unused:UNUSED_PAD src0_sel:DWORD src1_sel:DWORD
	s_mov_b32 s5, 0xc0c0104
	v_bfe_u32 v9, v1, 16, 8
	v_bitop3_b16 v1, v1, v8, s4 bitop3:0xec
	v_perm_b32 v2, v2, v2, s5
	v_and_b32_e32 v1, 0xffff, v1
	v_lshl_or_b32 v1, v9, 16, v1
	s_waitcnt vmcnt(0)
	v_cmp_ne_u32_e32 vcc, 0, v6
	s_nop 1
	v_cndmask_b32_e64 v6, 0, 1, vcc
	v_lshlrev_b16_e32 v6, 8, v6
	v_bitop3_b16 v6, v7, v6, s4 bitop3:0xec
	v_lshlrev_b32_e32 v6, 16, v6
	v_or_b32_e32 v2, v2, v6
.LBB209_19:
	s_or_b64 exec, exec, s[2:3]
	v_or_b32_e32 v6, 0x200, v0
	v_cmp_gt_u32_e32 vcc, s8, v6
	s_and_saveexec_b64 s[2:3], vcc
	s_cbranch_execz .LBB209_21
; %bb.20:
	global_load_dword v6, v4, s[0:1] offset:2048
	v_mov_b32_e32 v7, 8
	v_bfe_u32 v8, v1, 16, 8
	v_lshrrev_b32_sdwa v1, v7, v1 dst_sel:BYTE_1 dst_unused:UNUSED_PAD src0_sel:DWORD src1_sel:DWORD
	s_mov_b32 s4, 0x3020104
	v_perm_b32 v2, v2, v2, s4
	s_waitcnt vmcnt(0)
	v_cmp_ne_u32_e32 vcc, 0, v6
	s_nop 1
	v_cndmask_b32_e64 v6, 0, 1, vcc
	v_or_b32_e32 v1, v6, v1
	v_and_b32_e32 v1, 0xffff, v1
	v_lshl_or_b32 v1, v8, 16, v1
.LBB209_21:
	s_or_b64 exec, exec, s[2:3]
	v_or_b32_e32 v6, 0x280, v0
	v_cmp_gt_u32_e32 vcc, s8, v6
	s_and_saveexec_b64 s[2:3], vcc
	s_cbranch_execz .LBB209_23
; %bb.22:
	global_load_dword v6, v4, s[0:1] offset:2560
	s_movk_i32 s4, 0xff
	v_bfe_u32 v7, v1, 16, 8
	s_mov_b32 s5, 0x3020104
	v_perm_b32 v2, v2, v2, s5
	s_waitcnt vmcnt(0)
	v_cmp_ne_u32_e32 vcc, 0, v6
	s_nop 1
	v_cndmask_b32_e64 v6, 0, 1, vcc
	v_lshlrev_b16_e32 v6, 8, v6
	v_bitop3_b16 v1, v1, v6, s4 bitop3:0xec
	v_and_b32_e32 v1, 0xffff, v1
	v_lshl_or_b32 v1, v7, 16, v1
.LBB209_23:
	s_or_b64 exec, exec, s[2:3]
	v_or_b32_e32 v6, 0x300, v0
	v_cmp_gt_u32_e32 vcc, s8, v6
	s_and_saveexec_b64 s[2:3], vcc
	s_cbranch_execz .LBB209_25
; %bb.24:
	global_load_dword v4, v4, s[0:1] offset:3072
	v_mov_b32_e32 v6, 8
	s_movk_i32 s0, 0xff
	v_lshrrev_b32_sdwa v6, v6, v1 dst_sel:BYTE_1 dst_unused:UNUSED_PAD src0_sel:DWORD src1_sel:DWORD
	s_mov_b32 s1, 0x3020104
	v_bitop3_b16 v1, v1, v6, s0 bitop3:0xec
	v_and_b32_e32 v1, 0xffff, v1
	v_perm_b32 v2, v2, v2, s1
	s_waitcnt vmcnt(0)
	v_cmp_ne_u32_e32 vcc, 0, v4
	s_nop 1
	v_cndmask_b32_e64 v4, 0, 1, vcc
	v_lshl_or_b32 v1, v4, 16, v1
.LBB209_25:
	s_or_b64 exec, exec, s[2:3]
	v_lshrrev_b32_e32 v4, 8, v2
	ds_write_b8 v0, v5
	ds_write_b8 v0, v4 offset:128
	ds_write_b8_d16_hi v0, v2 offset:256
	v_lshrrev_b32_e32 v2, 24, v2
	ds_write_b8 v0, v2 offset:384
	ds_write_b8 v0, v1 offset:512
	v_lshrrev_b32_e32 v2, 8, v1
	ds_write_b8 v0, v2 offset:640
	ds_write_b8_d16_hi v0, v1 offset:768
	s_waitcnt lgkmcnt(0)
	s_barrier
.LBB209_26:
	s_movk_i32 s0, 0xffcf
	v_mad_i32_i24 v1, v0, s0, v3
	ds_read_u8 v2, v1
	ds_read_u8 v3, v1 offset:1
	ds_read_u8 v4, v1 offset:2
	;; [unrolled: 1-line block ×6, first 2 shown]
	s_waitcnt lgkmcnt(6)
	v_and_b32_e32 v26, 1, v2
	v_mov_b32_e32 v27, 0
	s_waitcnt lgkmcnt(5)
	v_and_b32_e32 v24, 1, v3
	s_waitcnt lgkmcnt(4)
	v_and_b32_e32 v22, 1, v4
	;; [unrolled: 2-line block ×3, first 2 shown]
	v_mov_b32_e32 v21, v27
	v_add3_u32 v2, v24, v26, v22
	v_mov_b32_e32 v3, v27
	s_waitcnt lgkmcnt(2)
	v_and_b32_e32 v18, 1, v6
	v_mov_b32_e32 v19, v27
	v_lshl_add_u64 v[2:3], v[2:3], 0, v[20:21]
	s_waitcnt lgkmcnt(1)
	v_and_b32_e32 v16, 1, v7
	v_mov_b32_e32 v17, v27
	v_lshl_add_u64 v[2:3], v[2:3], 0, v[18:19]
	;; [unrolled: 4-line block ×3, first 2 shown]
	v_lshl_add_u64 v[28:29], v[2:3], 0, v[14:15]
	v_mbcnt_lo_u32_b32 v2, -1, 0
	v_mbcnt_hi_u32_b32 v15, -1, v2
	v_and_b32_e32 v41, 15, v15
	s_cmp_lg_u32 s24, 0
	v_mov_b32_e32 v25, v27
	v_mov_b32_e32 v23, v27
	v_cmp_eq_u32_e64 s[4:5], 0, v41
	v_cmp_lt_u32_e64 s[2:3], 1, v41
	v_cmp_lt_u32_e64 s[0:1], 3, v41
	;; [unrolled: 1-line block ×3, first 2 shown]
	v_and_b32_e32 v40, 16, v15
	v_cmp_eq_u32_e64 s[6:7], 0, v15
	v_cmp_ne_u32_e32 vcc, 0, v15
	s_barrier
	s_cbranch_scc0 .LBB209_54
; %bb.27:
	v_mov_b32_dpp v2, v28 row_shr:1 row_mask:0xf bank_mask:0xf
	v_mov_b32_e32 v3, v27
	v_mov_b32_dpp v5, v27 row_shr:1 row_mask:0xf bank_mask:0xf
	v_mov_b32_e32 v4, v27
	v_lshl_add_u64 v[2:3], v[28:29], 0, v[2:3]
	v_lshl_add_u64 v[4:5], v[4:5], 0, v[2:3]
	v_cndmask_b32_e64 v6, v5, 0, s[4:5]
	v_cndmask_b32_e64 v7, v2, v28, s[4:5]
	v_cndmask_b32_e64 v3, v5, v29, s[4:5]
	v_cndmask_b32_e64 v2, v4, v28, s[4:5]
	v_mov_b32_dpp v4, v7 row_shr:2 row_mask:0xf bank_mask:0xf
	v_mov_b32_dpp v5, v6 row_shr:2 row_mask:0xf bank_mask:0xf
	v_lshl_add_u64 v[4:5], v[4:5], 0, v[2:3]
	v_cndmask_b32_e64 v6, v6, v5, s[2:3]
	v_cndmask_b32_e64 v7, v7, v4, s[2:3]
	v_cndmask_b32_e64 v3, v3, v5, s[2:3]
	v_cndmask_b32_e64 v2, v2, v4, s[2:3]
	v_mov_b32_dpp v4, v7 row_shr:4 row_mask:0xf bank_mask:0xf
	v_mov_b32_dpp v5, v6 row_shr:4 row_mask:0xf bank_mask:0xf
	;; [unrolled: 7-line block ×3, first 2 shown]
	v_lshl_add_u64 v[4:5], v[4:5], 0, v[2:3]
	v_cndmask_b32_e64 v8, v6, v5, s[8:9]
	v_cndmask_b32_e64 v9, v7, v4, s[8:9]
	;; [unrolled: 1-line block ×4, first 2 shown]
	v_mov_b32_dpp v2, v9 row_bcast:15 row_mask:0xf bank_mask:0xf
	v_mov_b32_dpp v3, v8 row_bcast:15 row_mask:0xf bank_mask:0xf
	v_lshl_add_u64 v[6:7], v[2:3], 0, v[4:5]
	v_cmp_eq_u32_e64 s[0:1], 0, v40
	s_nop 1
	v_cndmask_b32_e64 v2, v7, v8, s[0:1]
	v_cndmask_b32_e64 v3, v6, v9, s[0:1]
	s_nop 0
	v_mov_b32_dpp v9, v2 row_bcast:31 row_mask:0xf bank_mask:0xf
	v_mov_b32_dpp v8, v3 row_bcast:31 row_mask:0xf bank_mask:0xf
	v_mov_b64_e32 v[2:3], v[28:29]
	s_and_saveexec_b64 s[8:9], vcc
; %bb.28:
	v_cmp_lt_u32_e32 vcc, 31, v15
	v_cndmask_b32_e64 v3, v7, v5, s[0:1]
	v_cndmask_b32_e64 v2, v6, v4, s[0:1]
	v_cndmask_b32_e32 v5, 0, v9, vcc
	v_cndmask_b32_e32 v4, 0, v8, vcc
	v_lshl_add_u64 v[2:3], v[4:5], 0, v[2:3]
; %bb.29:
	s_or_b64 exec, exec, s[8:9]
	v_or_b32_e32 v5, 63, v0
	v_lshrrev_b32_e32 v4, 6, v0
	v_cmp_eq_u32_e32 vcc, v0, v5
	s_and_saveexec_b64 s[0:1], vcc
; %bb.30:
	v_lshlrev_b32_e32 v5, 3, v4
	ds_write_b64 v5, v[2:3]
; %bb.31:
	s_or_b64 exec, exec, s[0:1]
	v_cmp_gt_u32_e32 vcc, 2, v0
	s_waitcnt lgkmcnt(0)
	s_barrier
	s_and_saveexec_b64 s[0:1], vcc
	s_cbranch_execz .LBB209_33
; %bb.32:
	v_lshlrev_b32_e32 v5, 3, v0
	ds_read_b64 v[6:7], v5
	v_and_b32_e32 v8, 1, v15
	v_cmp_eq_u32_e32 vcc, 1, v8
	s_waitcnt lgkmcnt(0)
	v_mov_b32_dpp v30, v6 row_shr:1 row_mask:0xf bank_mask:0xf
	v_mov_b32_dpp v9, v7 row_shr:1 row_mask:0xf bank_mask:0xf
	v_cndmask_b32_e32 v9, 0, v9, vcc
	v_cndmask_b32_e32 v8, 0, v30, vcc
	v_lshl_add_u64 v[6:7], v[8:9], 0, v[6:7]
	ds_write_b64 v5, v[6:7]
.LBB209_33:
	s_or_b64 exec, exec, s[0:1]
	v_cmp_gt_u32_e32 vcc, 64, v0
	v_cmp_lt_u32_e64 s[0:1], 63, v0
	s_waitcnt lgkmcnt(0)
	s_barrier
                                        ; implicit-def: $vgpr30_vgpr31
	s_and_saveexec_b64 s[8:9], s[0:1]
	s_cbranch_execz .LBB209_35
; %bb.34:
	v_lshl_add_u32 v4, v4, 3, -8
	ds_read_b64 v[30:31], v4
	s_waitcnt lgkmcnt(0)
	v_lshl_add_u64 v[2:3], v[30:31], 0, v[2:3]
.LBB209_35:
	s_or_b64 exec, exec, s[8:9]
	v_add_u32_e32 v4, -1, v15
	v_and_b32_e32 v5, 64, v15
	v_cmp_lt_i32_e64 s[0:1], v4, v5
	s_nop 1
	v_cndmask_b32_e64 v4, v4, v15, s[0:1]
	v_lshlrev_b32_e32 v4, 2, v4
	ds_bpermute_b32 v42, v4, v2
	ds_bpermute_b32 v43, v4, v3
	s_and_saveexec_b64 s[22:23], vcc
	s_cbranch_execz .LBB209_59
; %bb.36:
	v_mov_b32_e32 v5, 0
	ds_read_b64 v[2:3], v5 offset:8
	s_and_saveexec_b64 s[0:1], s[6:7]
	s_cbranch_execz .LBB209_38
; %bb.37:
	s_add_i32 s8, s24, 64
	s_mov_b32 s9, 0
	s_lshl_b64 s[8:9], s[8:9], 4
	s_add_u32 s8, s20, s8
	s_addc_u32 s9, s21, s9
	v_mov_b32_e32 v4, 1
	v_mov_b64_e32 v[6:7], s[8:9]
	s_waitcnt lgkmcnt(0)
	;;#ASMSTART
	global_store_dwordx4 v[6:7], v[2:5] off sc1	
s_waitcnt vmcnt(0)
	;;#ASMEND
.LBB209_38:
	s_or_b64 exec, exec, s[0:1]
	v_xad_u32 v32, v15, -1, s24
	v_add_u32_e32 v4, 64, v32
	v_lshl_add_u64 v[34:35], v[4:5], 4, s[20:21]
	;;#ASMSTART
	global_load_dwordx4 v[6:9], v[34:35] off sc1	
s_waitcnt vmcnt(0)
	;;#ASMEND
	s_nop 0
	v_cmp_eq_u16_sdwa s[8:9], v8, v5 src0_sel:BYTE_0 src1_sel:DWORD
	s_and_saveexec_b64 s[0:1], s[8:9]
	s_cbranch_execz .LBB209_42
; %bb.39:
	s_mov_b64 s[8:9], 0
	v_mov_b32_e32 v4, 0
.LBB209_40:                             ; =>This Inner Loop Header: Depth=1
	;;#ASMSTART
	global_load_dwordx4 v[6:9], v[34:35] off sc1	
s_waitcnt vmcnt(0)
	;;#ASMEND
	s_nop 0
	v_cmp_ne_u16_sdwa s[26:27], v8, v4 src0_sel:BYTE_0 src1_sel:DWORD
	s_or_b64 s[8:9], s[26:27], s[8:9]
	s_andn2_b64 exec, exec, s[8:9]
	s_cbranch_execnz .LBB209_40
; %bb.41:
	s_or_b64 exec, exec, s[8:9]
.LBB209_42:
	s_or_b64 exec, exec, s[0:1]
	v_mov_b32_e32 v44, 2
	v_cmp_eq_u16_sdwa s[0:1], v8, v44 src0_sel:BYTE_0 src1_sel:DWORD
	v_lshlrev_b64 v[34:35], v15, -1
	v_and_b32_e32 v45, 63, v15
	v_and_b32_e32 v4, s1, v35
	v_or_b32_e32 v4, 0x80000000, v4
	v_and_b32_e32 v5, s0, v34
	v_ffbl_b32_e32 v4, v4
	v_add_u32_e32 v4, 32, v4
	v_ffbl_b32_e32 v5, v5
	v_cmp_ne_u32_e32 vcc, 63, v45
	v_min_u32_e32 v9, v5, v4
	v_mov_b32_e32 v33, 0
	v_addc_co_u32_e32 v4, vcc, 0, v15, vcc
	v_lshlrev_b32_e32 v46, 2, v4
	ds_bpermute_b32 v4, v46, v6
	ds_bpermute_b32 v37, v46, v7
	v_mov_b32_e32 v5, v33
	v_mov_b32_e32 v36, v33
	v_cmp_lt_u32_e64 s[0:1], v45, v9
	s_waitcnt lgkmcnt(1)
	v_lshl_add_u64 v[4:5], v[6:7], 0, v[4:5]
	v_cmp_gt_u32_e32 vcc, 62, v45
	s_waitcnt lgkmcnt(0)
	v_lshl_add_u64 v[36:37], v[36:37], 0, v[4:5]
	v_cndmask_b32_e64 v49, v6, v4, s[0:1]
	v_cndmask_b32_e64 v4, 0, 2, vcc
	v_cndmask_b32_e64 v5, v7, v37, s[0:1]
	v_add_lshl_u32 v47, v4, v15, 2
	ds_bpermute_b32 v38, v47, v49
	ds_bpermute_b32 v39, v47, v5
	v_cndmask_b32_e64 v4, v6, v36, s[0:1]
	v_add_u32_e32 v48, 2, v45
	v_cmp_gt_u32_e32 vcc, v48, v9
	v_cmp_gt_u32_e64 s[8:9], 60, v45
	s_waitcnt lgkmcnt(0)
	v_lshl_add_u64 v[36:37], v[38:39], 0, v[4:5]
	v_cndmask_b32_e32 v5, v37, v5, vcc
	v_cndmask_b32_e64 v37, 0, 4, s[8:9]
	v_cndmask_b32_e32 v51, v36, v49, vcc
	v_add_lshl_u32 v49, v37, v15, 2
	ds_bpermute_b32 v38, v49, v51
	ds_bpermute_b32 v39, v49, v5
	v_cndmask_b32_e32 v4, v36, v4, vcc
	v_add_u32_e32 v50, 4, v45
	v_cmp_gt_u32_e32 vcc, v50, v9
	v_cmp_gt_u32_e64 s[8:9], 56, v45
	s_waitcnt lgkmcnt(0)
	v_lshl_add_u64 v[36:37], v[38:39], 0, v[4:5]
	v_cndmask_b32_e32 v5, v37, v5, vcc
	v_cndmask_b32_e64 v37, 0, 8, s[8:9]
	v_cndmask_b32_e32 v53, v36, v51, vcc
	v_add_lshl_u32 v51, v37, v15, 2
	ds_bpermute_b32 v38, v51, v53
	ds_bpermute_b32 v39, v51, v5
	v_cndmask_b32_e32 v4, v36, v4, vcc
	;; [unrolled: 12-line block ×3, first 2 shown]
	v_add_u32_e32 v54, 16, v45
	v_cmp_gt_u32_e32 vcc, v54, v9
	v_add_u32_e32 v56, 32, v45
	s_waitcnt lgkmcnt(0)
	v_lshl_add_u64 v[36:37], v[38:39], 0, v[4:5]
	v_cndmask_b32_e32 v38, v36, v55, vcc
	v_mov_b32_e32 v55, 0x80
	v_cndmask_b32_e32 v39, v37, v5, vcc
	v_lshl_or_b32 v55, v15, 2, v55
	ds_bpermute_b32 v38, v55, v38
	ds_bpermute_b32 v39, v55, v39
	s_and_saveexec_b64 s[8:9], s[0:1]
	s_cbranch_execz .LBB209_44
; %bb.43:
	v_cndmask_b32_e32 v5, v37, v5, vcc
	v_cndmask_b32_e32 v4, v36, v4, vcc
	v_cmp_le_u32_e32 vcc, v56, v9
	s_waitcnt lgkmcnt(0)
	s_nop 0
	v_cndmask_b32_e32 v7, 0, v39, vcc
	v_cndmask_b32_e32 v6, 0, v38, vcc
	v_lshl_add_u64 v[6:7], v[6:7], 0, v[4:5]
.LBB209_44:
	s_or_b64 exec, exec, s[8:9]
	s_branch .LBB209_47
.LBB209_45:                             ;   in Loop: Header=BB209_47 Depth=1
	s_or_b64 exec, exec, s[8:9]
	v_subrev_u32_e32 v32, 64, v32
	v_lshl_add_u64 v[6:7], v[6:7], 0, v[4:5]
	s_mov_b64 s[0:1], 0
.LBB209_46:                             ;   in Loop: Header=BB209_47 Depth=1
	s_and_b64 vcc, exec, s[0:1]
	s_cbranch_vccnz .LBB209_55
.LBB209_47:                             ; =>This Loop Header: Depth=1
                                        ;     Child Loop BB209_50 Depth 2
	v_cmp_ne_u16_sdwa s[0:1], v8, v44 src0_sel:BYTE_0 src1_sel:DWORD
	v_mov_b64_e32 v[4:5], v[6:7]
	s_cmp_lg_u64 s[0:1], exec
	s_mov_b64 s[0:1], -1
                                        ; implicit-def: $vgpr6_vgpr7
	s_cbranch_scc1 .LBB209_46
; %bb.48:                               ;   in Loop: Header=BB209_47 Depth=1
	v_lshl_add_u64 v[36:37], v[32:33], 4, s[20:21]
	;;#ASMSTART
	global_load_dwordx4 v[6:9], v[36:37] off sc1	
s_waitcnt vmcnt(0)
	;;#ASMEND
	s_nop 0
	v_cmp_eq_u16_sdwa s[8:9], v8, v33 src0_sel:BYTE_0 src1_sel:DWORD
	s_and_saveexec_b64 s[0:1], s[8:9]
	s_cbranch_execz .LBB209_52
; %bb.49:                               ;   in Loop: Header=BB209_47 Depth=1
	s_mov_b64 s[8:9], 0
.LBB209_50:                             ;   Parent Loop BB209_47 Depth=1
                                        ; =>  This Inner Loop Header: Depth=2
	;;#ASMSTART
	global_load_dwordx4 v[6:9], v[36:37] off sc1	
s_waitcnt vmcnt(0)
	;;#ASMEND
	s_nop 0
	v_cmp_ne_u16_sdwa s[26:27], v8, v33 src0_sel:BYTE_0 src1_sel:DWORD
	s_or_b64 s[8:9], s[26:27], s[8:9]
	s_andn2_b64 exec, exec, s[8:9]
	s_cbranch_execnz .LBB209_50
; %bb.51:                               ;   in Loop: Header=BB209_47 Depth=1
	s_or_b64 exec, exec, s[8:9]
.LBB209_52:                             ;   in Loop: Header=BB209_47 Depth=1
	s_or_b64 exec, exec, s[0:1]
	v_cmp_eq_u16_sdwa s[0:1], v8, v44 src0_sel:BYTE_0 src1_sel:DWORD
	s_waitcnt lgkmcnt(0)
	ds_bpermute_b32 v39, v46, v7
	v_mov_b32_e32 v38, v33
	v_and_b32_e32 v36, s0, v34
	v_and_b32_e32 v9, s1, v35
	v_ffbl_b32_e32 v37, v36
	ds_bpermute_b32 v36, v46, v6
	v_or_b32_e32 v9, 0x80000000, v9
	v_ffbl_b32_e32 v9, v9
	v_add_u32_e32 v9, 32, v9
	v_min_u32_e32 v9, v37, v9
	v_mov_b32_e32 v37, v33
	s_waitcnt lgkmcnt(0)
	v_lshl_add_u64 v[36:37], v[6:7], 0, v[36:37]
	v_lshl_add_u64 v[38:39], v[38:39], 0, v[36:37]
	v_cmp_lt_u32_e64 s[0:1], v45, v9
	v_cmp_gt_u32_e32 vcc, v48, v9
	s_nop 0
	v_cndmask_b32_e64 v57, v6, v36, s[0:1]
	v_cndmask_b32_e64 v37, v7, v39, s[0:1]
	ds_bpermute_b32 v58, v47, v57
	ds_bpermute_b32 v59, v47, v37
	v_cndmask_b32_e64 v36, v6, v38, s[0:1]
	s_waitcnt lgkmcnt(0)
	v_lshl_add_u64 v[38:39], v[58:59], 0, v[36:37]
	v_cndmask_b32_e32 v57, v38, v57, vcc
	v_cndmask_b32_e32 v37, v39, v37, vcc
	ds_bpermute_b32 v58, v49, v57
	ds_bpermute_b32 v59, v49, v37
	v_cndmask_b32_e32 v36, v38, v36, vcc
	v_cmp_gt_u32_e32 vcc, v50, v9
	s_waitcnt lgkmcnt(0)
	v_lshl_add_u64 v[38:39], v[58:59], 0, v[36:37]
	v_cndmask_b32_e32 v57, v38, v57, vcc
	v_cndmask_b32_e32 v37, v39, v37, vcc
	ds_bpermute_b32 v58, v51, v57
	ds_bpermute_b32 v59, v51, v37
	v_cndmask_b32_e32 v36, v38, v36, vcc
	v_cmp_gt_u32_e32 vcc, v52, v9
	;; [unrolled: 8-line block ×3, first 2 shown]
	s_waitcnt lgkmcnt(0)
	v_lshl_add_u64 v[38:39], v[58:59], 0, v[36:37]
	v_cndmask_b32_e32 v58, v39, v37, vcc
	v_cndmask_b32_e32 v57, v38, v57, vcc
	ds_bpermute_b32 v57, v55, v57
	ds_bpermute_b32 v58, v55, v58
	s_and_saveexec_b64 s[8:9], s[0:1]
	s_cbranch_execz .LBB209_45
; %bb.53:                               ;   in Loop: Header=BB209_47 Depth=1
	v_cndmask_b32_e32 v7, v39, v37, vcc
	v_cndmask_b32_e32 v6, v38, v36, vcc
	v_cmp_le_u32_e32 vcc, v56, v9
	s_waitcnt lgkmcnt(0)
	s_nop 0
	v_cndmask_b32_e32 v37, 0, v58, vcc
	v_cndmask_b32_e32 v36, 0, v57, vcc
	v_lshl_add_u64 v[6:7], v[36:37], 0, v[6:7]
	s_branch .LBB209_45
.LBB209_54:
                                        ; implicit-def: $vgpr6_vgpr7
                                        ; implicit-def: $vgpr8_vgpr9
                                        ; implicit-def: $vgpr30_vgpr31
                                        ; implicit-def: $vgpr32_vgpr33
                                        ; implicit-def: $vgpr34_vgpr35
                                        ; implicit-def: $vgpr36_vgpr37
                                        ; implicit-def: $vgpr38_vgpr39
                                        ; implicit-def: $vgpr4_vgpr5
	s_cbranch_execnz .LBB209_60
	s_branch .LBB209_71
.LBB209_55:
	s_and_saveexec_b64 s[0:1], s[6:7]
	s_cbranch_execz .LBB209_57
; %bb.56:
	s_add_i32 s8, s24, 64
	s_mov_b32 s9, 0
	s_lshl_b64 s[8:9], s[8:9], 4
	s_add_u32 s8, s20, s8
	s_addc_u32 s9, s21, s9
	v_lshl_add_u64 v[6:7], v[4:5], 0, v[2:3]
	v_mov_b32_e32 v8, 2
	v_mov_b32_e32 v9, 0
	v_mov_b64_e32 v[32:33], s[8:9]
	;;#ASMSTART
	global_store_dwordx4 v[32:33], v[6:9] off sc1	
s_waitcnt vmcnt(0)
	;;#ASMEND
	ds_write_b128 v9, v[2:5] offset:7168
.LBB209_57:
	s_or_b64 exec, exec, s[0:1]
	s_and_b64 exec, exec, s[10:11]
; %bb.58:
	v_mov_b32_e32 v2, 0
	ds_write_b64 v2, v[4:5] offset:8
.LBB209_59:
	s_or_b64 exec, exec, s[22:23]
	v_mov_b32_e32 v6, 0
	s_waitcnt lgkmcnt(0)
	s_barrier
	ds_read_b64 v[2:3], v6 offset:8
	v_cndmask_b32_e64 v4, v42, v30, s[6:7]
	v_cndmask_b32_e64 v5, v43, v31, s[6:7]
	;; [unrolled: 1-line block ×4, first 2 shown]
	s_waitcnt lgkmcnt(0)
	v_lshl_add_u64 v[38:39], v[2:3], 0, v[4:5]
	v_lshl_add_u64 v[36:37], v[38:39], 0, v[26:27]
	;; [unrolled: 1-line block ×3, first 2 shown]
	s_barrier
	ds_read_b128 v[2:5], v6 offset:7168
	v_lshl_add_u64 v[32:33], v[34:35], 0, v[22:23]
	v_lshl_add_u64 v[30:31], v[32:33], 0, v[20:21]
	;; [unrolled: 1-line block ×4, first 2 shown]
	s_branch .LBB209_71
.LBB209_60:
	s_waitcnt lgkmcnt(0)
	v_mov_b32_e32 v4, 0
	v_mov_b32_dpp v2, v28 row_shr:1 row_mask:0xf bank_mask:0xf
	v_mov_b32_e32 v3, v4
	v_mov_b32_dpp v5, v4 row_shr:1 row_mask:0xf bank_mask:0xf
	v_lshl_add_u64 v[2:3], v[28:29], 0, v[2:3]
	v_lshl_add_u64 v[4:5], v[4:5], 0, v[2:3]
	v_cndmask_b32_e64 v6, v5, 0, s[4:5]
	v_cndmask_b32_e64 v7, v2, v28, s[4:5]
	;; [unrolled: 1-line block ×4, first 2 shown]
	v_mov_b32_dpp v4, v7 row_shr:2 row_mask:0xf bank_mask:0xf
	v_mov_b32_dpp v5, v6 row_shr:2 row_mask:0xf bank_mask:0xf
	v_lshl_add_u64 v[4:5], v[4:5], 0, v[2:3]
	v_cndmask_b32_e64 v6, v6, v5, s[2:3]
	v_cndmask_b32_e64 v7, v7, v4, s[2:3]
	;; [unrolled: 1-line block ×4, first 2 shown]
	v_mov_b32_dpp v4, v7 row_shr:4 row_mask:0xf bank_mask:0xf
	v_mov_b32_dpp v5, v6 row_shr:4 row_mask:0xf bank_mask:0xf
	v_lshl_add_u64 v[4:5], v[4:5], 0, v[2:3]
	v_cmp_lt_u32_e32 vcc, 3, v41
	v_cmp_eq_u32_e64 s[0:1], 0, v40
	v_cmp_ne_u32_e64 s[2:3], 0, v15
	v_cndmask_b32_e32 v6, v6, v5, vcc
	v_cndmask_b32_e32 v7, v7, v4, vcc
	;; [unrolled: 1-line block ×4, first 2 shown]
	v_mov_b32_dpp v4, v7 row_shr:8 row_mask:0xf bank_mask:0xf
	v_mov_b32_dpp v5, v6 row_shr:8 row_mask:0xf bank_mask:0xf
	v_lshl_add_u64 v[4:5], v[4:5], 0, v[2:3]
	v_cmp_lt_u32_e32 vcc, 7, v41
	s_nop 1
	v_cndmask_b32_e32 v6, v6, v5, vcc
	v_cndmask_b32_e32 v7, v7, v4, vcc
	;; [unrolled: 1-line block ×4, first 2 shown]
	v_mov_b32_dpp v4, v7 row_bcast:15 row_mask:0xf bank_mask:0xf
	v_mov_b32_dpp v5, v6 row_bcast:15 row_mask:0xf bank_mask:0xf
	v_lshl_add_u64 v[4:5], v[4:5], 0, v[2:3]
	v_cndmask_b32_e64 v8, v5, v6, s[0:1]
	v_cndmask_b32_e64 v6, v4, v7, s[0:1]
	v_cmp_eq_u32_e32 vcc, 0, v15
	v_mov_b32_dpp v7, v8 row_bcast:31 row_mask:0xf bank_mask:0xf
	v_mov_b32_dpp v6, v6 row_bcast:31 row_mask:0xf bank_mask:0xf
	s_and_saveexec_b64 s[4:5], s[2:3]
; %bb.61:
	v_cndmask_b32_e64 v3, v5, v3, s[0:1]
	v_cndmask_b32_e64 v2, v4, v2, s[0:1]
	v_cmp_lt_u32_e64 s[0:1], 31, v15
	s_nop 1
	v_cndmask_b32_e64 v5, 0, v7, s[0:1]
	v_cndmask_b32_e64 v4, 0, v6, s[0:1]
	v_lshl_add_u64 v[28:29], v[4:5], 0, v[2:3]
; %bb.62:
	s_or_b64 exec, exec, s[4:5]
	v_or_b32_e32 v3, 63, v0
	v_lshrrev_b32_e32 v2, 6, v0
	v_cmp_eq_u32_e64 s[0:1], v0, v3
	s_and_saveexec_b64 s[2:3], s[0:1]
; %bb.63:
	v_lshlrev_b32_e32 v3, 3, v2
	ds_write_b64 v3, v[28:29]
; %bb.64:
	s_or_b64 exec, exec, s[2:3]
	v_cmp_gt_u32_e64 s[0:1], 2, v0
	s_waitcnt lgkmcnt(0)
	s_barrier
	s_and_saveexec_b64 s[2:3], s[0:1]
	s_cbranch_execz .LBB209_66
; %bb.65:
	v_add_u32_e32 v1, v1, v0
	ds_read_b64 v[4:5], v1
	v_and_b32_e32 v3, 1, v15
	v_cmp_eq_u32_e64 s[0:1], 1, v3
	s_waitcnt lgkmcnt(0)
	v_mov_b32_dpp v6, v4 row_shr:1 row_mask:0xf bank_mask:0xf
	v_mov_b32_dpp v7, v5 row_shr:1 row_mask:0xf bank_mask:0xf
	v_cndmask_b32_e64 v7, 0, v7, s[0:1]
	v_cndmask_b32_e64 v6, 0, v6, s[0:1]
	v_lshl_add_u64 v[4:5], v[6:7], 0, v[4:5]
	ds_write_b64 v1, v[4:5]
.LBB209_66:
	s_or_b64 exec, exec, s[2:3]
	v_cmp_lt_u32_e64 s[0:1], 63, v0
	v_mov_b64_e32 v[6:7], 0
	s_waitcnt lgkmcnt(0)
	s_barrier
	s_and_saveexec_b64 s[2:3], s[0:1]
; %bb.67:
	v_lshl_add_u32 v1, v2, 3, -8
	ds_read_b64 v[6:7], v1
; %bb.68:
	s_or_b64 exec, exec, s[2:3]
	v_add_u32_e32 v1, -1, v15
	v_and_b32_e32 v4, 64, v15
	v_cmp_lt_i32_e64 s[0:1], v1, v4
	s_waitcnt lgkmcnt(0)
	v_lshl_add_u64 v[2:3], v[6:7], 0, v[28:29]
	v_mov_b32_e32 v5, 0
	v_cndmask_b32_e64 v1, v1, v15, s[0:1]
	v_lshlrev_b32_e32 v4, 2, v1
	ds_bpermute_b32 v1, v4, v2
	ds_bpermute_b32 v8, v4, v3
	ds_read_b64 v[2:3], v5 offset:8
	s_and_saveexec_b64 s[0:1], s[10:11]
	s_cbranch_execz .LBB209_70
; %bb.69:
	s_add_u32 s2, s20, 0x400
	s_addc_u32 s3, s21, 0
	v_mov_b32_e32 v4, 2
	v_mov_b64_e32 v[28:29], s[2:3]
	s_waitcnt lgkmcnt(0)
	;;#ASMSTART
	global_store_dwordx4 v[28:29], v[2:5] off sc1	
s_waitcnt vmcnt(0)
	;;#ASMEND
.LBB209_70:
	s_or_b64 exec, exec, s[0:1]
	s_waitcnt lgkmcnt(2)
	v_cndmask_b32_e32 v1, v1, v6, vcc
	s_waitcnt lgkmcnt(1)
	v_cndmask_b32_e32 v4, v8, v7, vcc
	v_cndmask_b32_e64 v39, v4, 0, s[10:11]
	v_cndmask_b32_e64 v38, v1, 0, s[10:11]
	v_lshl_add_u64 v[36:37], v[38:39], 0, v[26:27]
	v_lshl_add_u64 v[34:35], v[36:37], 0, v[24:25]
	;; [unrolled: 1-line block ×6, first 2 shown]
	s_waitcnt lgkmcnt(0)
	s_barrier
	v_mov_b64_e32 v[4:5], 0
.LBB209_71:
	s_mov_b64 s[0:1], 0x81
	s_waitcnt lgkmcnt(0)
	v_cmp_gt_u64_e32 vcc, s[0:1], v[2:3]
	s_mov_b64 s[2:3], -1
	v_lshl_add_u64 v[28:29], v[4:5], 0, v[2:3]
	v_cmp_eq_u32_e64 s[0:1], 1, v26
	s_cbranch_vccnz .LBB209_75
; %bb.72:
	s_and_b64 vcc, exec, s[2:3]
	s_cbranch_vccnz .LBB209_90
.LBB209_73:
	s_and_b64 s[0:1], s[10:11], s[14:15]
	s_and_saveexec_b64 s[2:3], s[0:1]
	s_cbranch_execnz .LBB209_101
.LBB209_74:
	s_endpgm
.LBB209_75:
	v_cmp_lt_u64_e32 vcc, v[38:39], v[28:29]
	s_or_b64 s[2:3], s[18:19], vcc
	s_and_b64 s[2:3], s[2:3], s[0:1]
	s_and_saveexec_b64 s[0:1], s[2:3]
	s_cbranch_execz .LBB209_77
; %bb.76:
	s_waitcnt vmcnt(0)
	v_lshlrev_b64 v[40:41], 3, v[10:11]
	v_lshl_add_u64 v[40:41], s[16:17], 0, v[40:41]
	v_lshl_add_u64 v[40:41], v[38:39], 3, v[40:41]
	global_store_dwordx2 v[40:41], v[68:69], off
.LBB209_77:
	s_or_b64 exec, exec, s[0:1]
	v_cmp_lt_u64_e32 vcc, v[36:37], v[28:29]
	s_or_b64 s[0:1], s[18:19], vcc
	v_cmp_eq_u32_e32 vcc, 1, v24
	s_and_b64 s[2:3], s[0:1], vcc
	s_and_saveexec_b64 s[0:1], s[2:3]
	s_cbranch_execz .LBB209_79
; %bb.78:
	s_waitcnt vmcnt(0)
	v_lshlrev_b64 v[40:41], 3, v[10:11]
	v_lshl_add_u64 v[40:41], s[16:17], 0, v[40:41]
	v_lshl_add_u64 v[40:41], v[36:37], 3, v[40:41]
	global_store_dwordx2 v[40:41], v[70:71], off
.LBB209_79:
	s_or_b64 exec, exec, s[0:1]
	v_cmp_lt_u64_e32 vcc, v[34:35], v[28:29]
	s_or_b64 s[0:1], s[18:19], vcc
	v_cmp_eq_u32_e32 vcc, 1, v22
	s_and_b64 s[2:3], s[0:1], vcc
	;; [unrolled: 14-line block ×6, first 2 shown]
	s_and_saveexec_b64 s[0:1], s[2:3]
	s_cbranch_execz .LBB209_89
; %bb.88:
	s_waitcnt vmcnt(0)
	v_lshlrev_b64 v[40:41], 3, v[10:11]
	v_lshl_add_u64 v[40:41], s[16:17], 0, v[40:41]
	v_lshl_add_u64 v[40:41], v[6:7], 3, v[40:41]
	global_store_dwordx2 v[40:41], v[12:13], off
.LBB209_89:
	s_or_b64 exec, exec, s[0:1]
	s_branch .LBB209_73
.LBB209_90:
	v_cmp_eq_u32_e32 vcc, 1, v26
	s_and_saveexec_b64 s[0:1], vcc
	s_cbranch_execnz .LBB209_102
; %bb.91:
	s_or_b64 exec, exec, s[0:1]
	v_cmp_eq_u32_e32 vcc, 1, v24
	s_and_saveexec_b64 s[0:1], vcc
	s_cbranch_execnz .LBB209_103
.LBB209_92:
	s_or_b64 exec, exec, s[0:1]
	v_cmp_eq_u32_e32 vcc, 1, v22
	s_and_saveexec_b64 s[0:1], vcc
	s_cbranch_execnz .LBB209_104
.LBB209_93:
	s_or_b64 exec, exec, s[0:1]
	v_cmp_eq_u32_e32 vcc, 1, v20
	s_and_saveexec_b64 s[0:1], vcc
	s_cbranch_execnz .LBB209_105
.LBB209_94:
	s_or_b64 exec, exec, s[0:1]
	v_cmp_eq_u32_e32 vcc, 1, v18
	s_and_saveexec_b64 s[0:1], vcc
	s_cbranch_execnz .LBB209_106
.LBB209_95:
	s_or_b64 exec, exec, s[0:1]
	v_cmp_eq_u32_e32 vcc, 1, v16
	s_and_saveexec_b64 s[0:1], vcc
	s_cbranch_execnz .LBB209_107
.LBB209_96:
	s_or_b64 exec, exec, s[0:1]
	v_cmp_eq_u32_e32 vcc, 1, v14
	s_and_saveexec_b64 s[0:1], vcc
.LBB209_97:
	v_sub_u32_e32 v1, v6, v4
	v_lshlrev_b32_e32 v1, 3, v1
	ds_write_b64 v1, v[12:13]
.LBB209_98:
	s_or_b64 exec, exec, s[0:1]
	v_lshlrev_b64 v[4:5], 3, v[4:5]
	v_mov_b32_e32 v1, 0
	v_lshl_add_u64 v[4:5], s[16:17], 0, v[4:5]
	s_waitcnt vmcnt(0)
	v_lshlrev_b64 v[8:9], 3, v[10:11]
	v_mov_b64_e32 v[6:7], v[0:1]
	v_lshl_add_u64 v[4:5], v[4:5], 0, v[8:9]
	v_or_b32_e32 v0, 0x80, v0
	s_mov_b64 s[0:1], 0
	s_waitcnt lgkmcnt(0)
	s_barrier
.LBB209_99:                             ; =>This Inner Loop Header: Depth=1
	v_lshlrev_b32_e32 v12, 3, v6
	ds_read_b64 v[12:13], v12
	v_cmp_le_u64_e32 vcc, v[2:3], v[0:1]
	v_lshl_add_u64 v[8:9], v[6:7], 3, v[4:5]
	v_mov_b64_e32 v[6:7], v[0:1]
	v_add_u32_e32 v0, 0x80, v0
	s_or_b64 s[0:1], vcc, s[0:1]
	s_waitcnt lgkmcnt(0)
	global_store_dwordx2 v[8:9], v[12:13], off
	s_andn2_b64 exec, exec, s[0:1]
	s_cbranch_execnz .LBB209_99
; %bb.100:
	s_or_b64 exec, exec, s[0:1]
	s_and_b64 s[0:1], s[10:11], s[14:15]
	s_and_saveexec_b64 s[2:3], s[0:1]
	s_cbranch_execz .LBB209_74
.LBB209_101:
	v_mov_b32_e32 v2, 0
	s_waitcnt vmcnt(0)
	v_lshl_add_u64 v[0:1], v[28:29], 0, v[10:11]
	global_store_dwordx2 v2, v[0:1], s[12:13]
	s_endpgm
.LBB209_102:
	v_sub_u32_e32 v1, v38, v4
	v_lshlrev_b32_e32 v1, 3, v1
	ds_write_b64 v1, v[68:69]
	s_or_b64 exec, exec, s[0:1]
	v_cmp_eq_u32_e32 vcc, 1, v24
	s_and_saveexec_b64 s[0:1], vcc
	s_cbranch_execz .LBB209_92
.LBB209_103:
	v_sub_u32_e32 v1, v36, v4
	v_lshlrev_b32_e32 v1, 3, v1
	ds_write_b64 v1, v[70:71]
	s_or_b64 exec, exec, s[0:1]
	v_cmp_eq_u32_e32 vcc, 1, v22
	s_and_saveexec_b64 s[0:1], vcc
	s_cbranch_execz .LBB209_93
.LBB209_104:
	v_sub_u32_e32 v1, v34, v4
	v_lshlrev_b32_e32 v1, 3, v1
	ds_write_b64 v1, v[64:65]
	s_or_b64 exec, exec, s[0:1]
	v_cmp_eq_u32_e32 vcc, 1, v20
	s_and_saveexec_b64 s[0:1], vcc
	s_cbranch_execz .LBB209_94
.LBB209_105:
	v_sub_u32_e32 v1, v32, v4
	v_lshlrev_b32_e32 v1, 3, v1
	ds_write_b64 v1, v[66:67]
	s_or_b64 exec, exec, s[0:1]
	v_cmp_eq_u32_e32 vcc, 1, v18
	s_and_saveexec_b64 s[0:1], vcc
	s_cbranch_execz .LBB209_95
.LBB209_106:
	v_sub_u32_e32 v1, v30, v4
	v_lshlrev_b32_e32 v1, 3, v1
	ds_write_b64 v1, v[60:61]
	s_or_b64 exec, exec, s[0:1]
	v_cmp_eq_u32_e32 vcc, 1, v16
	s_and_saveexec_b64 s[0:1], vcc
	s_cbranch_execz .LBB209_96
.LBB209_107:
	v_sub_u32_e32 v1, v8, v4
	v_lshlrev_b32_e32 v1, 3, v1
	ds_write_b64 v1, v[62:63]
	s_or_b64 exec, exec, s[0:1]
	v_cmp_eq_u32_e32 vcc, 1, v14
	s_and_saveexec_b64 s[0:1], vcc
	s_cbranch_execnz .LBB209_97
	s_branch .LBB209_98
	.section	.rodata,"a",@progbits
	.p2align	6, 0x0
	.amdhsa_kernel _ZN7rocprim17ROCPRIM_400000_NS6detail17trampoline_kernelINS0_14default_configENS1_25partition_config_selectorILNS1_17partition_subalgoE5ElNS0_10empty_typeEbEEZZNS1_14partition_implILS5_5ELb0ES3_mN6hipcub16HIPCUB_304000_NS21CountingInputIteratorIllEEPS6_NSA_22TransformInputIteratorIb7NonZeroIiEPilEENS0_5tupleIJPlS6_EEENSJ_IJSD_SD_EEES6_SK_JS6_EEE10hipError_tPvRmT3_T4_T5_T6_T7_T9_mT8_P12ihipStream_tbDpT10_ENKUlT_T0_E_clISt17integral_constantIbLb0EES15_IbLb1EEEEDaS11_S12_EUlS11_E_NS1_11comp_targetILNS1_3genE0ELNS1_11target_archE4294967295ELNS1_3gpuE0ELNS1_3repE0EEENS1_30default_config_static_selectorELNS0_4arch9wavefront6targetE1EEEvT1_
		.amdhsa_group_segment_fixed_size 7184
		.amdhsa_private_segment_fixed_size 0
		.amdhsa_kernarg_size 136
		.amdhsa_user_sgpr_count 2
		.amdhsa_user_sgpr_dispatch_ptr 0
		.amdhsa_user_sgpr_queue_ptr 0
		.amdhsa_user_sgpr_kernarg_segment_ptr 1
		.amdhsa_user_sgpr_dispatch_id 0
		.amdhsa_user_sgpr_kernarg_preload_length 0
		.amdhsa_user_sgpr_kernarg_preload_offset 0
		.amdhsa_user_sgpr_private_segment_size 0
		.amdhsa_uses_dynamic_stack 0
		.amdhsa_enable_private_segment 0
		.amdhsa_system_sgpr_workgroup_id_x 1
		.amdhsa_system_sgpr_workgroup_id_y 0
		.amdhsa_system_sgpr_workgroup_id_z 0
		.amdhsa_system_sgpr_workgroup_info 0
		.amdhsa_system_vgpr_workitem_id 0
		.amdhsa_next_free_vgpr 72
		.amdhsa_next_free_sgpr 28
		.amdhsa_accum_offset 72
		.amdhsa_reserve_vcc 1
		.amdhsa_float_round_mode_32 0
		.amdhsa_float_round_mode_16_64 0
		.amdhsa_float_denorm_mode_32 3
		.amdhsa_float_denorm_mode_16_64 3
		.amdhsa_dx10_clamp 1
		.amdhsa_ieee_mode 1
		.amdhsa_fp16_overflow 0
		.amdhsa_tg_split 0
		.amdhsa_exception_fp_ieee_invalid_op 0
		.amdhsa_exception_fp_denorm_src 0
		.amdhsa_exception_fp_ieee_div_zero 0
		.amdhsa_exception_fp_ieee_overflow 0
		.amdhsa_exception_fp_ieee_underflow 0
		.amdhsa_exception_fp_ieee_inexact 0
		.amdhsa_exception_int_div_zero 0
	.end_amdhsa_kernel
	.section	.text._ZN7rocprim17ROCPRIM_400000_NS6detail17trampoline_kernelINS0_14default_configENS1_25partition_config_selectorILNS1_17partition_subalgoE5ElNS0_10empty_typeEbEEZZNS1_14partition_implILS5_5ELb0ES3_mN6hipcub16HIPCUB_304000_NS21CountingInputIteratorIllEEPS6_NSA_22TransformInputIteratorIb7NonZeroIiEPilEENS0_5tupleIJPlS6_EEENSJ_IJSD_SD_EEES6_SK_JS6_EEE10hipError_tPvRmT3_T4_T5_T6_T7_T9_mT8_P12ihipStream_tbDpT10_ENKUlT_T0_E_clISt17integral_constantIbLb0EES15_IbLb1EEEEDaS11_S12_EUlS11_E_NS1_11comp_targetILNS1_3genE0ELNS1_11target_archE4294967295ELNS1_3gpuE0ELNS1_3repE0EEENS1_30default_config_static_selectorELNS0_4arch9wavefront6targetE1EEEvT1_,"axG",@progbits,_ZN7rocprim17ROCPRIM_400000_NS6detail17trampoline_kernelINS0_14default_configENS1_25partition_config_selectorILNS1_17partition_subalgoE5ElNS0_10empty_typeEbEEZZNS1_14partition_implILS5_5ELb0ES3_mN6hipcub16HIPCUB_304000_NS21CountingInputIteratorIllEEPS6_NSA_22TransformInputIteratorIb7NonZeroIiEPilEENS0_5tupleIJPlS6_EEENSJ_IJSD_SD_EEES6_SK_JS6_EEE10hipError_tPvRmT3_T4_T5_T6_T7_T9_mT8_P12ihipStream_tbDpT10_ENKUlT_T0_E_clISt17integral_constantIbLb0EES15_IbLb1EEEEDaS11_S12_EUlS11_E_NS1_11comp_targetILNS1_3genE0ELNS1_11target_archE4294967295ELNS1_3gpuE0ELNS1_3repE0EEENS1_30default_config_static_selectorELNS0_4arch9wavefront6targetE1EEEvT1_,comdat
.Lfunc_end209:
	.size	_ZN7rocprim17ROCPRIM_400000_NS6detail17trampoline_kernelINS0_14default_configENS1_25partition_config_selectorILNS1_17partition_subalgoE5ElNS0_10empty_typeEbEEZZNS1_14partition_implILS5_5ELb0ES3_mN6hipcub16HIPCUB_304000_NS21CountingInputIteratorIllEEPS6_NSA_22TransformInputIteratorIb7NonZeroIiEPilEENS0_5tupleIJPlS6_EEENSJ_IJSD_SD_EEES6_SK_JS6_EEE10hipError_tPvRmT3_T4_T5_T6_T7_T9_mT8_P12ihipStream_tbDpT10_ENKUlT_T0_E_clISt17integral_constantIbLb0EES15_IbLb1EEEEDaS11_S12_EUlS11_E_NS1_11comp_targetILNS1_3genE0ELNS1_11target_archE4294967295ELNS1_3gpuE0ELNS1_3repE0EEENS1_30default_config_static_selectorELNS0_4arch9wavefront6targetE1EEEvT1_, .Lfunc_end209-_ZN7rocprim17ROCPRIM_400000_NS6detail17trampoline_kernelINS0_14default_configENS1_25partition_config_selectorILNS1_17partition_subalgoE5ElNS0_10empty_typeEbEEZZNS1_14partition_implILS5_5ELb0ES3_mN6hipcub16HIPCUB_304000_NS21CountingInputIteratorIllEEPS6_NSA_22TransformInputIteratorIb7NonZeroIiEPilEENS0_5tupleIJPlS6_EEENSJ_IJSD_SD_EEES6_SK_JS6_EEE10hipError_tPvRmT3_T4_T5_T6_T7_T9_mT8_P12ihipStream_tbDpT10_ENKUlT_T0_E_clISt17integral_constantIbLb0EES15_IbLb1EEEEDaS11_S12_EUlS11_E_NS1_11comp_targetILNS1_3genE0ELNS1_11target_archE4294967295ELNS1_3gpuE0ELNS1_3repE0EEENS1_30default_config_static_selectorELNS0_4arch9wavefront6targetE1EEEvT1_
                                        ; -- End function
	.set _ZN7rocprim17ROCPRIM_400000_NS6detail17trampoline_kernelINS0_14default_configENS1_25partition_config_selectorILNS1_17partition_subalgoE5ElNS0_10empty_typeEbEEZZNS1_14partition_implILS5_5ELb0ES3_mN6hipcub16HIPCUB_304000_NS21CountingInputIteratorIllEEPS6_NSA_22TransformInputIteratorIb7NonZeroIiEPilEENS0_5tupleIJPlS6_EEENSJ_IJSD_SD_EEES6_SK_JS6_EEE10hipError_tPvRmT3_T4_T5_T6_T7_T9_mT8_P12ihipStream_tbDpT10_ENKUlT_T0_E_clISt17integral_constantIbLb0EES15_IbLb1EEEEDaS11_S12_EUlS11_E_NS1_11comp_targetILNS1_3genE0ELNS1_11target_archE4294967295ELNS1_3gpuE0ELNS1_3repE0EEENS1_30default_config_static_selectorELNS0_4arch9wavefront6targetE1EEEvT1_.num_vgpr, 72
	.set _ZN7rocprim17ROCPRIM_400000_NS6detail17trampoline_kernelINS0_14default_configENS1_25partition_config_selectorILNS1_17partition_subalgoE5ElNS0_10empty_typeEbEEZZNS1_14partition_implILS5_5ELb0ES3_mN6hipcub16HIPCUB_304000_NS21CountingInputIteratorIllEEPS6_NSA_22TransformInputIteratorIb7NonZeroIiEPilEENS0_5tupleIJPlS6_EEENSJ_IJSD_SD_EEES6_SK_JS6_EEE10hipError_tPvRmT3_T4_T5_T6_T7_T9_mT8_P12ihipStream_tbDpT10_ENKUlT_T0_E_clISt17integral_constantIbLb0EES15_IbLb1EEEEDaS11_S12_EUlS11_E_NS1_11comp_targetILNS1_3genE0ELNS1_11target_archE4294967295ELNS1_3gpuE0ELNS1_3repE0EEENS1_30default_config_static_selectorELNS0_4arch9wavefront6targetE1EEEvT1_.num_agpr, 0
	.set _ZN7rocprim17ROCPRIM_400000_NS6detail17trampoline_kernelINS0_14default_configENS1_25partition_config_selectorILNS1_17partition_subalgoE5ElNS0_10empty_typeEbEEZZNS1_14partition_implILS5_5ELb0ES3_mN6hipcub16HIPCUB_304000_NS21CountingInputIteratorIllEEPS6_NSA_22TransformInputIteratorIb7NonZeroIiEPilEENS0_5tupleIJPlS6_EEENSJ_IJSD_SD_EEES6_SK_JS6_EEE10hipError_tPvRmT3_T4_T5_T6_T7_T9_mT8_P12ihipStream_tbDpT10_ENKUlT_T0_E_clISt17integral_constantIbLb0EES15_IbLb1EEEEDaS11_S12_EUlS11_E_NS1_11comp_targetILNS1_3genE0ELNS1_11target_archE4294967295ELNS1_3gpuE0ELNS1_3repE0EEENS1_30default_config_static_selectorELNS0_4arch9wavefront6targetE1EEEvT1_.numbered_sgpr, 28
	.set _ZN7rocprim17ROCPRIM_400000_NS6detail17trampoline_kernelINS0_14default_configENS1_25partition_config_selectorILNS1_17partition_subalgoE5ElNS0_10empty_typeEbEEZZNS1_14partition_implILS5_5ELb0ES3_mN6hipcub16HIPCUB_304000_NS21CountingInputIteratorIllEEPS6_NSA_22TransformInputIteratorIb7NonZeroIiEPilEENS0_5tupleIJPlS6_EEENSJ_IJSD_SD_EEES6_SK_JS6_EEE10hipError_tPvRmT3_T4_T5_T6_T7_T9_mT8_P12ihipStream_tbDpT10_ENKUlT_T0_E_clISt17integral_constantIbLb0EES15_IbLb1EEEEDaS11_S12_EUlS11_E_NS1_11comp_targetILNS1_3genE0ELNS1_11target_archE4294967295ELNS1_3gpuE0ELNS1_3repE0EEENS1_30default_config_static_selectorELNS0_4arch9wavefront6targetE1EEEvT1_.num_named_barrier, 0
	.set _ZN7rocprim17ROCPRIM_400000_NS6detail17trampoline_kernelINS0_14default_configENS1_25partition_config_selectorILNS1_17partition_subalgoE5ElNS0_10empty_typeEbEEZZNS1_14partition_implILS5_5ELb0ES3_mN6hipcub16HIPCUB_304000_NS21CountingInputIteratorIllEEPS6_NSA_22TransformInputIteratorIb7NonZeroIiEPilEENS0_5tupleIJPlS6_EEENSJ_IJSD_SD_EEES6_SK_JS6_EEE10hipError_tPvRmT3_T4_T5_T6_T7_T9_mT8_P12ihipStream_tbDpT10_ENKUlT_T0_E_clISt17integral_constantIbLb0EES15_IbLb1EEEEDaS11_S12_EUlS11_E_NS1_11comp_targetILNS1_3genE0ELNS1_11target_archE4294967295ELNS1_3gpuE0ELNS1_3repE0EEENS1_30default_config_static_selectorELNS0_4arch9wavefront6targetE1EEEvT1_.private_seg_size, 0
	.set _ZN7rocprim17ROCPRIM_400000_NS6detail17trampoline_kernelINS0_14default_configENS1_25partition_config_selectorILNS1_17partition_subalgoE5ElNS0_10empty_typeEbEEZZNS1_14partition_implILS5_5ELb0ES3_mN6hipcub16HIPCUB_304000_NS21CountingInputIteratorIllEEPS6_NSA_22TransformInputIteratorIb7NonZeroIiEPilEENS0_5tupleIJPlS6_EEENSJ_IJSD_SD_EEES6_SK_JS6_EEE10hipError_tPvRmT3_T4_T5_T6_T7_T9_mT8_P12ihipStream_tbDpT10_ENKUlT_T0_E_clISt17integral_constantIbLb0EES15_IbLb1EEEEDaS11_S12_EUlS11_E_NS1_11comp_targetILNS1_3genE0ELNS1_11target_archE4294967295ELNS1_3gpuE0ELNS1_3repE0EEENS1_30default_config_static_selectorELNS0_4arch9wavefront6targetE1EEEvT1_.uses_vcc, 1
	.set _ZN7rocprim17ROCPRIM_400000_NS6detail17trampoline_kernelINS0_14default_configENS1_25partition_config_selectorILNS1_17partition_subalgoE5ElNS0_10empty_typeEbEEZZNS1_14partition_implILS5_5ELb0ES3_mN6hipcub16HIPCUB_304000_NS21CountingInputIteratorIllEEPS6_NSA_22TransformInputIteratorIb7NonZeroIiEPilEENS0_5tupleIJPlS6_EEENSJ_IJSD_SD_EEES6_SK_JS6_EEE10hipError_tPvRmT3_T4_T5_T6_T7_T9_mT8_P12ihipStream_tbDpT10_ENKUlT_T0_E_clISt17integral_constantIbLb0EES15_IbLb1EEEEDaS11_S12_EUlS11_E_NS1_11comp_targetILNS1_3genE0ELNS1_11target_archE4294967295ELNS1_3gpuE0ELNS1_3repE0EEENS1_30default_config_static_selectorELNS0_4arch9wavefront6targetE1EEEvT1_.uses_flat_scratch, 0
	.set _ZN7rocprim17ROCPRIM_400000_NS6detail17trampoline_kernelINS0_14default_configENS1_25partition_config_selectorILNS1_17partition_subalgoE5ElNS0_10empty_typeEbEEZZNS1_14partition_implILS5_5ELb0ES3_mN6hipcub16HIPCUB_304000_NS21CountingInputIteratorIllEEPS6_NSA_22TransformInputIteratorIb7NonZeroIiEPilEENS0_5tupleIJPlS6_EEENSJ_IJSD_SD_EEES6_SK_JS6_EEE10hipError_tPvRmT3_T4_T5_T6_T7_T9_mT8_P12ihipStream_tbDpT10_ENKUlT_T0_E_clISt17integral_constantIbLb0EES15_IbLb1EEEEDaS11_S12_EUlS11_E_NS1_11comp_targetILNS1_3genE0ELNS1_11target_archE4294967295ELNS1_3gpuE0ELNS1_3repE0EEENS1_30default_config_static_selectorELNS0_4arch9wavefront6targetE1EEEvT1_.has_dyn_sized_stack, 0
	.set _ZN7rocprim17ROCPRIM_400000_NS6detail17trampoline_kernelINS0_14default_configENS1_25partition_config_selectorILNS1_17partition_subalgoE5ElNS0_10empty_typeEbEEZZNS1_14partition_implILS5_5ELb0ES3_mN6hipcub16HIPCUB_304000_NS21CountingInputIteratorIllEEPS6_NSA_22TransformInputIteratorIb7NonZeroIiEPilEENS0_5tupleIJPlS6_EEENSJ_IJSD_SD_EEES6_SK_JS6_EEE10hipError_tPvRmT3_T4_T5_T6_T7_T9_mT8_P12ihipStream_tbDpT10_ENKUlT_T0_E_clISt17integral_constantIbLb0EES15_IbLb1EEEEDaS11_S12_EUlS11_E_NS1_11comp_targetILNS1_3genE0ELNS1_11target_archE4294967295ELNS1_3gpuE0ELNS1_3repE0EEENS1_30default_config_static_selectorELNS0_4arch9wavefront6targetE1EEEvT1_.has_recursion, 0
	.set _ZN7rocprim17ROCPRIM_400000_NS6detail17trampoline_kernelINS0_14default_configENS1_25partition_config_selectorILNS1_17partition_subalgoE5ElNS0_10empty_typeEbEEZZNS1_14partition_implILS5_5ELb0ES3_mN6hipcub16HIPCUB_304000_NS21CountingInputIteratorIllEEPS6_NSA_22TransformInputIteratorIb7NonZeroIiEPilEENS0_5tupleIJPlS6_EEENSJ_IJSD_SD_EEES6_SK_JS6_EEE10hipError_tPvRmT3_T4_T5_T6_T7_T9_mT8_P12ihipStream_tbDpT10_ENKUlT_T0_E_clISt17integral_constantIbLb0EES15_IbLb1EEEEDaS11_S12_EUlS11_E_NS1_11comp_targetILNS1_3genE0ELNS1_11target_archE4294967295ELNS1_3gpuE0ELNS1_3repE0EEENS1_30default_config_static_selectorELNS0_4arch9wavefront6targetE1EEEvT1_.has_indirect_call, 0
	.section	.AMDGPU.csdata,"",@progbits
; Kernel info:
; codeLenInByte = 6212
; TotalNumSgprs: 34
; NumVgprs: 72
; NumAgprs: 0
; TotalNumVgprs: 72
; ScratchSize: 0
; MemoryBound: 0
; FloatMode: 240
; IeeeMode: 1
; LDSByteSize: 7184 bytes/workgroup (compile time only)
; SGPRBlocks: 4
; VGPRBlocks: 8
; NumSGPRsForWavesPerEU: 34
; NumVGPRsForWavesPerEU: 72
; AccumOffset: 72
; Occupancy: 7
; WaveLimiterHint : 1
; COMPUTE_PGM_RSRC2:SCRATCH_EN: 0
; COMPUTE_PGM_RSRC2:USER_SGPR: 2
; COMPUTE_PGM_RSRC2:TRAP_HANDLER: 0
; COMPUTE_PGM_RSRC2:TGID_X_EN: 1
; COMPUTE_PGM_RSRC2:TGID_Y_EN: 0
; COMPUTE_PGM_RSRC2:TGID_Z_EN: 0
; COMPUTE_PGM_RSRC2:TIDIG_COMP_CNT: 0
; COMPUTE_PGM_RSRC3_GFX90A:ACCUM_OFFSET: 17
; COMPUTE_PGM_RSRC3_GFX90A:TG_SPLIT: 0
	.section	.text._ZN7rocprim17ROCPRIM_400000_NS6detail17trampoline_kernelINS0_14default_configENS1_25partition_config_selectorILNS1_17partition_subalgoE5ElNS0_10empty_typeEbEEZZNS1_14partition_implILS5_5ELb0ES3_mN6hipcub16HIPCUB_304000_NS21CountingInputIteratorIllEEPS6_NSA_22TransformInputIteratorIb7NonZeroIiEPilEENS0_5tupleIJPlS6_EEENSJ_IJSD_SD_EEES6_SK_JS6_EEE10hipError_tPvRmT3_T4_T5_T6_T7_T9_mT8_P12ihipStream_tbDpT10_ENKUlT_T0_E_clISt17integral_constantIbLb0EES15_IbLb1EEEEDaS11_S12_EUlS11_E_NS1_11comp_targetILNS1_3genE5ELNS1_11target_archE942ELNS1_3gpuE9ELNS1_3repE0EEENS1_30default_config_static_selectorELNS0_4arch9wavefront6targetE1EEEvT1_,"axG",@progbits,_ZN7rocprim17ROCPRIM_400000_NS6detail17trampoline_kernelINS0_14default_configENS1_25partition_config_selectorILNS1_17partition_subalgoE5ElNS0_10empty_typeEbEEZZNS1_14partition_implILS5_5ELb0ES3_mN6hipcub16HIPCUB_304000_NS21CountingInputIteratorIllEEPS6_NSA_22TransformInputIteratorIb7NonZeroIiEPilEENS0_5tupleIJPlS6_EEENSJ_IJSD_SD_EEES6_SK_JS6_EEE10hipError_tPvRmT3_T4_T5_T6_T7_T9_mT8_P12ihipStream_tbDpT10_ENKUlT_T0_E_clISt17integral_constantIbLb0EES15_IbLb1EEEEDaS11_S12_EUlS11_E_NS1_11comp_targetILNS1_3genE5ELNS1_11target_archE942ELNS1_3gpuE9ELNS1_3repE0EEENS1_30default_config_static_selectorELNS0_4arch9wavefront6targetE1EEEvT1_,comdat
	.protected	_ZN7rocprim17ROCPRIM_400000_NS6detail17trampoline_kernelINS0_14default_configENS1_25partition_config_selectorILNS1_17partition_subalgoE5ElNS0_10empty_typeEbEEZZNS1_14partition_implILS5_5ELb0ES3_mN6hipcub16HIPCUB_304000_NS21CountingInputIteratorIllEEPS6_NSA_22TransformInputIteratorIb7NonZeroIiEPilEENS0_5tupleIJPlS6_EEENSJ_IJSD_SD_EEES6_SK_JS6_EEE10hipError_tPvRmT3_T4_T5_T6_T7_T9_mT8_P12ihipStream_tbDpT10_ENKUlT_T0_E_clISt17integral_constantIbLb0EES15_IbLb1EEEEDaS11_S12_EUlS11_E_NS1_11comp_targetILNS1_3genE5ELNS1_11target_archE942ELNS1_3gpuE9ELNS1_3repE0EEENS1_30default_config_static_selectorELNS0_4arch9wavefront6targetE1EEEvT1_ ; -- Begin function _ZN7rocprim17ROCPRIM_400000_NS6detail17trampoline_kernelINS0_14default_configENS1_25partition_config_selectorILNS1_17partition_subalgoE5ElNS0_10empty_typeEbEEZZNS1_14partition_implILS5_5ELb0ES3_mN6hipcub16HIPCUB_304000_NS21CountingInputIteratorIllEEPS6_NSA_22TransformInputIteratorIb7NonZeroIiEPilEENS0_5tupleIJPlS6_EEENSJ_IJSD_SD_EEES6_SK_JS6_EEE10hipError_tPvRmT3_T4_T5_T6_T7_T9_mT8_P12ihipStream_tbDpT10_ENKUlT_T0_E_clISt17integral_constantIbLb0EES15_IbLb1EEEEDaS11_S12_EUlS11_E_NS1_11comp_targetILNS1_3genE5ELNS1_11target_archE942ELNS1_3gpuE9ELNS1_3repE0EEENS1_30default_config_static_selectorELNS0_4arch9wavefront6targetE1EEEvT1_
	.globl	_ZN7rocprim17ROCPRIM_400000_NS6detail17trampoline_kernelINS0_14default_configENS1_25partition_config_selectorILNS1_17partition_subalgoE5ElNS0_10empty_typeEbEEZZNS1_14partition_implILS5_5ELb0ES3_mN6hipcub16HIPCUB_304000_NS21CountingInputIteratorIllEEPS6_NSA_22TransformInputIteratorIb7NonZeroIiEPilEENS0_5tupleIJPlS6_EEENSJ_IJSD_SD_EEES6_SK_JS6_EEE10hipError_tPvRmT3_T4_T5_T6_T7_T9_mT8_P12ihipStream_tbDpT10_ENKUlT_T0_E_clISt17integral_constantIbLb0EES15_IbLb1EEEEDaS11_S12_EUlS11_E_NS1_11comp_targetILNS1_3genE5ELNS1_11target_archE942ELNS1_3gpuE9ELNS1_3repE0EEENS1_30default_config_static_selectorELNS0_4arch9wavefront6targetE1EEEvT1_
	.p2align	8
	.type	_ZN7rocprim17ROCPRIM_400000_NS6detail17trampoline_kernelINS0_14default_configENS1_25partition_config_selectorILNS1_17partition_subalgoE5ElNS0_10empty_typeEbEEZZNS1_14partition_implILS5_5ELb0ES3_mN6hipcub16HIPCUB_304000_NS21CountingInputIteratorIllEEPS6_NSA_22TransformInputIteratorIb7NonZeroIiEPilEENS0_5tupleIJPlS6_EEENSJ_IJSD_SD_EEES6_SK_JS6_EEE10hipError_tPvRmT3_T4_T5_T6_T7_T9_mT8_P12ihipStream_tbDpT10_ENKUlT_T0_E_clISt17integral_constantIbLb0EES15_IbLb1EEEEDaS11_S12_EUlS11_E_NS1_11comp_targetILNS1_3genE5ELNS1_11target_archE942ELNS1_3gpuE9ELNS1_3repE0EEENS1_30default_config_static_selectorELNS0_4arch9wavefront6targetE1EEEvT1_,@function
_ZN7rocprim17ROCPRIM_400000_NS6detail17trampoline_kernelINS0_14default_configENS1_25partition_config_selectorILNS1_17partition_subalgoE5ElNS0_10empty_typeEbEEZZNS1_14partition_implILS5_5ELb0ES3_mN6hipcub16HIPCUB_304000_NS21CountingInputIteratorIllEEPS6_NSA_22TransformInputIteratorIb7NonZeroIiEPilEENS0_5tupleIJPlS6_EEENSJ_IJSD_SD_EEES6_SK_JS6_EEE10hipError_tPvRmT3_T4_T5_T6_T7_T9_mT8_P12ihipStream_tbDpT10_ENKUlT_T0_E_clISt17integral_constantIbLb0EES15_IbLb1EEEEDaS11_S12_EUlS11_E_NS1_11comp_targetILNS1_3genE5ELNS1_11target_archE942ELNS1_3gpuE9ELNS1_3repE0EEENS1_30default_config_static_selectorELNS0_4arch9wavefront6targetE1EEEvT1_: ; @_ZN7rocprim17ROCPRIM_400000_NS6detail17trampoline_kernelINS0_14default_configENS1_25partition_config_selectorILNS1_17partition_subalgoE5ElNS0_10empty_typeEbEEZZNS1_14partition_implILS5_5ELb0ES3_mN6hipcub16HIPCUB_304000_NS21CountingInputIteratorIllEEPS6_NSA_22TransformInputIteratorIb7NonZeroIiEPilEENS0_5tupleIJPlS6_EEENSJ_IJSD_SD_EEES6_SK_JS6_EEE10hipError_tPvRmT3_T4_T5_T6_T7_T9_mT8_P12ihipStream_tbDpT10_ENKUlT_T0_E_clISt17integral_constantIbLb0EES15_IbLb1EEEEDaS11_S12_EUlS11_E_NS1_11comp_targetILNS1_3genE5ELNS1_11target_archE942ELNS1_3gpuE9ELNS1_3repE0EEENS1_30default_config_static_selectorELNS0_4arch9wavefront6targetE1EEEvT1_
; %bb.0:
	.section	.rodata,"a",@progbits
	.p2align	6, 0x0
	.amdhsa_kernel _ZN7rocprim17ROCPRIM_400000_NS6detail17trampoline_kernelINS0_14default_configENS1_25partition_config_selectorILNS1_17partition_subalgoE5ElNS0_10empty_typeEbEEZZNS1_14partition_implILS5_5ELb0ES3_mN6hipcub16HIPCUB_304000_NS21CountingInputIteratorIllEEPS6_NSA_22TransformInputIteratorIb7NonZeroIiEPilEENS0_5tupleIJPlS6_EEENSJ_IJSD_SD_EEES6_SK_JS6_EEE10hipError_tPvRmT3_T4_T5_T6_T7_T9_mT8_P12ihipStream_tbDpT10_ENKUlT_T0_E_clISt17integral_constantIbLb0EES15_IbLb1EEEEDaS11_S12_EUlS11_E_NS1_11comp_targetILNS1_3genE5ELNS1_11target_archE942ELNS1_3gpuE9ELNS1_3repE0EEENS1_30default_config_static_selectorELNS0_4arch9wavefront6targetE1EEEvT1_
		.amdhsa_group_segment_fixed_size 0
		.amdhsa_private_segment_fixed_size 0
		.amdhsa_kernarg_size 136
		.amdhsa_user_sgpr_count 2
		.amdhsa_user_sgpr_dispatch_ptr 0
		.amdhsa_user_sgpr_queue_ptr 0
		.amdhsa_user_sgpr_kernarg_segment_ptr 1
		.amdhsa_user_sgpr_dispatch_id 0
		.amdhsa_user_sgpr_kernarg_preload_length 0
		.amdhsa_user_sgpr_kernarg_preload_offset 0
		.amdhsa_user_sgpr_private_segment_size 0
		.amdhsa_uses_dynamic_stack 0
		.amdhsa_enable_private_segment 0
		.amdhsa_system_sgpr_workgroup_id_x 1
		.amdhsa_system_sgpr_workgroup_id_y 0
		.amdhsa_system_sgpr_workgroup_id_z 0
		.amdhsa_system_sgpr_workgroup_info 0
		.amdhsa_system_vgpr_workitem_id 0
		.amdhsa_next_free_vgpr 1
		.amdhsa_next_free_sgpr 0
		.amdhsa_accum_offset 4
		.amdhsa_reserve_vcc 0
		.amdhsa_float_round_mode_32 0
		.amdhsa_float_round_mode_16_64 0
		.amdhsa_float_denorm_mode_32 3
		.amdhsa_float_denorm_mode_16_64 3
		.amdhsa_dx10_clamp 1
		.amdhsa_ieee_mode 1
		.amdhsa_fp16_overflow 0
		.amdhsa_tg_split 0
		.amdhsa_exception_fp_ieee_invalid_op 0
		.amdhsa_exception_fp_denorm_src 0
		.amdhsa_exception_fp_ieee_div_zero 0
		.amdhsa_exception_fp_ieee_overflow 0
		.amdhsa_exception_fp_ieee_underflow 0
		.amdhsa_exception_fp_ieee_inexact 0
		.amdhsa_exception_int_div_zero 0
	.end_amdhsa_kernel
	.section	.text._ZN7rocprim17ROCPRIM_400000_NS6detail17trampoline_kernelINS0_14default_configENS1_25partition_config_selectorILNS1_17partition_subalgoE5ElNS0_10empty_typeEbEEZZNS1_14partition_implILS5_5ELb0ES3_mN6hipcub16HIPCUB_304000_NS21CountingInputIteratorIllEEPS6_NSA_22TransformInputIteratorIb7NonZeroIiEPilEENS0_5tupleIJPlS6_EEENSJ_IJSD_SD_EEES6_SK_JS6_EEE10hipError_tPvRmT3_T4_T5_T6_T7_T9_mT8_P12ihipStream_tbDpT10_ENKUlT_T0_E_clISt17integral_constantIbLb0EES15_IbLb1EEEEDaS11_S12_EUlS11_E_NS1_11comp_targetILNS1_3genE5ELNS1_11target_archE942ELNS1_3gpuE9ELNS1_3repE0EEENS1_30default_config_static_selectorELNS0_4arch9wavefront6targetE1EEEvT1_,"axG",@progbits,_ZN7rocprim17ROCPRIM_400000_NS6detail17trampoline_kernelINS0_14default_configENS1_25partition_config_selectorILNS1_17partition_subalgoE5ElNS0_10empty_typeEbEEZZNS1_14partition_implILS5_5ELb0ES3_mN6hipcub16HIPCUB_304000_NS21CountingInputIteratorIllEEPS6_NSA_22TransformInputIteratorIb7NonZeroIiEPilEENS0_5tupleIJPlS6_EEENSJ_IJSD_SD_EEES6_SK_JS6_EEE10hipError_tPvRmT3_T4_T5_T6_T7_T9_mT8_P12ihipStream_tbDpT10_ENKUlT_T0_E_clISt17integral_constantIbLb0EES15_IbLb1EEEEDaS11_S12_EUlS11_E_NS1_11comp_targetILNS1_3genE5ELNS1_11target_archE942ELNS1_3gpuE9ELNS1_3repE0EEENS1_30default_config_static_selectorELNS0_4arch9wavefront6targetE1EEEvT1_,comdat
.Lfunc_end210:
	.size	_ZN7rocprim17ROCPRIM_400000_NS6detail17trampoline_kernelINS0_14default_configENS1_25partition_config_selectorILNS1_17partition_subalgoE5ElNS0_10empty_typeEbEEZZNS1_14partition_implILS5_5ELb0ES3_mN6hipcub16HIPCUB_304000_NS21CountingInputIteratorIllEEPS6_NSA_22TransformInputIteratorIb7NonZeroIiEPilEENS0_5tupleIJPlS6_EEENSJ_IJSD_SD_EEES6_SK_JS6_EEE10hipError_tPvRmT3_T4_T5_T6_T7_T9_mT8_P12ihipStream_tbDpT10_ENKUlT_T0_E_clISt17integral_constantIbLb0EES15_IbLb1EEEEDaS11_S12_EUlS11_E_NS1_11comp_targetILNS1_3genE5ELNS1_11target_archE942ELNS1_3gpuE9ELNS1_3repE0EEENS1_30default_config_static_selectorELNS0_4arch9wavefront6targetE1EEEvT1_, .Lfunc_end210-_ZN7rocprim17ROCPRIM_400000_NS6detail17trampoline_kernelINS0_14default_configENS1_25partition_config_selectorILNS1_17partition_subalgoE5ElNS0_10empty_typeEbEEZZNS1_14partition_implILS5_5ELb0ES3_mN6hipcub16HIPCUB_304000_NS21CountingInputIteratorIllEEPS6_NSA_22TransformInputIteratorIb7NonZeroIiEPilEENS0_5tupleIJPlS6_EEENSJ_IJSD_SD_EEES6_SK_JS6_EEE10hipError_tPvRmT3_T4_T5_T6_T7_T9_mT8_P12ihipStream_tbDpT10_ENKUlT_T0_E_clISt17integral_constantIbLb0EES15_IbLb1EEEEDaS11_S12_EUlS11_E_NS1_11comp_targetILNS1_3genE5ELNS1_11target_archE942ELNS1_3gpuE9ELNS1_3repE0EEENS1_30default_config_static_selectorELNS0_4arch9wavefront6targetE1EEEvT1_
                                        ; -- End function
	.set _ZN7rocprim17ROCPRIM_400000_NS6detail17trampoline_kernelINS0_14default_configENS1_25partition_config_selectorILNS1_17partition_subalgoE5ElNS0_10empty_typeEbEEZZNS1_14partition_implILS5_5ELb0ES3_mN6hipcub16HIPCUB_304000_NS21CountingInputIteratorIllEEPS6_NSA_22TransformInputIteratorIb7NonZeroIiEPilEENS0_5tupleIJPlS6_EEENSJ_IJSD_SD_EEES6_SK_JS6_EEE10hipError_tPvRmT3_T4_T5_T6_T7_T9_mT8_P12ihipStream_tbDpT10_ENKUlT_T0_E_clISt17integral_constantIbLb0EES15_IbLb1EEEEDaS11_S12_EUlS11_E_NS1_11comp_targetILNS1_3genE5ELNS1_11target_archE942ELNS1_3gpuE9ELNS1_3repE0EEENS1_30default_config_static_selectorELNS0_4arch9wavefront6targetE1EEEvT1_.num_vgpr, 0
	.set _ZN7rocprim17ROCPRIM_400000_NS6detail17trampoline_kernelINS0_14default_configENS1_25partition_config_selectorILNS1_17partition_subalgoE5ElNS0_10empty_typeEbEEZZNS1_14partition_implILS5_5ELb0ES3_mN6hipcub16HIPCUB_304000_NS21CountingInputIteratorIllEEPS6_NSA_22TransformInputIteratorIb7NonZeroIiEPilEENS0_5tupleIJPlS6_EEENSJ_IJSD_SD_EEES6_SK_JS6_EEE10hipError_tPvRmT3_T4_T5_T6_T7_T9_mT8_P12ihipStream_tbDpT10_ENKUlT_T0_E_clISt17integral_constantIbLb0EES15_IbLb1EEEEDaS11_S12_EUlS11_E_NS1_11comp_targetILNS1_3genE5ELNS1_11target_archE942ELNS1_3gpuE9ELNS1_3repE0EEENS1_30default_config_static_selectorELNS0_4arch9wavefront6targetE1EEEvT1_.num_agpr, 0
	.set _ZN7rocprim17ROCPRIM_400000_NS6detail17trampoline_kernelINS0_14default_configENS1_25partition_config_selectorILNS1_17partition_subalgoE5ElNS0_10empty_typeEbEEZZNS1_14partition_implILS5_5ELb0ES3_mN6hipcub16HIPCUB_304000_NS21CountingInputIteratorIllEEPS6_NSA_22TransformInputIteratorIb7NonZeroIiEPilEENS0_5tupleIJPlS6_EEENSJ_IJSD_SD_EEES6_SK_JS6_EEE10hipError_tPvRmT3_T4_T5_T6_T7_T9_mT8_P12ihipStream_tbDpT10_ENKUlT_T0_E_clISt17integral_constantIbLb0EES15_IbLb1EEEEDaS11_S12_EUlS11_E_NS1_11comp_targetILNS1_3genE5ELNS1_11target_archE942ELNS1_3gpuE9ELNS1_3repE0EEENS1_30default_config_static_selectorELNS0_4arch9wavefront6targetE1EEEvT1_.numbered_sgpr, 0
	.set _ZN7rocprim17ROCPRIM_400000_NS6detail17trampoline_kernelINS0_14default_configENS1_25partition_config_selectorILNS1_17partition_subalgoE5ElNS0_10empty_typeEbEEZZNS1_14partition_implILS5_5ELb0ES3_mN6hipcub16HIPCUB_304000_NS21CountingInputIteratorIllEEPS6_NSA_22TransformInputIteratorIb7NonZeroIiEPilEENS0_5tupleIJPlS6_EEENSJ_IJSD_SD_EEES6_SK_JS6_EEE10hipError_tPvRmT3_T4_T5_T6_T7_T9_mT8_P12ihipStream_tbDpT10_ENKUlT_T0_E_clISt17integral_constantIbLb0EES15_IbLb1EEEEDaS11_S12_EUlS11_E_NS1_11comp_targetILNS1_3genE5ELNS1_11target_archE942ELNS1_3gpuE9ELNS1_3repE0EEENS1_30default_config_static_selectorELNS0_4arch9wavefront6targetE1EEEvT1_.num_named_barrier, 0
	.set _ZN7rocprim17ROCPRIM_400000_NS6detail17trampoline_kernelINS0_14default_configENS1_25partition_config_selectorILNS1_17partition_subalgoE5ElNS0_10empty_typeEbEEZZNS1_14partition_implILS5_5ELb0ES3_mN6hipcub16HIPCUB_304000_NS21CountingInputIteratorIllEEPS6_NSA_22TransformInputIteratorIb7NonZeroIiEPilEENS0_5tupleIJPlS6_EEENSJ_IJSD_SD_EEES6_SK_JS6_EEE10hipError_tPvRmT3_T4_T5_T6_T7_T9_mT8_P12ihipStream_tbDpT10_ENKUlT_T0_E_clISt17integral_constantIbLb0EES15_IbLb1EEEEDaS11_S12_EUlS11_E_NS1_11comp_targetILNS1_3genE5ELNS1_11target_archE942ELNS1_3gpuE9ELNS1_3repE0EEENS1_30default_config_static_selectorELNS0_4arch9wavefront6targetE1EEEvT1_.private_seg_size, 0
	.set _ZN7rocprim17ROCPRIM_400000_NS6detail17trampoline_kernelINS0_14default_configENS1_25partition_config_selectorILNS1_17partition_subalgoE5ElNS0_10empty_typeEbEEZZNS1_14partition_implILS5_5ELb0ES3_mN6hipcub16HIPCUB_304000_NS21CountingInputIteratorIllEEPS6_NSA_22TransformInputIteratorIb7NonZeroIiEPilEENS0_5tupleIJPlS6_EEENSJ_IJSD_SD_EEES6_SK_JS6_EEE10hipError_tPvRmT3_T4_T5_T6_T7_T9_mT8_P12ihipStream_tbDpT10_ENKUlT_T0_E_clISt17integral_constantIbLb0EES15_IbLb1EEEEDaS11_S12_EUlS11_E_NS1_11comp_targetILNS1_3genE5ELNS1_11target_archE942ELNS1_3gpuE9ELNS1_3repE0EEENS1_30default_config_static_selectorELNS0_4arch9wavefront6targetE1EEEvT1_.uses_vcc, 0
	.set _ZN7rocprim17ROCPRIM_400000_NS6detail17trampoline_kernelINS0_14default_configENS1_25partition_config_selectorILNS1_17partition_subalgoE5ElNS0_10empty_typeEbEEZZNS1_14partition_implILS5_5ELb0ES3_mN6hipcub16HIPCUB_304000_NS21CountingInputIteratorIllEEPS6_NSA_22TransformInputIteratorIb7NonZeroIiEPilEENS0_5tupleIJPlS6_EEENSJ_IJSD_SD_EEES6_SK_JS6_EEE10hipError_tPvRmT3_T4_T5_T6_T7_T9_mT8_P12ihipStream_tbDpT10_ENKUlT_T0_E_clISt17integral_constantIbLb0EES15_IbLb1EEEEDaS11_S12_EUlS11_E_NS1_11comp_targetILNS1_3genE5ELNS1_11target_archE942ELNS1_3gpuE9ELNS1_3repE0EEENS1_30default_config_static_selectorELNS0_4arch9wavefront6targetE1EEEvT1_.uses_flat_scratch, 0
	.set _ZN7rocprim17ROCPRIM_400000_NS6detail17trampoline_kernelINS0_14default_configENS1_25partition_config_selectorILNS1_17partition_subalgoE5ElNS0_10empty_typeEbEEZZNS1_14partition_implILS5_5ELb0ES3_mN6hipcub16HIPCUB_304000_NS21CountingInputIteratorIllEEPS6_NSA_22TransformInputIteratorIb7NonZeroIiEPilEENS0_5tupleIJPlS6_EEENSJ_IJSD_SD_EEES6_SK_JS6_EEE10hipError_tPvRmT3_T4_T5_T6_T7_T9_mT8_P12ihipStream_tbDpT10_ENKUlT_T0_E_clISt17integral_constantIbLb0EES15_IbLb1EEEEDaS11_S12_EUlS11_E_NS1_11comp_targetILNS1_3genE5ELNS1_11target_archE942ELNS1_3gpuE9ELNS1_3repE0EEENS1_30default_config_static_selectorELNS0_4arch9wavefront6targetE1EEEvT1_.has_dyn_sized_stack, 0
	.set _ZN7rocprim17ROCPRIM_400000_NS6detail17trampoline_kernelINS0_14default_configENS1_25partition_config_selectorILNS1_17partition_subalgoE5ElNS0_10empty_typeEbEEZZNS1_14partition_implILS5_5ELb0ES3_mN6hipcub16HIPCUB_304000_NS21CountingInputIteratorIllEEPS6_NSA_22TransformInputIteratorIb7NonZeroIiEPilEENS0_5tupleIJPlS6_EEENSJ_IJSD_SD_EEES6_SK_JS6_EEE10hipError_tPvRmT3_T4_T5_T6_T7_T9_mT8_P12ihipStream_tbDpT10_ENKUlT_T0_E_clISt17integral_constantIbLb0EES15_IbLb1EEEEDaS11_S12_EUlS11_E_NS1_11comp_targetILNS1_3genE5ELNS1_11target_archE942ELNS1_3gpuE9ELNS1_3repE0EEENS1_30default_config_static_selectorELNS0_4arch9wavefront6targetE1EEEvT1_.has_recursion, 0
	.set _ZN7rocprim17ROCPRIM_400000_NS6detail17trampoline_kernelINS0_14default_configENS1_25partition_config_selectorILNS1_17partition_subalgoE5ElNS0_10empty_typeEbEEZZNS1_14partition_implILS5_5ELb0ES3_mN6hipcub16HIPCUB_304000_NS21CountingInputIteratorIllEEPS6_NSA_22TransformInputIteratorIb7NonZeroIiEPilEENS0_5tupleIJPlS6_EEENSJ_IJSD_SD_EEES6_SK_JS6_EEE10hipError_tPvRmT3_T4_T5_T6_T7_T9_mT8_P12ihipStream_tbDpT10_ENKUlT_T0_E_clISt17integral_constantIbLb0EES15_IbLb1EEEEDaS11_S12_EUlS11_E_NS1_11comp_targetILNS1_3genE5ELNS1_11target_archE942ELNS1_3gpuE9ELNS1_3repE0EEENS1_30default_config_static_selectorELNS0_4arch9wavefront6targetE1EEEvT1_.has_indirect_call, 0
	.section	.AMDGPU.csdata,"",@progbits
; Kernel info:
; codeLenInByte = 0
; TotalNumSgprs: 6
; NumVgprs: 0
; NumAgprs: 0
; TotalNumVgprs: 0
; ScratchSize: 0
; MemoryBound: 0
; FloatMode: 240
; IeeeMode: 1
; LDSByteSize: 0 bytes/workgroup (compile time only)
; SGPRBlocks: 0
; VGPRBlocks: 0
; NumSGPRsForWavesPerEU: 6
; NumVGPRsForWavesPerEU: 1
; AccumOffset: 4
; Occupancy: 8
; WaveLimiterHint : 0
; COMPUTE_PGM_RSRC2:SCRATCH_EN: 0
; COMPUTE_PGM_RSRC2:USER_SGPR: 2
; COMPUTE_PGM_RSRC2:TRAP_HANDLER: 0
; COMPUTE_PGM_RSRC2:TGID_X_EN: 1
; COMPUTE_PGM_RSRC2:TGID_Y_EN: 0
; COMPUTE_PGM_RSRC2:TGID_Z_EN: 0
; COMPUTE_PGM_RSRC2:TIDIG_COMP_CNT: 0
; COMPUTE_PGM_RSRC3_GFX90A:ACCUM_OFFSET: 0
; COMPUTE_PGM_RSRC3_GFX90A:TG_SPLIT: 0
	.section	.text._ZN7rocprim17ROCPRIM_400000_NS6detail17trampoline_kernelINS0_14default_configENS1_25partition_config_selectorILNS1_17partition_subalgoE5ElNS0_10empty_typeEbEEZZNS1_14partition_implILS5_5ELb0ES3_mN6hipcub16HIPCUB_304000_NS21CountingInputIteratorIllEEPS6_NSA_22TransformInputIteratorIb7NonZeroIiEPilEENS0_5tupleIJPlS6_EEENSJ_IJSD_SD_EEES6_SK_JS6_EEE10hipError_tPvRmT3_T4_T5_T6_T7_T9_mT8_P12ihipStream_tbDpT10_ENKUlT_T0_E_clISt17integral_constantIbLb0EES15_IbLb1EEEEDaS11_S12_EUlS11_E_NS1_11comp_targetILNS1_3genE4ELNS1_11target_archE910ELNS1_3gpuE8ELNS1_3repE0EEENS1_30default_config_static_selectorELNS0_4arch9wavefront6targetE1EEEvT1_,"axG",@progbits,_ZN7rocprim17ROCPRIM_400000_NS6detail17trampoline_kernelINS0_14default_configENS1_25partition_config_selectorILNS1_17partition_subalgoE5ElNS0_10empty_typeEbEEZZNS1_14partition_implILS5_5ELb0ES3_mN6hipcub16HIPCUB_304000_NS21CountingInputIteratorIllEEPS6_NSA_22TransformInputIteratorIb7NonZeroIiEPilEENS0_5tupleIJPlS6_EEENSJ_IJSD_SD_EEES6_SK_JS6_EEE10hipError_tPvRmT3_T4_T5_T6_T7_T9_mT8_P12ihipStream_tbDpT10_ENKUlT_T0_E_clISt17integral_constantIbLb0EES15_IbLb1EEEEDaS11_S12_EUlS11_E_NS1_11comp_targetILNS1_3genE4ELNS1_11target_archE910ELNS1_3gpuE8ELNS1_3repE0EEENS1_30default_config_static_selectorELNS0_4arch9wavefront6targetE1EEEvT1_,comdat
	.protected	_ZN7rocprim17ROCPRIM_400000_NS6detail17trampoline_kernelINS0_14default_configENS1_25partition_config_selectorILNS1_17partition_subalgoE5ElNS0_10empty_typeEbEEZZNS1_14partition_implILS5_5ELb0ES3_mN6hipcub16HIPCUB_304000_NS21CountingInputIteratorIllEEPS6_NSA_22TransformInputIteratorIb7NonZeroIiEPilEENS0_5tupleIJPlS6_EEENSJ_IJSD_SD_EEES6_SK_JS6_EEE10hipError_tPvRmT3_T4_T5_T6_T7_T9_mT8_P12ihipStream_tbDpT10_ENKUlT_T0_E_clISt17integral_constantIbLb0EES15_IbLb1EEEEDaS11_S12_EUlS11_E_NS1_11comp_targetILNS1_3genE4ELNS1_11target_archE910ELNS1_3gpuE8ELNS1_3repE0EEENS1_30default_config_static_selectorELNS0_4arch9wavefront6targetE1EEEvT1_ ; -- Begin function _ZN7rocprim17ROCPRIM_400000_NS6detail17trampoline_kernelINS0_14default_configENS1_25partition_config_selectorILNS1_17partition_subalgoE5ElNS0_10empty_typeEbEEZZNS1_14partition_implILS5_5ELb0ES3_mN6hipcub16HIPCUB_304000_NS21CountingInputIteratorIllEEPS6_NSA_22TransformInputIteratorIb7NonZeroIiEPilEENS0_5tupleIJPlS6_EEENSJ_IJSD_SD_EEES6_SK_JS6_EEE10hipError_tPvRmT3_T4_T5_T6_T7_T9_mT8_P12ihipStream_tbDpT10_ENKUlT_T0_E_clISt17integral_constantIbLb0EES15_IbLb1EEEEDaS11_S12_EUlS11_E_NS1_11comp_targetILNS1_3genE4ELNS1_11target_archE910ELNS1_3gpuE8ELNS1_3repE0EEENS1_30default_config_static_selectorELNS0_4arch9wavefront6targetE1EEEvT1_
	.globl	_ZN7rocprim17ROCPRIM_400000_NS6detail17trampoline_kernelINS0_14default_configENS1_25partition_config_selectorILNS1_17partition_subalgoE5ElNS0_10empty_typeEbEEZZNS1_14partition_implILS5_5ELb0ES3_mN6hipcub16HIPCUB_304000_NS21CountingInputIteratorIllEEPS6_NSA_22TransformInputIteratorIb7NonZeroIiEPilEENS0_5tupleIJPlS6_EEENSJ_IJSD_SD_EEES6_SK_JS6_EEE10hipError_tPvRmT3_T4_T5_T6_T7_T9_mT8_P12ihipStream_tbDpT10_ENKUlT_T0_E_clISt17integral_constantIbLb0EES15_IbLb1EEEEDaS11_S12_EUlS11_E_NS1_11comp_targetILNS1_3genE4ELNS1_11target_archE910ELNS1_3gpuE8ELNS1_3repE0EEENS1_30default_config_static_selectorELNS0_4arch9wavefront6targetE1EEEvT1_
	.p2align	8
	.type	_ZN7rocprim17ROCPRIM_400000_NS6detail17trampoline_kernelINS0_14default_configENS1_25partition_config_selectorILNS1_17partition_subalgoE5ElNS0_10empty_typeEbEEZZNS1_14partition_implILS5_5ELb0ES3_mN6hipcub16HIPCUB_304000_NS21CountingInputIteratorIllEEPS6_NSA_22TransformInputIteratorIb7NonZeroIiEPilEENS0_5tupleIJPlS6_EEENSJ_IJSD_SD_EEES6_SK_JS6_EEE10hipError_tPvRmT3_T4_T5_T6_T7_T9_mT8_P12ihipStream_tbDpT10_ENKUlT_T0_E_clISt17integral_constantIbLb0EES15_IbLb1EEEEDaS11_S12_EUlS11_E_NS1_11comp_targetILNS1_3genE4ELNS1_11target_archE910ELNS1_3gpuE8ELNS1_3repE0EEENS1_30default_config_static_selectorELNS0_4arch9wavefront6targetE1EEEvT1_,@function
_ZN7rocprim17ROCPRIM_400000_NS6detail17trampoline_kernelINS0_14default_configENS1_25partition_config_selectorILNS1_17partition_subalgoE5ElNS0_10empty_typeEbEEZZNS1_14partition_implILS5_5ELb0ES3_mN6hipcub16HIPCUB_304000_NS21CountingInputIteratorIllEEPS6_NSA_22TransformInputIteratorIb7NonZeroIiEPilEENS0_5tupleIJPlS6_EEENSJ_IJSD_SD_EEES6_SK_JS6_EEE10hipError_tPvRmT3_T4_T5_T6_T7_T9_mT8_P12ihipStream_tbDpT10_ENKUlT_T0_E_clISt17integral_constantIbLb0EES15_IbLb1EEEEDaS11_S12_EUlS11_E_NS1_11comp_targetILNS1_3genE4ELNS1_11target_archE910ELNS1_3gpuE8ELNS1_3repE0EEENS1_30default_config_static_selectorELNS0_4arch9wavefront6targetE1EEEvT1_: ; @_ZN7rocprim17ROCPRIM_400000_NS6detail17trampoline_kernelINS0_14default_configENS1_25partition_config_selectorILNS1_17partition_subalgoE5ElNS0_10empty_typeEbEEZZNS1_14partition_implILS5_5ELb0ES3_mN6hipcub16HIPCUB_304000_NS21CountingInputIteratorIllEEPS6_NSA_22TransformInputIteratorIb7NonZeroIiEPilEENS0_5tupleIJPlS6_EEENSJ_IJSD_SD_EEES6_SK_JS6_EEE10hipError_tPvRmT3_T4_T5_T6_T7_T9_mT8_P12ihipStream_tbDpT10_ENKUlT_T0_E_clISt17integral_constantIbLb0EES15_IbLb1EEEEDaS11_S12_EUlS11_E_NS1_11comp_targetILNS1_3genE4ELNS1_11target_archE910ELNS1_3gpuE8ELNS1_3repE0EEENS1_30default_config_static_selectorELNS0_4arch9wavefront6targetE1EEEvT1_
; %bb.0:
	.section	.rodata,"a",@progbits
	.p2align	6, 0x0
	.amdhsa_kernel _ZN7rocprim17ROCPRIM_400000_NS6detail17trampoline_kernelINS0_14default_configENS1_25partition_config_selectorILNS1_17partition_subalgoE5ElNS0_10empty_typeEbEEZZNS1_14partition_implILS5_5ELb0ES3_mN6hipcub16HIPCUB_304000_NS21CountingInputIteratorIllEEPS6_NSA_22TransformInputIteratorIb7NonZeroIiEPilEENS0_5tupleIJPlS6_EEENSJ_IJSD_SD_EEES6_SK_JS6_EEE10hipError_tPvRmT3_T4_T5_T6_T7_T9_mT8_P12ihipStream_tbDpT10_ENKUlT_T0_E_clISt17integral_constantIbLb0EES15_IbLb1EEEEDaS11_S12_EUlS11_E_NS1_11comp_targetILNS1_3genE4ELNS1_11target_archE910ELNS1_3gpuE8ELNS1_3repE0EEENS1_30default_config_static_selectorELNS0_4arch9wavefront6targetE1EEEvT1_
		.amdhsa_group_segment_fixed_size 0
		.amdhsa_private_segment_fixed_size 0
		.amdhsa_kernarg_size 136
		.amdhsa_user_sgpr_count 2
		.amdhsa_user_sgpr_dispatch_ptr 0
		.amdhsa_user_sgpr_queue_ptr 0
		.amdhsa_user_sgpr_kernarg_segment_ptr 1
		.amdhsa_user_sgpr_dispatch_id 0
		.amdhsa_user_sgpr_kernarg_preload_length 0
		.amdhsa_user_sgpr_kernarg_preload_offset 0
		.amdhsa_user_sgpr_private_segment_size 0
		.amdhsa_uses_dynamic_stack 0
		.amdhsa_enable_private_segment 0
		.amdhsa_system_sgpr_workgroup_id_x 1
		.amdhsa_system_sgpr_workgroup_id_y 0
		.amdhsa_system_sgpr_workgroup_id_z 0
		.amdhsa_system_sgpr_workgroup_info 0
		.amdhsa_system_vgpr_workitem_id 0
		.amdhsa_next_free_vgpr 1
		.amdhsa_next_free_sgpr 0
		.amdhsa_accum_offset 4
		.amdhsa_reserve_vcc 0
		.amdhsa_float_round_mode_32 0
		.amdhsa_float_round_mode_16_64 0
		.amdhsa_float_denorm_mode_32 3
		.amdhsa_float_denorm_mode_16_64 3
		.amdhsa_dx10_clamp 1
		.amdhsa_ieee_mode 1
		.amdhsa_fp16_overflow 0
		.amdhsa_tg_split 0
		.amdhsa_exception_fp_ieee_invalid_op 0
		.amdhsa_exception_fp_denorm_src 0
		.amdhsa_exception_fp_ieee_div_zero 0
		.amdhsa_exception_fp_ieee_overflow 0
		.amdhsa_exception_fp_ieee_underflow 0
		.amdhsa_exception_fp_ieee_inexact 0
		.amdhsa_exception_int_div_zero 0
	.end_amdhsa_kernel
	.section	.text._ZN7rocprim17ROCPRIM_400000_NS6detail17trampoline_kernelINS0_14default_configENS1_25partition_config_selectorILNS1_17partition_subalgoE5ElNS0_10empty_typeEbEEZZNS1_14partition_implILS5_5ELb0ES3_mN6hipcub16HIPCUB_304000_NS21CountingInputIteratorIllEEPS6_NSA_22TransformInputIteratorIb7NonZeroIiEPilEENS0_5tupleIJPlS6_EEENSJ_IJSD_SD_EEES6_SK_JS6_EEE10hipError_tPvRmT3_T4_T5_T6_T7_T9_mT8_P12ihipStream_tbDpT10_ENKUlT_T0_E_clISt17integral_constantIbLb0EES15_IbLb1EEEEDaS11_S12_EUlS11_E_NS1_11comp_targetILNS1_3genE4ELNS1_11target_archE910ELNS1_3gpuE8ELNS1_3repE0EEENS1_30default_config_static_selectorELNS0_4arch9wavefront6targetE1EEEvT1_,"axG",@progbits,_ZN7rocprim17ROCPRIM_400000_NS6detail17trampoline_kernelINS0_14default_configENS1_25partition_config_selectorILNS1_17partition_subalgoE5ElNS0_10empty_typeEbEEZZNS1_14partition_implILS5_5ELb0ES3_mN6hipcub16HIPCUB_304000_NS21CountingInputIteratorIllEEPS6_NSA_22TransformInputIteratorIb7NonZeroIiEPilEENS0_5tupleIJPlS6_EEENSJ_IJSD_SD_EEES6_SK_JS6_EEE10hipError_tPvRmT3_T4_T5_T6_T7_T9_mT8_P12ihipStream_tbDpT10_ENKUlT_T0_E_clISt17integral_constantIbLb0EES15_IbLb1EEEEDaS11_S12_EUlS11_E_NS1_11comp_targetILNS1_3genE4ELNS1_11target_archE910ELNS1_3gpuE8ELNS1_3repE0EEENS1_30default_config_static_selectorELNS0_4arch9wavefront6targetE1EEEvT1_,comdat
.Lfunc_end211:
	.size	_ZN7rocprim17ROCPRIM_400000_NS6detail17trampoline_kernelINS0_14default_configENS1_25partition_config_selectorILNS1_17partition_subalgoE5ElNS0_10empty_typeEbEEZZNS1_14partition_implILS5_5ELb0ES3_mN6hipcub16HIPCUB_304000_NS21CountingInputIteratorIllEEPS6_NSA_22TransformInputIteratorIb7NonZeroIiEPilEENS0_5tupleIJPlS6_EEENSJ_IJSD_SD_EEES6_SK_JS6_EEE10hipError_tPvRmT3_T4_T5_T6_T7_T9_mT8_P12ihipStream_tbDpT10_ENKUlT_T0_E_clISt17integral_constantIbLb0EES15_IbLb1EEEEDaS11_S12_EUlS11_E_NS1_11comp_targetILNS1_3genE4ELNS1_11target_archE910ELNS1_3gpuE8ELNS1_3repE0EEENS1_30default_config_static_selectorELNS0_4arch9wavefront6targetE1EEEvT1_, .Lfunc_end211-_ZN7rocprim17ROCPRIM_400000_NS6detail17trampoline_kernelINS0_14default_configENS1_25partition_config_selectorILNS1_17partition_subalgoE5ElNS0_10empty_typeEbEEZZNS1_14partition_implILS5_5ELb0ES3_mN6hipcub16HIPCUB_304000_NS21CountingInputIteratorIllEEPS6_NSA_22TransformInputIteratorIb7NonZeroIiEPilEENS0_5tupleIJPlS6_EEENSJ_IJSD_SD_EEES6_SK_JS6_EEE10hipError_tPvRmT3_T4_T5_T6_T7_T9_mT8_P12ihipStream_tbDpT10_ENKUlT_T0_E_clISt17integral_constantIbLb0EES15_IbLb1EEEEDaS11_S12_EUlS11_E_NS1_11comp_targetILNS1_3genE4ELNS1_11target_archE910ELNS1_3gpuE8ELNS1_3repE0EEENS1_30default_config_static_selectorELNS0_4arch9wavefront6targetE1EEEvT1_
                                        ; -- End function
	.set _ZN7rocprim17ROCPRIM_400000_NS6detail17trampoline_kernelINS0_14default_configENS1_25partition_config_selectorILNS1_17partition_subalgoE5ElNS0_10empty_typeEbEEZZNS1_14partition_implILS5_5ELb0ES3_mN6hipcub16HIPCUB_304000_NS21CountingInputIteratorIllEEPS6_NSA_22TransformInputIteratorIb7NonZeroIiEPilEENS0_5tupleIJPlS6_EEENSJ_IJSD_SD_EEES6_SK_JS6_EEE10hipError_tPvRmT3_T4_T5_T6_T7_T9_mT8_P12ihipStream_tbDpT10_ENKUlT_T0_E_clISt17integral_constantIbLb0EES15_IbLb1EEEEDaS11_S12_EUlS11_E_NS1_11comp_targetILNS1_3genE4ELNS1_11target_archE910ELNS1_3gpuE8ELNS1_3repE0EEENS1_30default_config_static_selectorELNS0_4arch9wavefront6targetE1EEEvT1_.num_vgpr, 0
	.set _ZN7rocprim17ROCPRIM_400000_NS6detail17trampoline_kernelINS0_14default_configENS1_25partition_config_selectorILNS1_17partition_subalgoE5ElNS0_10empty_typeEbEEZZNS1_14partition_implILS5_5ELb0ES3_mN6hipcub16HIPCUB_304000_NS21CountingInputIteratorIllEEPS6_NSA_22TransformInputIteratorIb7NonZeroIiEPilEENS0_5tupleIJPlS6_EEENSJ_IJSD_SD_EEES6_SK_JS6_EEE10hipError_tPvRmT3_T4_T5_T6_T7_T9_mT8_P12ihipStream_tbDpT10_ENKUlT_T0_E_clISt17integral_constantIbLb0EES15_IbLb1EEEEDaS11_S12_EUlS11_E_NS1_11comp_targetILNS1_3genE4ELNS1_11target_archE910ELNS1_3gpuE8ELNS1_3repE0EEENS1_30default_config_static_selectorELNS0_4arch9wavefront6targetE1EEEvT1_.num_agpr, 0
	.set _ZN7rocprim17ROCPRIM_400000_NS6detail17trampoline_kernelINS0_14default_configENS1_25partition_config_selectorILNS1_17partition_subalgoE5ElNS0_10empty_typeEbEEZZNS1_14partition_implILS5_5ELb0ES3_mN6hipcub16HIPCUB_304000_NS21CountingInputIteratorIllEEPS6_NSA_22TransformInputIteratorIb7NonZeroIiEPilEENS0_5tupleIJPlS6_EEENSJ_IJSD_SD_EEES6_SK_JS6_EEE10hipError_tPvRmT3_T4_T5_T6_T7_T9_mT8_P12ihipStream_tbDpT10_ENKUlT_T0_E_clISt17integral_constantIbLb0EES15_IbLb1EEEEDaS11_S12_EUlS11_E_NS1_11comp_targetILNS1_3genE4ELNS1_11target_archE910ELNS1_3gpuE8ELNS1_3repE0EEENS1_30default_config_static_selectorELNS0_4arch9wavefront6targetE1EEEvT1_.numbered_sgpr, 0
	.set _ZN7rocprim17ROCPRIM_400000_NS6detail17trampoline_kernelINS0_14default_configENS1_25partition_config_selectorILNS1_17partition_subalgoE5ElNS0_10empty_typeEbEEZZNS1_14partition_implILS5_5ELb0ES3_mN6hipcub16HIPCUB_304000_NS21CountingInputIteratorIllEEPS6_NSA_22TransformInputIteratorIb7NonZeroIiEPilEENS0_5tupleIJPlS6_EEENSJ_IJSD_SD_EEES6_SK_JS6_EEE10hipError_tPvRmT3_T4_T5_T6_T7_T9_mT8_P12ihipStream_tbDpT10_ENKUlT_T0_E_clISt17integral_constantIbLb0EES15_IbLb1EEEEDaS11_S12_EUlS11_E_NS1_11comp_targetILNS1_3genE4ELNS1_11target_archE910ELNS1_3gpuE8ELNS1_3repE0EEENS1_30default_config_static_selectorELNS0_4arch9wavefront6targetE1EEEvT1_.num_named_barrier, 0
	.set _ZN7rocprim17ROCPRIM_400000_NS6detail17trampoline_kernelINS0_14default_configENS1_25partition_config_selectorILNS1_17partition_subalgoE5ElNS0_10empty_typeEbEEZZNS1_14partition_implILS5_5ELb0ES3_mN6hipcub16HIPCUB_304000_NS21CountingInputIteratorIllEEPS6_NSA_22TransformInputIteratorIb7NonZeroIiEPilEENS0_5tupleIJPlS6_EEENSJ_IJSD_SD_EEES6_SK_JS6_EEE10hipError_tPvRmT3_T4_T5_T6_T7_T9_mT8_P12ihipStream_tbDpT10_ENKUlT_T0_E_clISt17integral_constantIbLb0EES15_IbLb1EEEEDaS11_S12_EUlS11_E_NS1_11comp_targetILNS1_3genE4ELNS1_11target_archE910ELNS1_3gpuE8ELNS1_3repE0EEENS1_30default_config_static_selectorELNS0_4arch9wavefront6targetE1EEEvT1_.private_seg_size, 0
	.set _ZN7rocprim17ROCPRIM_400000_NS6detail17trampoline_kernelINS0_14default_configENS1_25partition_config_selectorILNS1_17partition_subalgoE5ElNS0_10empty_typeEbEEZZNS1_14partition_implILS5_5ELb0ES3_mN6hipcub16HIPCUB_304000_NS21CountingInputIteratorIllEEPS6_NSA_22TransformInputIteratorIb7NonZeroIiEPilEENS0_5tupleIJPlS6_EEENSJ_IJSD_SD_EEES6_SK_JS6_EEE10hipError_tPvRmT3_T4_T5_T6_T7_T9_mT8_P12ihipStream_tbDpT10_ENKUlT_T0_E_clISt17integral_constantIbLb0EES15_IbLb1EEEEDaS11_S12_EUlS11_E_NS1_11comp_targetILNS1_3genE4ELNS1_11target_archE910ELNS1_3gpuE8ELNS1_3repE0EEENS1_30default_config_static_selectorELNS0_4arch9wavefront6targetE1EEEvT1_.uses_vcc, 0
	.set _ZN7rocprim17ROCPRIM_400000_NS6detail17trampoline_kernelINS0_14default_configENS1_25partition_config_selectorILNS1_17partition_subalgoE5ElNS0_10empty_typeEbEEZZNS1_14partition_implILS5_5ELb0ES3_mN6hipcub16HIPCUB_304000_NS21CountingInputIteratorIllEEPS6_NSA_22TransformInputIteratorIb7NonZeroIiEPilEENS0_5tupleIJPlS6_EEENSJ_IJSD_SD_EEES6_SK_JS6_EEE10hipError_tPvRmT3_T4_T5_T6_T7_T9_mT8_P12ihipStream_tbDpT10_ENKUlT_T0_E_clISt17integral_constantIbLb0EES15_IbLb1EEEEDaS11_S12_EUlS11_E_NS1_11comp_targetILNS1_3genE4ELNS1_11target_archE910ELNS1_3gpuE8ELNS1_3repE0EEENS1_30default_config_static_selectorELNS0_4arch9wavefront6targetE1EEEvT1_.uses_flat_scratch, 0
	.set _ZN7rocprim17ROCPRIM_400000_NS6detail17trampoline_kernelINS0_14default_configENS1_25partition_config_selectorILNS1_17partition_subalgoE5ElNS0_10empty_typeEbEEZZNS1_14partition_implILS5_5ELb0ES3_mN6hipcub16HIPCUB_304000_NS21CountingInputIteratorIllEEPS6_NSA_22TransformInputIteratorIb7NonZeroIiEPilEENS0_5tupleIJPlS6_EEENSJ_IJSD_SD_EEES6_SK_JS6_EEE10hipError_tPvRmT3_T4_T5_T6_T7_T9_mT8_P12ihipStream_tbDpT10_ENKUlT_T0_E_clISt17integral_constantIbLb0EES15_IbLb1EEEEDaS11_S12_EUlS11_E_NS1_11comp_targetILNS1_3genE4ELNS1_11target_archE910ELNS1_3gpuE8ELNS1_3repE0EEENS1_30default_config_static_selectorELNS0_4arch9wavefront6targetE1EEEvT1_.has_dyn_sized_stack, 0
	.set _ZN7rocprim17ROCPRIM_400000_NS6detail17trampoline_kernelINS0_14default_configENS1_25partition_config_selectorILNS1_17partition_subalgoE5ElNS0_10empty_typeEbEEZZNS1_14partition_implILS5_5ELb0ES3_mN6hipcub16HIPCUB_304000_NS21CountingInputIteratorIllEEPS6_NSA_22TransformInputIteratorIb7NonZeroIiEPilEENS0_5tupleIJPlS6_EEENSJ_IJSD_SD_EEES6_SK_JS6_EEE10hipError_tPvRmT3_T4_T5_T6_T7_T9_mT8_P12ihipStream_tbDpT10_ENKUlT_T0_E_clISt17integral_constantIbLb0EES15_IbLb1EEEEDaS11_S12_EUlS11_E_NS1_11comp_targetILNS1_3genE4ELNS1_11target_archE910ELNS1_3gpuE8ELNS1_3repE0EEENS1_30default_config_static_selectorELNS0_4arch9wavefront6targetE1EEEvT1_.has_recursion, 0
	.set _ZN7rocprim17ROCPRIM_400000_NS6detail17trampoline_kernelINS0_14default_configENS1_25partition_config_selectorILNS1_17partition_subalgoE5ElNS0_10empty_typeEbEEZZNS1_14partition_implILS5_5ELb0ES3_mN6hipcub16HIPCUB_304000_NS21CountingInputIteratorIllEEPS6_NSA_22TransformInputIteratorIb7NonZeroIiEPilEENS0_5tupleIJPlS6_EEENSJ_IJSD_SD_EEES6_SK_JS6_EEE10hipError_tPvRmT3_T4_T5_T6_T7_T9_mT8_P12ihipStream_tbDpT10_ENKUlT_T0_E_clISt17integral_constantIbLb0EES15_IbLb1EEEEDaS11_S12_EUlS11_E_NS1_11comp_targetILNS1_3genE4ELNS1_11target_archE910ELNS1_3gpuE8ELNS1_3repE0EEENS1_30default_config_static_selectorELNS0_4arch9wavefront6targetE1EEEvT1_.has_indirect_call, 0
	.section	.AMDGPU.csdata,"",@progbits
; Kernel info:
; codeLenInByte = 0
; TotalNumSgprs: 6
; NumVgprs: 0
; NumAgprs: 0
; TotalNumVgprs: 0
; ScratchSize: 0
; MemoryBound: 0
; FloatMode: 240
; IeeeMode: 1
; LDSByteSize: 0 bytes/workgroup (compile time only)
; SGPRBlocks: 0
; VGPRBlocks: 0
; NumSGPRsForWavesPerEU: 6
; NumVGPRsForWavesPerEU: 1
; AccumOffset: 4
; Occupancy: 8
; WaveLimiterHint : 0
; COMPUTE_PGM_RSRC2:SCRATCH_EN: 0
; COMPUTE_PGM_RSRC2:USER_SGPR: 2
; COMPUTE_PGM_RSRC2:TRAP_HANDLER: 0
; COMPUTE_PGM_RSRC2:TGID_X_EN: 1
; COMPUTE_PGM_RSRC2:TGID_Y_EN: 0
; COMPUTE_PGM_RSRC2:TGID_Z_EN: 0
; COMPUTE_PGM_RSRC2:TIDIG_COMP_CNT: 0
; COMPUTE_PGM_RSRC3_GFX90A:ACCUM_OFFSET: 0
; COMPUTE_PGM_RSRC3_GFX90A:TG_SPLIT: 0
	.section	.text._ZN7rocprim17ROCPRIM_400000_NS6detail17trampoline_kernelINS0_14default_configENS1_25partition_config_selectorILNS1_17partition_subalgoE5ElNS0_10empty_typeEbEEZZNS1_14partition_implILS5_5ELb0ES3_mN6hipcub16HIPCUB_304000_NS21CountingInputIteratorIllEEPS6_NSA_22TransformInputIteratorIb7NonZeroIiEPilEENS0_5tupleIJPlS6_EEENSJ_IJSD_SD_EEES6_SK_JS6_EEE10hipError_tPvRmT3_T4_T5_T6_T7_T9_mT8_P12ihipStream_tbDpT10_ENKUlT_T0_E_clISt17integral_constantIbLb0EES15_IbLb1EEEEDaS11_S12_EUlS11_E_NS1_11comp_targetILNS1_3genE3ELNS1_11target_archE908ELNS1_3gpuE7ELNS1_3repE0EEENS1_30default_config_static_selectorELNS0_4arch9wavefront6targetE1EEEvT1_,"axG",@progbits,_ZN7rocprim17ROCPRIM_400000_NS6detail17trampoline_kernelINS0_14default_configENS1_25partition_config_selectorILNS1_17partition_subalgoE5ElNS0_10empty_typeEbEEZZNS1_14partition_implILS5_5ELb0ES3_mN6hipcub16HIPCUB_304000_NS21CountingInputIteratorIllEEPS6_NSA_22TransformInputIteratorIb7NonZeroIiEPilEENS0_5tupleIJPlS6_EEENSJ_IJSD_SD_EEES6_SK_JS6_EEE10hipError_tPvRmT3_T4_T5_T6_T7_T9_mT8_P12ihipStream_tbDpT10_ENKUlT_T0_E_clISt17integral_constantIbLb0EES15_IbLb1EEEEDaS11_S12_EUlS11_E_NS1_11comp_targetILNS1_3genE3ELNS1_11target_archE908ELNS1_3gpuE7ELNS1_3repE0EEENS1_30default_config_static_selectorELNS0_4arch9wavefront6targetE1EEEvT1_,comdat
	.protected	_ZN7rocprim17ROCPRIM_400000_NS6detail17trampoline_kernelINS0_14default_configENS1_25partition_config_selectorILNS1_17partition_subalgoE5ElNS0_10empty_typeEbEEZZNS1_14partition_implILS5_5ELb0ES3_mN6hipcub16HIPCUB_304000_NS21CountingInputIteratorIllEEPS6_NSA_22TransformInputIteratorIb7NonZeroIiEPilEENS0_5tupleIJPlS6_EEENSJ_IJSD_SD_EEES6_SK_JS6_EEE10hipError_tPvRmT3_T4_T5_T6_T7_T9_mT8_P12ihipStream_tbDpT10_ENKUlT_T0_E_clISt17integral_constantIbLb0EES15_IbLb1EEEEDaS11_S12_EUlS11_E_NS1_11comp_targetILNS1_3genE3ELNS1_11target_archE908ELNS1_3gpuE7ELNS1_3repE0EEENS1_30default_config_static_selectorELNS0_4arch9wavefront6targetE1EEEvT1_ ; -- Begin function _ZN7rocprim17ROCPRIM_400000_NS6detail17trampoline_kernelINS0_14default_configENS1_25partition_config_selectorILNS1_17partition_subalgoE5ElNS0_10empty_typeEbEEZZNS1_14partition_implILS5_5ELb0ES3_mN6hipcub16HIPCUB_304000_NS21CountingInputIteratorIllEEPS6_NSA_22TransformInputIteratorIb7NonZeroIiEPilEENS0_5tupleIJPlS6_EEENSJ_IJSD_SD_EEES6_SK_JS6_EEE10hipError_tPvRmT3_T4_T5_T6_T7_T9_mT8_P12ihipStream_tbDpT10_ENKUlT_T0_E_clISt17integral_constantIbLb0EES15_IbLb1EEEEDaS11_S12_EUlS11_E_NS1_11comp_targetILNS1_3genE3ELNS1_11target_archE908ELNS1_3gpuE7ELNS1_3repE0EEENS1_30default_config_static_selectorELNS0_4arch9wavefront6targetE1EEEvT1_
	.globl	_ZN7rocprim17ROCPRIM_400000_NS6detail17trampoline_kernelINS0_14default_configENS1_25partition_config_selectorILNS1_17partition_subalgoE5ElNS0_10empty_typeEbEEZZNS1_14partition_implILS5_5ELb0ES3_mN6hipcub16HIPCUB_304000_NS21CountingInputIteratorIllEEPS6_NSA_22TransformInputIteratorIb7NonZeroIiEPilEENS0_5tupleIJPlS6_EEENSJ_IJSD_SD_EEES6_SK_JS6_EEE10hipError_tPvRmT3_T4_T5_T6_T7_T9_mT8_P12ihipStream_tbDpT10_ENKUlT_T0_E_clISt17integral_constantIbLb0EES15_IbLb1EEEEDaS11_S12_EUlS11_E_NS1_11comp_targetILNS1_3genE3ELNS1_11target_archE908ELNS1_3gpuE7ELNS1_3repE0EEENS1_30default_config_static_selectorELNS0_4arch9wavefront6targetE1EEEvT1_
	.p2align	8
	.type	_ZN7rocprim17ROCPRIM_400000_NS6detail17trampoline_kernelINS0_14default_configENS1_25partition_config_selectorILNS1_17partition_subalgoE5ElNS0_10empty_typeEbEEZZNS1_14partition_implILS5_5ELb0ES3_mN6hipcub16HIPCUB_304000_NS21CountingInputIteratorIllEEPS6_NSA_22TransformInputIteratorIb7NonZeroIiEPilEENS0_5tupleIJPlS6_EEENSJ_IJSD_SD_EEES6_SK_JS6_EEE10hipError_tPvRmT3_T4_T5_T6_T7_T9_mT8_P12ihipStream_tbDpT10_ENKUlT_T0_E_clISt17integral_constantIbLb0EES15_IbLb1EEEEDaS11_S12_EUlS11_E_NS1_11comp_targetILNS1_3genE3ELNS1_11target_archE908ELNS1_3gpuE7ELNS1_3repE0EEENS1_30default_config_static_selectorELNS0_4arch9wavefront6targetE1EEEvT1_,@function
_ZN7rocprim17ROCPRIM_400000_NS6detail17trampoline_kernelINS0_14default_configENS1_25partition_config_selectorILNS1_17partition_subalgoE5ElNS0_10empty_typeEbEEZZNS1_14partition_implILS5_5ELb0ES3_mN6hipcub16HIPCUB_304000_NS21CountingInputIteratorIllEEPS6_NSA_22TransformInputIteratorIb7NonZeroIiEPilEENS0_5tupleIJPlS6_EEENSJ_IJSD_SD_EEES6_SK_JS6_EEE10hipError_tPvRmT3_T4_T5_T6_T7_T9_mT8_P12ihipStream_tbDpT10_ENKUlT_T0_E_clISt17integral_constantIbLb0EES15_IbLb1EEEEDaS11_S12_EUlS11_E_NS1_11comp_targetILNS1_3genE3ELNS1_11target_archE908ELNS1_3gpuE7ELNS1_3repE0EEENS1_30default_config_static_selectorELNS0_4arch9wavefront6targetE1EEEvT1_: ; @_ZN7rocprim17ROCPRIM_400000_NS6detail17trampoline_kernelINS0_14default_configENS1_25partition_config_selectorILNS1_17partition_subalgoE5ElNS0_10empty_typeEbEEZZNS1_14partition_implILS5_5ELb0ES3_mN6hipcub16HIPCUB_304000_NS21CountingInputIteratorIllEEPS6_NSA_22TransformInputIteratorIb7NonZeroIiEPilEENS0_5tupleIJPlS6_EEENSJ_IJSD_SD_EEES6_SK_JS6_EEE10hipError_tPvRmT3_T4_T5_T6_T7_T9_mT8_P12ihipStream_tbDpT10_ENKUlT_T0_E_clISt17integral_constantIbLb0EES15_IbLb1EEEEDaS11_S12_EUlS11_E_NS1_11comp_targetILNS1_3genE3ELNS1_11target_archE908ELNS1_3gpuE7ELNS1_3repE0EEENS1_30default_config_static_selectorELNS0_4arch9wavefront6targetE1EEEvT1_
; %bb.0:
	.section	.rodata,"a",@progbits
	.p2align	6, 0x0
	.amdhsa_kernel _ZN7rocprim17ROCPRIM_400000_NS6detail17trampoline_kernelINS0_14default_configENS1_25partition_config_selectorILNS1_17partition_subalgoE5ElNS0_10empty_typeEbEEZZNS1_14partition_implILS5_5ELb0ES3_mN6hipcub16HIPCUB_304000_NS21CountingInputIteratorIllEEPS6_NSA_22TransformInputIteratorIb7NonZeroIiEPilEENS0_5tupleIJPlS6_EEENSJ_IJSD_SD_EEES6_SK_JS6_EEE10hipError_tPvRmT3_T4_T5_T6_T7_T9_mT8_P12ihipStream_tbDpT10_ENKUlT_T0_E_clISt17integral_constantIbLb0EES15_IbLb1EEEEDaS11_S12_EUlS11_E_NS1_11comp_targetILNS1_3genE3ELNS1_11target_archE908ELNS1_3gpuE7ELNS1_3repE0EEENS1_30default_config_static_selectorELNS0_4arch9wavefront6targetE1EEEvT1_
		.amdhsa_group_segment_fixed_size 0
		.amdhsa_private_segment_fixed_size 0
		.amdhsa_kernarg_size 136
		.amdhsa_user_sgpr_count 2
		.amdhsa_user_sgpr_dispatch_ptr 0
		.amdhsa_user_sgpr_queue_ptr 0
		.amdhsa_user_sgpr_kernarg_segment_ptr 1
		.amdhsa_user_sgpr_dispatch_id 0
		.amdhsa_user_sgpr_kernarg_preload_length 0
		.amdhsa_user_sgpr_kernarg_preload_offset 0
		.amdhsa_user_sgpr_private_segment_size 0
		.amdhsa_uses_dynamic_stack 0
		.amdhsa_enable_private_segment 0
		.amdhsa_system_sgpr_workgroup_id_x 1
		.amdhsa_system_sgpr_workgroup_id_y 0
		.amdhsa_system_sgpr_workgroup_id_z 0
		.amdhsa_system_sgpr_workgroup_info 0
		.amdhsa_system_vgpr_workitem_id 0
		.amdhsa_next_free_vgpr 1
		.amdhsa_next_free_sgpr 0
		.amdhsa_accum_offset 4
		.amdhsa_reserve_vcc 0
		.amdhsa_float_round_mode_32 0
		.amdhsa_float_round_mode_16_64 0
		.amdhsa_float_denorm_mode_32 3
		.amdhsa_float_denorm_mode_16_64 3
		.amdhsa_dx10_clamp 1
		.amdhsa_ieee_mode 1
		.amdhsa_fp16_overflow 0
		.amdhsa_tg_split 0
		.amdhsa_exception_fp_ieee_invalid_op 0
		.amdhsa_exception_fp_denorm_src 0
		.amdhsa_exception_fp_ieee_div_zero 0
		.amdhsa_exception_fp_ieee_overflow 0
		.amdhsa_exception_fp_ieee_underflow 0
		.amdhsa_exception_fp_ieee_inexact 0
		.amdhsa_exception_int_div_zero 0
	.end_amdhsa_kernel
	.section	.text._ZN7rocprim17ROCPRIM_400000_NS6detail17trampoline_kernelINS0_14default_configENS1_25partition_config_selectorILNS1_17partition_subalgoE5ElNS0_10empty_typeEbEEZZNS1_14partition_implILS5_5ELb0ES3_mN6hipcub16HIPCUB_304000_NS21CountingInputIteratorIllEEPS6_NSA_22TransformInputIteratorIb7NonZeroIiEPilEENS0_5tupleIJPlS6_EEENSJ_IJSD_SD_EEES6_SK_JS6_EEE10hipError_tPvRmT3_T4_T5_T6_T7_T9_mT8_P12ihipStream_tbDpT10_ENKUlT_T0_E_clISt17integral_constantIbLb0EES15_IbLb1EEEEDaS11_S12_EUlS11_E_NS1_11comp_targetILNS1_3genE3ELNS1_11target_archE908ELNS1_3gpuE7ELNS1_3repE0EEENS1_30default_config_static_selectorELNS0_4arch9wavefront6targetE1EEEvT1_,"axG",@progbits,_ZN7rocprim17ROCPRIM_400000_NS6detail17trampoline_kernelINS0_14default_configENS1_25partition_config_selectorILNS1_17partition_subalgoE5ElNS0_10empty_typeEbEEZZNS1_14partition_implILS5_5ELb0ES3_mN6hipcub16HIPCUB_304000_NS21CountingInputIteratorIllEEPS6_NSA_22TransformInputIteratorIb7NonZeroIiEPilEENS0_5tupleIJPlS6_EEENSJ_IJSD_SD_EEES6_SK_JS6_EEE10hipError_tPvRmT3_T4_T5_T6_T7_T9_mT8_P12ihipStream_tbDpT10_ENKUlT_T0_E_clISt17integral_constantIbLb0EES15_IbLb1EEEEDaS11_S12_EUlS11_E_NS1_11comp_targetILNS1_3genE3ELNS1_11target_archE908ELNS1_3gpuE7ELNS1_3repE0EEENS1_30default_config_static_selectorELNS0_4arch9wavefront6targetE1EEEvT1_,comdat
.Lfunc_end212:
	.size	_ZN7rocprim17ROCPRIM_400000_NS6detail17trampoline_kernelINS0_14default_configENS1_25partition_config_selectorILNS1_17partition_subalgoE5ElNS0_10empty_typeEbEEZZNS1_14partition_implILS5_5ELb0ES3_mN6hipcub16HIPCUB_304000_NS21CountingInputIteratorIllEEPS6_NSA_22TransformInputIteratorIb7NonZeroIiEPilEENS0_5tupleIJPlS6_EEENSJ_IJSD_SD_EEES6_SK_JS6_EEE10hipError_tPvRmT3_T4_T5_T6_T7_T9_mT8_P12ihipStream_tbDpT10_ENKUlT_T0_E_clISt17integral_constantIbLb0EES15_IbLb1EEEEDaS11_S12_EUlS11_E_NS1_11comp_targetILNS1_3genE3ELNS1_11target_archE908ELNS1_3gpuE7ELNS1_3repE0EEENS1_30default_config_static_selectorELNS0_4arch9wavefront6targetE1EEEvT1_, .Lfunc_end212-_ZN7rocprim17ROCPRIM_400000_NS6detail17trampoline_kernelINS0_14default_configENS1_25partition_config_selectorILNS1_17partition_subalgoE5ElNS0_10empty_typeEbEEZZNS1_14partition_implILS5_5ELb0ES3_mN6hipcub16HIPCUB_304000_NS21CountingInputIteratorIllEEPS6_NSA_22TransformInputIteratorIb7NonZeroIiEPilEENS0_5tupleIJPlS6_EEENSJ_IJSD_SD_EEES6_SK_JS6_EEE10hipError_tPvRmT3_T4_T5_T6_T7_T9_mT8_P12ihipStream_tbDpT10_ENKUlT_T0_E_clISt17integral_constantIbLb0EES15_IbLb1EEEEDaS11_S12_EUlS11_E_NS1_11comp_targetILNS1_3genE3ELNS1_11target_archE908ELNS1_3gpuE7ELNS1_3repE0EEENS1_30default_config_static_selectorELNS0_4arch9wavefront6targetE1EEEvT1_
                                        ; -- End function
	.set _ZN7rocprim17ROCPRIM_400000_NS6detail17trampoline_kernelINS0_14default_configENS1_25partition_config_selectorILNS1_17partition_subalgoE5ElNS0_10empty_typeEbEEZZNS1_14partition_implILS5_5ELb0ES3_mN6hipcub16HIPCUB_304000_NS21CountingInputIteratorIllEEPS6_NSA_22TransformInputIteratorIb7NonZeroIiEPilEENS0_5tupleIJPlS6_EEENSJ_IJSD_SD_EEES6_SK_JS6_EEE10hipError_tPvRmT3_T4_T5_T6_T7_T9_mT8_P12ihipStream_tbDpT10_ENKUlT_T0_E_clISt17integral_constantIbLb0EES15_IbLb1EEEEDaS11_S12_EUlS11_E_NS1_11comp_targetILNS1_3genE3ELNS1_11target_archE908ELNS1_3gpuE7ELNS1_3repE0EEENS1_30default_config_static_selectorELNS0_4arch9wavefront6targetE1EEEvT1_.num_vgpr, 0
	.set _ZN7rocprim17ROCPRIM_400000_NS6detail17trampoline_kernelINS0_14default_configENS1_25partition_config_selectorILNS1_17partition_subalgoE5ElNS0_10empty_typeEbEEZZNS1_14partition_implILS5_5ELb0ES3_mN6hipcub16HIPCUB_304000_NS21CountingInputIteratorIllEEPS6_NSA_22TransformInputIteratorIb7NonZeroIiEPilEENS0_5tupleIJPlS6_EEENSJ_IJSD_SD_EEES6_SK_JS6_EEE10hipError_tPvRmT3_T4_T5_T6_T7_T9_mT8_P12ihipStream_tbDpT10_ENKUlT_T0_E_clISt17integral_constantIbLb0EES15_IbLb1EEEEDaS11_S12_EUlS11_E_NS1_11comp_targetILNS1_3genE3ELNS1_11target_archE908ELNS1_3gpuE7ELNS1_3repE0EEENS1_30default_config_static_selectorELNS0_4arch9wavefront6targetE1EEEvT1_.num_agpr, 0
	.set _ZN7rocprim17ROCPRIM_400000_NS6detail17trampoline_kernelINS0_14default_configENS1_25partition_config_selectorILNS1_17partition_subalgoE5ElNS0_10empty_typeEbEEZZNS1_14partition_implILS5_5ELb0ES3_mN6hipcub16HIPCUB_304000_NS21CountingInputIteratorIllEEPS6_NSA_22TransformInputIteratorIb7NonZeroIiEPilEENS0_5tupleIJPlS6_EEENSJ_IJSD_SD_EEES6_SK_JS6_EEE10hipError_tPvRmT3_T4_T5_T6_T7_T9_mT8_P12ihipStream_tbDpT10_ENKUlT_T0_E_clISt17integral_constantIbLb0EES15_IbLb1EEEEDaS11_S12_EUlS11_E_NS1_11comp_targetILNS1_3genE3ELNS1_11target_archE908ELNS1_3gpuE7ELNS1_3repE0EEENS1_30default_config_static_selectorELNS0_4arch9wavefront6targetE1EEEvT1_.numbered_sgpr, 0
	.set _ZN7rocprim17ROCPRIM_400000_NS6detail17trampoline_kernelINS0_14default_configENS1_25partition_config_selectorILNS1_17partition_subalgoE5ElNS0_10empty_typeEbEEZZNS1_14partition_implILS5_5ELb0ES3_mN6hipcub16HIPCUB_304000_NS21CountingInputIteratorIllEEPS6_NSA_22TransformInputIteratorIb7NonZeroIiEPilEENS0_5tupleIJPlS6_EEENSJ_IJSD_SD_EEES6_SK_JS6_EEE10hipError_tPvRmT3_T4_T5_T6_T7_T9_mT8_P12ihipStream_tbDpT10_ENKUlT_T0_E_clISt17integral_constantIbLb0EES15_IbLb1EEEEDaS11_S12_EUlS11_E_NS1_11comp_targetILNS1_3genE3ELNS1_11target_archE908ELNS1_3gpuE7ELNS1_3repE0EEENS1_30default_config_static_selectorELNS0_4arch9wavefront6targetE1EEEvT1_.num_named_barrier, 0
	.set _ZN7rocprim17ROCPRIM_400000_NS6detail17trampoline_kernelINS0_14default_configENS1_25partition_config_selectorILNS1_17partition_subalgoE5ElNS0_10empty_typeEbEEZZNS1_14partition_implILS5_5ELb0ES3_mN6hipcub16HIPCUB_304000_NS21CountingInputIteratorIllEEPS6_NSA_22TransformInputIteratorIb7NonZeroIiEPilEENS0_5tupleIJPlS6_EEENSJ_IJSD_SD_EEES6_SK_JS6_EEE10hipError_tPvRmT3_T4_T5_T6_T7_T9_mT8_P12ihipStream_tbDpT10_ENKUlT_T0_E_clISt17integral_constantIbLb0EES15_IbLb1EEEEDaS11_S12_EUlS11_E_NS1_11comp_targetILNS1_3genE3ELNS1_11target_archE908ELNS1_3gpuE7ELNS1_3repE0EEENS1_30default_config_static_selectorELNS0_4arch9wavefront6targetE1EEEvT1_.private_seg_size, 0
	.set _ZN7rocprim17ROCPRIM_400000_NS6detail17trampoline_kernelINS0_14default_configENS1_25partition_config_selectorILNS1_17partition_subalgoE5ElNS0_10empty_typeEbEEZZNS1_14partition_implILS5_5ELb0ES3_mN6hipcub16HIPCUB_304000_NS21CountingInputIteratorIllEEPS6_NSA_22TransformInputIteratorIb7NonZeroIiEPilEENS0_5tupleIJPlS6_EEENSJ_IJSD_SD_EEES6_SK_JS6_EEE10hipError_tPvRmT3_T4_T5_T6_T7_T9_mT8_P12ihipStream_tbDpT10_ENKUlT_T0_E_clISt17integral_constantIbLb0EES15_IbLb1EEEEDaS11_S12_EUlS11_E_NS1_11comp_targetILNS1_3genE3ELNS1_11target_archE908ELNS1_3gpuE7ELNS1_3repE0EEENS1_30default_config_static_selectorELNS0_4arch9wavefront6targetE1EEEvT1_.uses_vcc, 0
	.set _ZN7rocprim17ROCPRIM_400000_NS6detail17trampoline_kernelINS0_14default_configENS1_25partition_config_selectorILNS1_17partition_subalgoE5ElNS0_10empty_typeEbEEZZNS1_14partition_implILS5_5ELb0ES3_mN6hipcub16HIPCUB_304000_NS21CountingInputIteratorIllEEPS6_NSA_22TransformInputIteratorIb7NonZeroIiEPilEENS0_5tupleIJPlS6_EEENSJ_IJSD_SD_EEES6_SK_JS6_EEE10hipError_tPvRmT3_T4_T5_T6_T7_T9_mT8_P12ihipStream_tbDpT10_ENKUlT_T0_E_clISt17integral_constantIbLb0EES15_IbLb1EEEEDaS11_S12_EUlS11_E_NS1_11comp_targetILNS1_3genE3ELNS1_11target_archE908ELNS1_3gpuE7ELNS1_3repE0EEENS1_30default_config_static_selectorELNS0_4arch9wavefront6targetE1EEEvT1_.uses_flat_scratch, 0
	.set _ZN7rocprim17ROCPRIM_400000_NS6detail17trampoline_kernelINS0_14default_configENS1_25partition_config_selectorILNS1_17partition_subalgoE5ElNS0_10empty_typeEbEEZZNS1_14partition_implILS5_5ELb0ES3_mN6hipcub16HIPCUB_304000_NS21CountingInputIteratorIllEEPS6_NSA_22TransformInputIteratorIb7NonZeroIiEPilEENS0_5tupleIJPlS6_EEENSJ_IJSD_SD_EEES6_SK_JS6_EEE10hipError_tPvRmT3_T4_T5_T6_T7_T9_mT8_P12ihipStream_tbDpT10_ENKUlT_T0_E_clISt17integral_constantIbLb0EES15_IbLb1EEEEDaS11_S12_EUlS11_E_NS1_11comp_targetILNS1_3genE3ELNS1_11target_archE908ELNS1_3gpuE7ELNS1_3repE0EEENS1_30default_config_static_selectorELNS0_4arch9wavefront6targetE1EEEvT1_.has_dyn_sized_stack, 0
	.set _ZN7rocprim17ROCPRIM_400000_NS6detail17trampoline_kernelINS0_14default_configENS1_25partition_config_selectorILNS1_17partition_subalgoE5ElNS0_10empty_typeEbEEZZNS1_14partition_implILS5_5ELb0ES3_mN6hipcub16HIPCUB_304000_NS21CountingInputIteratorIllEEPS6_NSA_22TransformInputIteratorIb7NonZeroIiEPilEENS0_5tupleIJPlS6_EEENSJ_IJSD_SD_EEES6_SK_JS6_EEE10hipError_tPvRmT3_T4_T5_T6_T7_T9_mT8_P12ihipStream_tbDpT10_ENKUlT_T0_E_clISt17integral_constantIbLb0EES15_IbLb1EEEEDaS11_S12_EUlS11_E_NS1_11comp_targetILNS1_3genE3ELNS1_11target_archE908ELNS1_3gpuE7ELNS1_3repE0EEENS1_30default_config_static_selectorELNS0_4arch9wavefront6targetE1EEEvT1_.has_recursion, 0
	.set _ZN7rocprim17ROCPRIM_400000_NS6detail17trampoline_kernelINS0_14default_configENS1_25partition_config_selectorILNS1_17partition_subalgoE5ElNS0_10empty_typeEbEEZZNS1_14partition_implILS5_5ELb0ES3_mN6hipcub16HIPCUB_304000_NS21CountingInputIteratorIllEEPS6_NSA_22TransformInputIteratorIb7NonZeroIiEPilEENS0_5tupleIJPlS6_EEENSJ_IJSD_SD_EEES6_SK_JS6_EEE10hipError_tPvRmT3_T4_T5_T6_T7_T9_mT8_P12ihipStream_tbDpT10_ENKUlT_T0_E_clISt17integral_constantIbLb0EES15_IbLb1EEEEDaS11_S12_EUlS11_E_NS1_11comp_targetILNS1_3genE3ELNS1_11target_archE908ELNS1_3gpuE7ELNS1_3repE0EEENS1_30default_config_static_selectorELNS0_4arch9wavefront6targetE1EEEvT1_.has_indirect_call, 0
	.section	.AMDGPU.csdata,"",@progbits
; Kernel info:
; codeLenInByte = 0
; TotalNumSgprs: 6
; NumVgprs: 0
; NumAgprs: 0
; TotalNumVgprs: 0
; ScratchSize: 0
; MemoryBound: 0
; FloatMode: 240
; IeeeMode: 1
; LDSByteSize: 0 bytes/workgroup (compile time only)
; SGPRBlocks: 0
; VGPRBlocks: 0
; NumSGPRsForWavesPerEU: 6
; NumVGPRsForWavesPerEU: 1
; AccumOffset: 4
; Occupancy: 8
; WaveLimiterHint : 0
; COMPUTE_PGM_RSRC2:SCRATCH_EN: 0
; COMPUTE_PGM_RSRC2:USER_SGPR: 2
; COMPUTE_PGM_RSRC2:TRAP_HANDLER: 0
; COMPUTE_PGM_RSRC2:TGID_X_EN: 1
; COMPUTE_PGM_RSRC2:TGID_Y_EN: 0
; COMPUTE_PGM_RSRC2:TGID_Z_EN: 0
; COMPUTE_PGM_RSRC2:TIDIG_COMP_CNT: 0
; COMPUTE_PGM_RSRC3_GFX90A:ACCUM_OFFSET: 0
; COMPUTE_PGM_RSRC3_GFX90A:TG_SPLIT: 0
	.section	.text._ZN7rocprim17ROCPRIM_400000_NS6detail17trampoline_kernelINS0_14default_configENS1_25partition_config_selectorILNS1_17partition_subalgoE5ElNS0_10empty_typeEbEEZZNS1_14partition_implILS5_5ELb0ES3_mN6hipcub16HIPCUB_304000_NS21CountingInputIteratorIllEEPS6_NSA_22TransformInputIteratorIb7NonZeroIiEPilEENS0_5tupleIJPlS6_EEENSJ_IJSD_SD_EEES6_SK_JS6_EEE10hipError_tPvRmT3_T4_T5_T6_T7_T9_mT8_P12ihipStream_tbDpT10_ENKUlT_T0_E_clISt17integral_constantIbLb0EES15_IbLb1EEEEDaS11_S12_EUlS11_E_NS1_11comp_targetILNS1_3genE2ELNS1_11target_archE906ELNS1_3gpuE6ELNS1_3repE0EEENS1_30default_config_static_selectorELNS0_4arch9wavefront6targetE1EEEvT1_,"axG",@progbits,_ZN7rocprim17ROCPRIM_400000_NS6detail17trampoline_kernelINS0_14default_configENS1_25partition_config_selectorILNS1_17partition_subalgoE5ElNS0_10empty_typeEbEEZZNS1_14partition_implILS5_5ELb0ES3_mN6hipcub16HIPCUB_304000_NS21CountingInputIteratorIllEEPS6_NSA_22TransformInputIteratorIb7NonZeroIiEPilEENS0_5tupleIJPlS6_EEENSJ_IJSD_SD_EEES6_SK_JS6_EEE10hipError_tPvRmT3_T4_T5_T6_T7_T9_mT8_P12ihipStream_tbDpT10_ENKUlT_T0_E_clISt17integral_constantIbLb0EES15_IbLb1EEEEDaS11_S12_EUlS11_E_NS1_11comp_targetILNS1_3genE2ELNS1_11target_archE906ELNS1_3gpuE6ELNS1_3repE0EEENS1_30default_config_static_selectorELNS0_4arch9wavefront6targetE1EEEvT1_,comdat
	.protected	_ZN7rocprim17ROCPRIM_400000_NS6detail17trampoline_kernelINS0_14default_configENS1_25partition_config_selectorILNS1_17partition_subalgoE5ElNS0_10empty_typeEbEEZZNS1_14partition_implILS5_5ELb0ES3_mN6hipcub16HIPCUB_304000_NS21CountingInputIteratorIllEEPS6_NSA_22TransformInputIteratorIb7NonZeroIiEPilEENS0_5tupleIJPlS6_EEENSJ_IJSD_SD_EEES6_SK_JS6_EEE10hipError_tPvRmT3_T4_T5_T6_T7_T9_mT8_P12ihipStream_tbDpT10_ENKUlT_T0_E_clISt17integral_constantIbLb0EES15_IbLb1EEEEDaS11_S12_EUlS11_E_NS1_11comp_targetILNS1_3genE2ELNS1_11target_archE906ELNS1_3gpuE6ELNS1_3repE0EEENS1_30default_config_static_selectorELNS0_4arch9wavefront6targetE1EEEvT1_ ; -- Begin function _ZN7rocprim17ROCPRIM_400000_NS6detail17trampoline_kernelINS0_14default_configENS1_25partition_config_selectorILNS1_17partition_subalgoE5ElNS0_10empty_typeEbEEZZNS1_14partition_implILS5_5ELb0ES3_mN6hipcub16HIPCUB_304000_NS21CountingInputIteratorIllEEPS6_NSA_22TransformInputIteratorIb7NonZeroIiEPilEENS0_5tupleIJPlS6_EEENSJ_IJSD_SD_EEES6_SK_JS6_EEE10hipError_tPvRmT3_T4_T5_T6_T7_T9_mT8_P12ihipStream_tbDpT10_ENKUlT_T0_E_clISt17integral_constantIbLb0EES15_IbLb1EEEEDaS11_S12_EUlS11_E_NS1_11comp_targetILNS1_3genE2ELNS1_11target_archE906ELNS1_3gpuE6ELNS1_3repE0EEENS1_30default_config_static_selectorELNS0_4arch9wavefront6targetE1EEEvT1_
	.globl	_ZN7rocprim17ROCPRIM_400000_NS6detail17trampoline_kernelINS0_14default_configENS1_25partition_config_selectorILNS1_17partition_subalgoE5ElNS0_10empty_typeEbEEZZNS1_14partition_implILS5_5ELb0ES3_mN6hipcub16HIPCUB_304000_NS21CountingInputIteratorIllEEPS6_NSA_22TransformInputIteratorIb7NonZeroIiEPilEENS0_5tupleIJPlS6_EEENSJ_IJSD_SD_EEES6_SK_JS6_EEE10hipError_tPvRmT3_T4_T5_T6_T7_T9_mT8_P12ihipStream_tbDpT10_ENKUlT_T0_E_clISt17integral_constantIbLb0EES15_IbLb1EEEEDaS11_S12_EUlS11_E_NS1_11comp_targetILNS1_3genE2ELNS1_11target_archE906ELNS1_3gpuE6ELNS1_3repE0EEENS1_30default_config_static_selectorELNS0_4arch9wavefront6targetE1EEEvT1_
	.p2align	8
	.type	_ZN7rocprim17ROCPRIM_400000_NS6detail17trampoline_kernelINS0_14default_configENS1_25partition_config_selectorILNS1_17partition_subalgoE5ElNS0_10empty_typeEbEEZZNS1_14partition_implILS5_5ELb0ES3_mN6hipcub16HIPCUB_304000_NS21CountingInputIteratorIllEEPS6_NSA_22TransformInputIteratorIb7NonZeroIiEPilEENS0_5tupleIJPlS6_EEENSJ_IJSD_SD_EEES6_SK_JS6_EEE10hipError_tPvRmT3_T4_T5_T6_T7_T9_mT8_P12ihipStream_tbDpT10_ENKUlT_T0_E_clISt17integral_constantIbLb0EES15_IbLb1EEEEDaS11_S12_EUlS11_E_NS1_11comp_targetILNS1_3genE2ELNS1_11target_archE906ELNS1_3gpuE6ELNS1_3repE0EEENS1_30default_config_static_selectorELNS0_4arch9wavefront6targetE1EEEvT1_,@function
_ZN7rocprim17ROCPRIM_400000_NS6detail17trampoline_kernelINS0_14default_configENS1_25partition_config_selectorILNS1_17partition_subalgoE5ElNS0_10empty_typeEbEEZZNS1_14partition_implILS5_5ELb0ES3_mN6hipcub16HIPCUB_304000_NS21CountingInputIteratorIllEEPS6_NSA_22TransformInputIteratorIb7NonZeroIiEPilEENS0_5tupleIJPlS6_EEENSJ_IJSD_SD_EEES6_SK_JS6_EEE10hipError_tPvRmT3_T4_T5_T6_T7_T9_mT8_P12ihipStream_tbDpT10_ENKUlT_T0_E_clISt17integral_constantIbLb0EES15_IbLb1EEEEDaS11_S12_EUlS11_E_NS1_11comp_targetILNS1_3genE2ELNS1_11target_archE906ELNS1_3gpuE6ELNS1_3repE0EEENS1_30default_config_static_selectorELNS0_4arch9wavefront6targetE1EEEvT1_: ; @_ZN7rocprim17ROCPRIM_400000_NS6detail17trampoline_kernelINS0_14default_configENS1_25partition_config_selectorILNS1_17partition_subalgoE5ElNS0_10empty_typeEbEEZZNS1_14partition_implILS5_5ELb0ES3_mN6hipcub16HIPCUB_304000_NS21CountingInputIteratorIllEEPS6_NSA_22TransformInputIteratorIb7NonZeroIiEPilEENS0_5tupleIJPlS6_EEENSJ_IJSD_SD_EEES6_SK_JS6_EEE10hipError_tPvRmT3_T4_T5_T6_T7_T9_mT8_P12ihipStream_tbDpT10_ENKUlT_T0_E_clISt17integral_constantIbLb0EES15_IbLb1EEEEDaS11_S12_EUlS11_E_NS1_11comp_targetILNS1_3genE2ELNS1_11target_archE906ELNS1_3gpuE6ELNS1_3repE0EEENS1_30default_config_static_selectorELNS0_4arch9wavefront6targetE1EEEvT1_
; %bb.0:
	.section	.rodata,"a",@progbits
	.p2align	6, 0x0
	.amdhsa_kernel _ZN7rocprim17ROCPRIM_400000_NS6detail17trampoline_kernelINS0_14default_configENS1_25partition_config_selectorILNS1_17partition_subalgoE5ElNS0_10empty_typeEbEEZZNS1_14partition_implILS5_5ELb0ES3_mN6hipcub16HIPCUB_304000_NS21CountingInputIteratorIllEEPS6_NSA_22TransformInputIteratorIb7NonZeroIiEPilEENS0_5tupleIJPlS6_EEENSJ_IJSD_SD_EEES6_SK_JS6_EEE10hipError_tPvRmT3_T4_T5_T6_T7_T9_mT8_P12ihipStream_tbDpT10_ENKUlT_T0_E_clISt17integral_constantIbLb0EES15_IbLb1EEEEDaS11_S12_EUlS11_E_NS1_11comp_targetILNS1_3genE2ELNS1_11target_archE906ELNS1_3gpuE6ELNS1_3repE0EEENS1_30default_config_static_selectorELNS0_4arch9wavefront6targetE1EEEvT1_
		.amdhsa_group_segment_fixed_size 0
		.amdhsa_private_segment_fixed_size 0
		.amdhsa_kernarg_size 136
		.amdhsa_user_sgpr_count 2
		.amdhsa_user_sgpr_dispatch_ptr 0
		.amdhsa_user_sgpr_queue_ptr 0
		.amdhsa_user_sgpr_kernarg_segment_ptr 1
		.amdhsa_user_sgpr_dispatch_id 0
		.amdhsa_user_sgpr_kernarg_preload_length 0
		.amdhsa_user_sgpr_kernarg_preload_offset 0
		.amdhsa_user_sgpr_private_segment_size 0
		.amdhsa_uses_dynamic_stack 0
		.amdhsa_enable_private_segment 0
		.amdhsa_system_sgpr_workgroup_id_x 1
		.amdhsa_system_sgpr_workgroup_id_y 0
		.amdhsa_system_sgpr_workgroup_id_z 0
		.amdhsa_system_sgpr_workgroup_info 0
		.amdhsa_system_vgpr_workitem_id 0
		.amdhsa_next_free_vgpr 1
		.amdhsa_next_free_sgpr 0
		.amdhsa_accum_offset 4
		.amdhsa_reserve_vcc 0
		.amdhsa_float_round_mode_32 0
		.amdhsa_float_round_mode_16_64 0
		.amdhsa_float_denorm_mode_32 3
		.amdhsa_float_denorm_mode_16_64 3
		.amdhsa_dx10_clamp 1
		.amdhsa_ieee_mode 1
		.amdhsa_fp16_overflow 0
		.amdhsa_tg_split 0
		.amdhsa_exception_fp_ieee_invalid_op 0
		.amdhsa_exception_fp_denorm_src 0
		.amdhsa_exception_fp_ieee_div_zero 0
		.amdhsa_exception_fp_ieee_overflow 0
		.amdhsa_exception_fp_ieee_underflow 0
		.amdhsa_exception_fp_ieee_inexact 0
		.amdhsa_exception_int_div_zero 0
	.end_amdhsa_kernel
	.section	.text._ZN7rocprim17ROCPRIM_400000_NS6detail17trampoline_kernelINS0_14default_configENS1_25partition_config_selectorILNS1_17partition_subalgoE5ElNS0_10empty_typeEbEEZZNS1_14partition_implILS5_5ELb0ES3_mN6hipcub16HIPCUB_304000_NS21CountingInputIteratorIllEEPS6_NSA_22TransformInputIteratorIb7NonZeroIiEPilEENS0_5tupleIJPlS6_EEENSJ_IJSD_SD_EEES6_SK_JS6_EEE10hipError_tPvRmT3_T4_T5_T6_T7_T9_mT8_P12ihipStream_tbDpT10_ENKUlT_T0_E_clISt17integral_constantIbLb0EES15_IbLb1EEEEDaS11_S12_EUlS11_E_NS1_11comp_targetILNS1_3genE2ELNS1_11target_archE906ELNS1_3gpuE6ELNS1_3repE0EEENS1_30default_config_static_selectorELNS0_4arch9wavefront6targetE1EEEvT1_,"axG",@progbits,_ZN7rocprim17ROCPRIM_400000_NS6detail17trampoline_kernelINS0_14default_configENS1_25partition_config_selectorILNS1_17partition_subalgoE5ElNS0_10empty_typeEbEEZZNS1_14partition_implILS5_5ELb0ES3_mN6hipcub16HIPCUB_304000_NS21CountingInputIteratorIllEEPS6_NSA_22TransformInputIteratorIb7NonZeroIiEPilEENS0_5tupleIJPlS6_EEENSJ_IJSD_SD_EEES6_SK_JS6_EEE10hipError_tPvRmT3_T4_T5_T6_T7_T9_mT8_P12ihipStream_tbDpT10_ENKUlT_T0_E_clISt17integral_constantIbLb0EES15_IbLb1EEEEDaS11_S12_EUlS11_E_NS1_11comp_targetILNS1_3genE2ELNS1_11target_archE906ELNS1_3gpuE6ELNS1_3repE0EEENS1_30default_config_static_selectorELNS0_4arch9wavefront6targetE1EEEvT1_,comdat
.Lfunc_end213:
	.size	_ZN7rocprim17ROCPRIM_400000_NS6detail17trampoline_kernelINS0_14default_configENS1_25partition_config_selectorILNS1_17partition_subalgoE5ElNS0_10empty_typeEbEEZZNS1_14partition_implILS5_5ELb0ES3_mN6hipcub16HIPCUB_304000_NS21CountingInputIteratorIllEEPS6_NSA_22TransformInputIteratorIb7NonZeroIiEPilEENS0_5tupleIJPlS6_EEENSJ_IJSD_SD_EEES6_SK_JS6_EEE10hipError_tPvRmT3_T4_T5_T6_T7_T9_mT8_P12ihipStream_tbDpT10_ENKUlT_T0_E_clISt17integral_constantIbLb0EES15_IbLb1EEEEDaS11_S12_EUlS11_E_NS1_11comp_targetILNS1_3genE2ELNS1_11target_archE906ELNS1_3gpuE6ELNS1_3repE0EEENS1_30default_config_static_selectorELNS0_4arch9wavefront6targetE1EEEvT1_, .Lfunc_end213-_ZN7rocprim17ROCPRIM_400000_NS6detail17trampoline_kernelINS0_14default_configENS1_25partition_config_selectorILNS1_17partition_subalgoE5ElNS0_10empty_typeEbEEZZNS1_14partition_implILS5_5ELb0ES3_mN6hipcub16HIPCUB_304000_NS21CountingInputIteratorIllEEPS6_NSA_22TransformInputIteratorIb7NonZeroIiEPilEENS0_5tupleIJPlS6_EEENSJ_IJSD_SD_EEES6_SK_JS6_EEE10hipError_tPvRmT3_T4_T5_T6_T7_T9_mT8_P12ihipStream_tbDpT10_ENKUlT_T0_E_clISt17integral_constantIbLb0EES15_IbLb1EEEEDaS11_S12_EUlS11_E_NS1_11comp_targetILNS1_3genE2ELNS1_11target_archE906ELNS1_3gpuE6ELNS1_3repE0EEENS1_30default_config_static_selectorELNS0_4arch9wavefront6targetE1EEEvT1_
                                        ; -- End function
	.set _ZN7rocprim17ROCPRIM_400000_NS6detail17trampoline_kernelINS0_14default_configENS1_25partition_config_selectorILNS1_17partition_subalgoE5ElNS0_10empty_typeEbEEZZNS1_14partition_implILS5_5ELb0ES3_mN6hipcub16HIPCUB_304000_NS21CountingInputIteratorIllEEPS6_NSA_22TransformInputIteratorIb7NonZeroIiEPilEENS0_5tupleIJPlS6_EEENSJ_IJSD_SD_EEES6_SK_JS6_EEE10hipError_tPvRmT3_T4_T5_T6_T7_T9_mT8_P12ihipStream_tbDpT10_ENKUlT_T0_E_clISt17integral_constantIbLb0EES15_IbLb1EEEEDaS11_S12_EUlS11_E_NS1_11comp_targetILNS1_3genE2ELNS1_11target_archE906ELNS1_3gpuE6ELNS1_3repE0EEENS1_30default_config_static_selectorELNS0_4arch9wavefront6targetE1EEEvT1_.num_vgpr, 0
	.set _ZN7rocprim17ROCPRIM_400000_NS6detail17trampoline_kernelINS0_14default_configENS1_25partition_config_selectorILNS1_17partition_subalgoE5ElNS0_10empty_typeEbEEZZNS1_14partition_implILS5_5ELb0ES3_mN6hipcub16HIPCUB_304000_NS21CountingInputIteratorIllEEPS6_NSA_22TransformInputIteratorIb7NonZeroIiEPilEENS0_5tupleIJPlS6_EEENSJ_IJSD_SD_EEES6_SK_JS6_EEE10hipError_tPvRmT3_T4_T5_T6_T7_T9_mT8_P12ihipStream_tbDpT10_ENKUlT_T0_E_clISt17integral_constantIbLb0EES15_IbLb1EEEEDaS11_S12_EUlS11_E_NS1_11comp_targetILNS1_3genE2ELNS1_11target_archE906ELNS1_3gpuE6ELNS1_3repE0EEENS1_30default_config_static_selectorELNS0_4arch9wavefront6targetE1EEEvT1_.num_agpr, 0
	.set _ZN7rocprim17ROCPRIM_400000_NS6detail17trampoline_kernelINS0_14default_configENS1_25partition_config_selectorILNS1_17partition_subalgoE5ElNS0_10empty_typeEbEEZZNS1_14partition_implILS5_5ELb0ES3_mN6hipcub16HIPCUB_304000_NS21CountingInputIteratorIllEEPS6_NSA_22TransformInputIteratorIb7NonZeroIiEPilEENS0_5tupleIJPlS6_EEENSJ_IJSD_SD_EEES6_SK_JS6_EEE10hipError_tPvRmT3_T4_T5_T6_T7_T9_mT8_P12ihipStream_tbDpT10_ENKUlT_T0_E_clISt17integral_constantIbLb0EES15_IbLb1EEEEDaS11_S12_EUlS11_E_NS1_11comp_targetILNS1_3genE2ELNS1_11target_archE906ELNS1_3gpuE6ELNS1_3repE0EEENS1_30default_config_static_selectorELNS0_4arch9wavefront6targetE1EEEvT1_.numbered_sgpr, 0
	.set _ZN7rocprim17ROCPRIM_400000_NS6detail17trampoline_kernelINS0_14default_configENS1_25partition_config_selectorILNS1_17partition_subalgoE5ElNS0_10empty_typeEbEEZZNS1_14partition_implILS5_5ELb0ES3_mN6hipcub16HIPCUB_304000_NS21CountingInputIteratorIllEEPS6_NSA_22TransformInputIteratorIb7NonZeroIiEPilEENS0_5tupleIJPlS6_EEENSJ_IJSD_SD_EEES6_SK_JS6_EEE10hipError_tPvRmT3_T4_T5_T6_T7_T9_mT8_P12ihipStream_tbDpT10_ENKUlT_T0_E_clISt17integral_constantIbLb0EES15_IbLb1EEEEDaS11_S12_EUlS11_E_NS1_11comp_targetILNS1_3genE2ELNS1_11target_archE906ELNS1_3gpuE6ELNS1_3repE0EEENS1_30default_config_static_selectorELNS0_4arch9wavefront6targetE1EEEvT1_.num_named_barrier, 0
	.set _ZN7rocprim17ROCPRIM_400000_NS6detail17trampoline_kernelINS0_14default_configENS1_25partition_config_selectorILNS1_17partition_subalgoE5ElNS0_10empty_typeEbEEZZNS1_14partition_implILS5_5ELb0ES3_mN6hipcub16HIPCUB_304000_NS21CountingInputIteratorIllEEPS6_NSA_22TransformInputIteratorIb7NonZeroIiEPilEENS0_5tupleIJPlS6_EEENSJ_IJSD_SD_EEES6_SK_JS6_EEE10hipError_tPvRmT3_T4_T5_T6_T7_T9_mT8_P12ihipStream_tbDpT10_ENKUlT_T0_E_clISt17integral_constantIbLb0EES15_IbLb1EEEEDaS11_S12_EUlS11_E_NS1_11comp_targetILNS1_3genE2ELNS1_11target_archE906ELNS1_3gpuE6ELNS1_3repE0EEENS1_30default_config_static_selectorELNS0_4arch9wavefront6targetE1EEEvT1_.private_seg_size, 0
	.set _ZN7rocprim17ROCPRIM_400000_NS6detail17trampoline_kernelINS0_14default_configENS1_25partition_config_selectorILNS1_17partition_subalgoE5ElNS0_10empty_typeEbEEZZNS1_14partition_implILS5_5ELb0ES3_mN6hipcub16HIPCUB_304000_NS21CountingInputIteratorIllEEPS6_NSA_22TransformInputIteratorIb7NonZeroIiEPilEENS0_5tupleIJPlS6_EEENSJ_IJSD_SD_EEES6_SK_JS6_EEE10hipError_tPvRmT3_T4_T5_T6_T7_T9_mT8_P12ihipStream_tbDpT10_ENKUlT_T0_E_clISt17integral_constantIbLb0EES15_IbLb1EEEEDaS11_S12_EUlS11_E_NS1_11comp_targetILNS1_3genE2ELNS1_11target_archE906ELNS1_3gpuE6ELNS1_3repE0EEENS1_30default_config_static_selectorELNS0_4arch9wavefront6targetE1EEEvT1_.uses_vcc, 0
	.set _ZN7rocprim17ROCPRIM_400000_NS6detail17trampoline_kernelINS0_14default_configENS1_25partition_config_selectorILNS1_17partition_subalgoE5ElNS0_10empty_typeEbEEZZNS1_14partition_implILS5_5ELb0ES3_mN6hipcub16HIPCUB_304000_NS21CountingInputIteratorIllEEPS6_NSA_22TransformInputIteratorIb7NonZeroIiEPilEENS0_5tupleIJPlS6_EEENSJ_IJSD_SD_EEES6_SK_JS6_EEE10hipError_tPvRmT3_T4_T5_T6_T7_T9_mT8_P12ihipStream_tbDpT10_ENKUlT_T0_E_clISt17integral_constantIbLb0EES15_IbLb1EEEEDaS11_S12_EUlS11_E_NS1_11comp_targetILNS1_3genE2ELNS1_11target_archE906ELNS1_3gpuE6ELNS1_3repE0EEENS1_30default_config_static_selectorELNS0_4arch9wavefront6targetE1EEEvT1_.uses_flat_scratch, 0
	.set _ZN7rocprim17ROCPRIM_400000_NS6detail17trampoline_kernelINS0_14default_configENS1_25partition_config_selectorILNS1_17partition_subalgoE5ElNS0_10empty_typeEbEEZZNS1_14partition_implILS5_5ELb0ES3_mN6hipcub16HIPCUB_304000_NS21CountingInputIteratorIllEEPS6_NSA_22TransformInputIteratorIb7NonZeroIiEPilEENS0_5tupleIJPlS6_EEENSJ_IJSD_SD_EEES6_SK_JS6_EEE10hipError_tPvRmT3_T4_T5_T6_T7_T9_mT8_P12ihipStream_tbDpT10_ENKUlT_T0_E_clISt17integral_constantIbLb0EES15_IbLb1EEEEDaS11_S12_EUlS11_E_NS1_11comp_targetILNS1_3genE2ELNS1_11target_archE906ELNS1_3gpuE6ELNS1_3repE0EEENS1_30default_config_static_selectorELNS0_4arch9wavefront6targetE1EEEvT1_.has_dyn_sized_stack, 0
	.set _ZN7rocprim17ROCPRIM_400000_NS6detail17trampoline_kernelINS0_14default_configENS1_25partition_config_selectorILNS1_17partition_subalgoE5ElNS0_10empty_typeEbEEZZNS1_14partition_implILS5_5ELb0ES3_mN6hipcub16HIPCUB_304000_NS21CountingInputIteratorIllEEPS6_NSA_22TransformInputIteratorIb7NonZeroIiEPilEENS0_5tupleIJPlS6_EEENSJ_IJSD_SD_EEES6_SK_JS6_EEE10hipError_tPvRmT3_T4_T5_T6_T7_T9_mT8_P12ihipStream_tbDpT10_ENKUlT_T0_E_clISt17integral_constantIbLb0EES15_IbLb1EEEEDaS11_S12_EUlS11_E_NS1_11comp_targetILNS1_3genE2ELNS1_11target_archE906ELNS1_3gpuE6ELNS1_3repE0EEENS1_30default_config_static_selectorELNS0_4arch9wavefront6targetE1EEEvT1_.has_recursion, 0
	.set _ZN7rocprim17ROCPRIM_400000_NS6detail17trampoline_kernelINS0_14default_configENS1_25partition_config_selectorILNS1_17partition_subalgoE5ElNS0_10empty_typeEbEEZZNS1_14partition_implILS5_5ELb0ES3_mN6hipcub16HIPCUB_304000_NS21CountingInputIteratorIllEEPS6_NSA_22TransformInputIteratorIb7NonZeroIiEPilEENS0_5tupleIJPlS6_EEENSJ_IJSD_SD_EEES6_SK_JS6_EEE10hipError_tPvRmT3_T4_T5_T6_T7_T9_mT8_P12ihipStream_tbDpT10_ENKUlT_T0_E_clISt17integral_constantIbLb0EES15_IbLb1EEEEDaS11_S12_EUlS11_E_NS1_11comp_targetILNS1_3genE2ELNS1_11target_archE906ELNS1_3gpuE6ELNS1_3repE0EEENS1_30default_config_static_selectorELNS0_4arch9wavefront6targetE1EEEvT1_.has_indirect_call, 0
	.section	.AMDGPU.csdata,"",@progbits
; Kernel info:
; codeLenInByte = 0
; TotalNumSgprs: 6
; NumVgprs: 0
; NumAgprs: 0
; TotalNumVgprs: 0
; ScratchSize: 0
; MemoryBound: 0
; FloatMode: 240
; IeeeMode: 1
; LDSByteSize: 0 bytes/workgroup (compile time only)
; SGPRBlocks: 0
; VGPRBlocks: 0
; NumSGPRsForWavesPerEU: 6
; NumVGPRsForWavesPerEU: 1
; AccumOffset: 4
; Occupancy: 8
; WaveLimiterHint : 0
; COMPUTE_PGM_RSRC2:SCRATCH_EN: 0
; COMPUTE_PGM_RSRC2:USER_SGPR: 2
; COMPUTE_PGM_RSRC2:TRAP_HANDLER: 0
; COMPUTE_PGM_RSRC2:TGID_X_EN: 1
; COMPUTE_PGM_RSRC2:TGID_Y_EN: 0
; COMPUTE_PGM_RSRC2:TGID_Z_EN: 0
; COMPUTE_PGM_RSRC2:TIDIG_COMP_CNT: 0
; COMPUTE_PGM_RSRC3_GFX90A:ACCUM_OFFSET: 0
; COMPUTE_PGM_RSRC3_GFX90A:TG_SPLIT: 0
	.section	.text._ZN7rocprim17ROCPRIM_400000_NS6detail17trampoline_kernelINS0_14default_configENS1_25partition_config_selectorILNS1_17partition_subalgoE5ElNS0_10empty_typeEbEEZZNS1_14partition_implILS5_5ELb0ES3_mN6hipcub16HIPCUB_304000_NS21CountingInputIteratorIllEEPS6_NSA_22TransformInputIteratorIb7NonZeroIiEPilEENS0_5tupleIJPlS6_EEENSJ_IJSD_SD_EEES6_SK_JS6_EEE10hipError_tPvRmT3_T4_T5_T6_T7_T9_mT8_P12ihipStream_tbDpT10_ENKUlT_T0_E_clISt17integral_constantIbLb0EES15_IbLb1EEEEDaS11_S12_EUlS11_E_NS1_11comp_targetILNS1_3genE10ELNS1_11target_archE1200ELNS1_3gpuE4ELNS1_3repE0EEENS1_30default_config_static_selectorELNS0_4arch9wavefront6targetE1EEEvT1_,"axG",@progbits,_ZN7rocprim17ROCPRIM_400000_NS6detail17trampoline_kernelINS0_14default_configENS1_25partition_config_selectorILNS1_17partition_subalgoE5ElNS0_10empty_typeEbEEZZNS1_14partition_implILS5_5ELb0ES3_mN6hipcub16HIPCUB_304000_NS21CountingInputIteratorIllEEPS6_NSA_22TransformInputIteratorIb7NonZeroIiEPilEENS0_5tupleIJPlS6_EEENSJ_IJSD_SD_EEES6_SK_JS6_EEE10hipError_tPvRmT3_T4_T5_T6_T7_T9_mT8_P12ihipStream_tbDpT10_ENKUlT_T0_E_clISt17integral_constantIbLb0EES15_IbLb1EEEEDaS11_S12_EUlS11_E_NS1_11comp_targetILNS1_3genE10ELNS1_11target_archE1200ELNS1_3gpuE4ELNS1_3repE0EEENS1_30default_config_static_selectorELNS0_4arch9wavefront6targetE1EEEvT1_,comdat
	.protected	_ZN7rocprim17ROCPRIM_400000_NS6detail17trampoline_kernelINS0_14default_configENS1_25partition_config_selectorILNS1_17partition_subalgoE5ElNS0_10empty_typeEbEEZZNS1_14partition_implILS5_5ELb0ES3_mN6hipcub16HIPCUB_304000_NS21CountingInputIteratorIllEEPS6_NSA_22TransformInputIteratorIb7NonZeroIiEPilEENS0_5tupleIJPlS6_EEENSJ_IJSD_SD_EEES6_SK_JS6_EEE10hipError_tPvRmT3_T4_T5_T6_T7_T9_mT8_P12ihipStream_tbDpT10_ENKUlT_T0_E_clISt17integral_constantIbLb0EES15_IbLb1EEEEDaS11_S12_EUlS11_E_NS1_11comp_targetILNS1_3genE10ELNS1_11target_archE1200ELNS1_3gpuE4ELNS1_3repE0EEENS1_30default_config_static_selectorELNS0_4arch9wavefront6targetE1EEEvT1_ ; -- Begin function _ZN7rocprim17ROCPRIM_400000_NS6detail17trampoline_kernelINS0_14default_configENS1_25partition_config_selectorILNS1_17partition_subalgoE5ElNS0_10empty_typeEbEEZZNS1_14partition_implILS5_5ELb0ES3_mN6hipcub16HIPCUB_304000_NS21CountingInputIteratorIllEEPS6_NSA_22TransformInputIteratorIb7NonZeroIiEPilEENS0_5tupleIJPlS6_EEENSJ_IJSD_SD_EEES6_SK_JS6_EEE10hipError_tPvRmT3_T4_T5_T6_T7_T9_mT8_P12ihipStream_tbDpT10_ENKUlT_T0_E_clISt17integral_constantIbLb0EES15_IbLb1EEEEDaS11_S12_EUlS11_E_NS1_11comp_targetILNS1_3genE10ELNS1_11target_archE1200ELNS1_3gpuE4ELNS1_3repE0EEENS1_30default_config_static_selectorELNS0_4arch9wavefront6targetE1EEEvT1_
	.globl	_ZN7rocprim17ROCPRIM_400000_NS6detail17trampoline_kernelINS0_14default_configENS1_25partition_config_selectorILNS1_17partition_subalgoE5ElNS0_10empty_typeEbEEZZNS1_14partition_implILS5_5ELb0ES3_mN6hipcub16HIPCUB_304000_NS21CountingInputIteratorIllEEPS6_NSA_22TransformInputIteratorIb7NonZeroIiEPilEENS0_5tupleIJPlS6_EEENSJ_IJSD_SD_EEES6_SK_JS6_EEE10hipError_tPvRmT3_T4_T5_T6_T7_T9_mT8_P12ihipStream_tbDpT10_ENKUlT_T0_E_clISt17integral_constantIbLb0EES15_IbLb1EEEEDaS11_S12_EUlS11_E_NS1_11comp_targetILNS1_3genE10ELNS1_11target_archE1200ELNS1_3gpuE4ELNS1_3repE0EEENS1_30default_config_static_selectorELNS0_4arch9wavefront6targetE1EEEvT1_
	.p2align	8
	.type	_ZN7rocprim17ROCPRIM_400000_NS6detail17trampoline_kernelINS0_14default_configENS1_25partition_config_selectorILNS1_17partition_subalgoE5ElNS0_10empty_typeEbEEZZNS1_14partition_implILS5_5ELb0ES3_mN6hipcub16HIPCUB_304000_NS21CountingInputIteratorIllEEPS6_NSA_22TransformInputIteratorIb7NonZeroIiEPilEENS0_5tupleIJPlS6_EEENSJ_IJSD_SD_EEES6_SK_JS6_EEE10hipError_tPvRmT3_T4_T5_T6_T7_T9_mT8_P12ihipStream_tbDpT10_ENKUlT_T0_E_clISt17integral_constantIbLb0EES15_IbLb1EEEEDaS11_S12_EUlS11_E_NS1_11comp_targetILNS1_3genE10ELNS1_11target_archE1200ELNS1_3gpuE4ELNS1_3repE0EEENS1_30default_config_static_selectorELNS0_4arch9wavefront6targetE1EEEvT1_,@function
_ZN7rocprim17ROCPRIM_400000_NS6detail17trampoline_kernelINS0_14default_configENS1_25partition_config_selectorILNS1_17partition_subalgoE5ElNS0_10empty_typeEbEEZZNS1_14partition_implILS5_5ELb0ES3_mN6hipcub16HIPCUB_304000_NS21CountingInputIteratorIllEEPS6_NSA_22TransformInputIteratorIb7NonZeroIiEPilEENS0_5tupleIJPlS6_EEENSJ_IJSD_SD_EEES6_SK_JS6_EEE10hipError_tPvRmT3_T4_T5_T6_T7_T9_mT8_P12ihipStream_tbDpT10_ENKUlT_T0_E_clISt17integral_constantIbLb0EES15_IbLb1EEEEDaS11_S12_EUlS11_E_NS1_11comp_targetILNS1_3genE10ELNS1_11target_archE1200ELNS1_3gpuE4ELNS1_3repE0EEENS1_30default_config_static_selectorELNS0_4arch9wavefront6targetE1EEEvT1_: ; @_ZN7rocprim17ROCPRIM_400000_NS6detail17trampoline_kernelINS0_14default_configENS1_25partition_config_selectorILNS1_17partition_subalgoE5ElNS0_10empty_typeEbEEZZNS1_14partition_implILS5_5ELb0ES3_mN6hipcub16HIPCUB_304000_NS21CountingInputIteratorIllEEPS6_NSA_22TransformInputIteratorIb7NonZeroIiEPilEENS0_5tupleIJPlS6_EEENSJ_IJSD_SD_EEES6_SK_JS6_EEE10hipError_tPvRmT3_T4_T5_T6_T7_T9_mT8_P12ihipStream_tbDpT10_ENKUlT_T0_E_clISt17integral_constantIbLb0EES15_IbLb1EEEEDaS11_S12_EUlS11_E_NS1_11comp_targetILNS1_3genE10ELNS1_11target_archE1200ELNS1_3gpuE4ELNS1_3repE0EEENS1_30default_config_static_selectorELNS0_4arch9wavefront6targetE1EEEvT1_
; %bb.0:
	.section	.rodata,"a",@progbits
	.p2align	6, 0x0
	.amdhsa_kernel _ZN7rocprim17ROCPRIM_400000_NS6detail17trampoline_kernelINS0_14default_configENS1_25partition_config_selectorILNS1_17partition_subalgoE5ElNS0_10empty_typeEbEEZZNS1_14partition_implILS5_5ELb0ES3_mN6hipcub16HIPCUB_304000_NS21CountingInputIteratorIllEEPS6_NSA_22TransformInputIteratorIb7NonZeroIiEPilEENS0_5tupleIJPlS6_EEENSJ_IJSD_SD_EEES6_SK_JS6_EEE10hipError_tPvRmT3_T4_T5_T6_T7_T9_mT8_P12ihipStream_tbDpT10_ENKUlT_T0_E_clISt17integral_constantIbLb0EES15_IbLb1EEEEDaS11_S12_EUlS11_E_NS1_11comp_targetILNS1_3genE10ELNS1_11target_archE1200ELNS1_3gpuE4ELNS1_3repE0EEENS1_30default_config_static_selectorELNS0_4arch9wavefront6targetE1EEEvT1_
		.amdhsa_group_segment_fixed_size 0
		.amdhsa_private_segment_fixed_size 0
		.amdhsa_kernarg_size 136
		.amdhsa_user_sgpr_count 2
		.amdhsa_user_sgpr_dispatch_ptr 0
		.amdhsa_user_sgpr_queue_ptr 0
		.amdhsa_user_sgpr_kernarg_segment_ptr 1
		.amdhsa_user_sgpr_dispatch_id 0
		.amdhsa_user_sgpr_kernarg_preload_length 0
		.amdhsa_user_sgpr_kernarg_preload_offset 0
		.amdhsa_user_sgpr_private_segment_size 0
		.amdhsa_uses_dynamic_stack 0
		.amdhsa_enable_private_segment 0
		.amdhsa_system_sgpr_workgroup_id_x 1
		.amdhsa_system_sgpr_workgroup_id_y 0
		.amdhsa_system_sgpr_workgroup_id_z 0
		.amdhsa_system_sgpr_workgroup_info 0
		.amdhsa_system_vgpr_workitem_id 0
		.amdhsa_next_free_vgpr 1
		.amdhsa_next_free_sgpr 0
		.amdhsa_accum_offset 4
		.amdhsa_reserve_vcc 0
		.amdhsa_float_round_mode_32 0
		.amdhsa_float_round_mode_16_64 0
		.amdhsa_float_denorm_mode_32 3
		.amdhsa_float_denorm_mode_16_64 3
		.amdhsa_dx10_clamp 1
		.amdhsa_ieee_mode 1
		.amdhsa_fp16_overflow 0
		.amdhsa_tg_split 0
		.amdhsa_exception_fp_ieee_invalid_op 0
		.amdhsa_exception_fp_denorm_src 0
		.amdhsa_exception_fp_ieee_div_zero 0
		.amdhsa_exception_fp_ieee_overflow 0
		.amdhsa_exception_fp_ieee_underflow 0
		.amdhsa_exception_fp_ieee_inexact 0
		.amdhsa_exception_int_div_zero 0
	.end_amdhsa_kernel
	.section	.text._ZN7rocprim17ROCPRIM_400000_NS6detail17trampoline_kernelINS0_14default_configENS1_25partition_config_selectorILNS1_17partition_subalgoE5ElNS0_10empty_typeEbEEZZNS1_14partition_implILS5_5ELb0ES3_mN6hipcub16HIPCUB_304000_NS21CountingInputIteratorIllEEPS6_NSA_22TransformInputIteratorIb7NonZeroIiEPilEENS0_5tupleIJPlS6_EEENSJ_IJSD_SD_EEES6_SK_JS6_EEE10hipError_tPvRmT3_T4_T5_T6_T7_T9_mT8_P12ihipStream_tbDpT10_ENKUlT_T0_E_clISt17integral_constantIbLb0EES15_IbLb1EEEEDaS11_S12_EUlS11_E_NS1_11comp_targetILNS1_3genE10ELNS1_11target_archE1200ELNS1_3gpuE4ELNS1_3repE0EEENS1_30default_config_static_selectorELNS0_4arch9wavefront6targetE1EEEvT1_,"axG",@progbits,_ZN7rocprim17ROCPRIM_400000_NS6detail17trampoline_kernelINS0_14default_configENS1_25partition_config_selectorILNS1_17partition_subalgoE5ElNS0_10empty_typeEbEEZZNS1_14partition_implILS5_5ELb0ES3_mN6hipcub16HIPCUB_304000_NS21CountingInputIteratorIllEEPS6_NSA_22TransformInputIteratorIb7NonZeroIiEPilEENS0_5tupleIJPlS6_EEENSJ_IJSD_SD_EEES6_SK_JS6_EEE10hipError_tPvRmT3_T4_T5_T6_T7_T9_mT8_P12ihipStream_tbDpT10_ENKUlT_T0_E_clISt17integral_constantIbLb0EES15_IbLb1EEEEDaS11_S12_EUlS11_E_NS1_11comp_targetILNS1_3genE10ELNS1_11target_archE1200ELNS1_3gpuE4ELNS1_3repE0EEENS1_30default_config_static_selectorELNS0_4arch9wavefront6targetE1EEEvT1_,comdat
.Lfunc_end214:
	.size	_ZN7rocprim17ROCPRIM_400000_NS6detail17trampoline_kernelINS0_14default_configENS1_25partition_config_selectorILNS1_17partition_subalgoE5ElNS0_10empty_typeEbEEZZNS1_14partition_implILS5_5ELb0ES3_mN6hipcub16HIPCUB_304000_NS21CountingInputIteratorIllEEPS6_NSA_22TransformInputIteratorIb7NonZeroIiEPilEENS0_5tupleIJPlS6_EEENSJ_IJSD_SD_EEES6_SK_JS6_EEE10hipError_tPvRmT3_T4_T5_T6_T7_T9_mT8_P12ihipStream_tbDpT10_ENKUlT_T0_E_clISt17integral_constantIbLb0EES15_IbLb1EEEEDaS11_S12_EUlS11_E_NS1_11comp_targetILNS1_3genE10ELNS1_11target_archE1200ELNS1_3gpuE4ELNS1_3repE0EEENS1_30default_config_static_selectorELNS0_4arch9wavefront6targetE1EEEvT1_, .Lfunc_end214-_ZN7rocprim17ROCPRIM_400000_NS6detail17trampoline_kernelINS0_14default_configENS1_25partition_config_selectorILNS1_17partition_subalgoE5ElNS0_10empty_typeEbEEZZNS1_14partition_implILS5_5ELb0ES3_mN6hipcub16HIPCUB_304000_NS21CountingInputIteratorIllEEPS6_NSA_22TransformInputIteratorIb7NonZeroIiEPilEENS0_5tupleIJPlS6_EEENSJ_IJSD_SD_EEES6_SK_JS6_EEE10hipError_tPvRmT3_T4_T5_T6_T7_T9_mT8_P12ihipStream_tbDpT10_ENKUlT_T0_E_clISt17integral_constantIbLb0EES15_IbLb1EEEEDaS11_S12_EUlS11_E_NS1_11comp_targetILNS1_3genE10ELNS1_11target_archE1200ELNS1_3gpuE4ELNS1_3repE0EEENS1_30default_config_static_selectorELNS0_4arch9wavefront6targetE1EEEvT1_
                                        ; -- End function
	.set _ZN7rocprim17ROCPRIM_400000_NS6detail17trampoline_kernelINS0_14default_configENS1_25partition_config_selectorILNS1_17partition_subalgoE5ElNS0_10empty_typeEbEEZZNS1_14partition_implILS5_5ELb0ES3_mN6hipcub16HIPCUB_304000_NS21CountingInputIteratorIllEEPS6_NSA_22TransformInputIteratorIb7NonZeroIiEPilEENS0_5tupleIJPlS6_EEENSJ_IJSD_SD_EEES6_SK_JS6_EEE10hipError_tPvRmT3_T4_T5_T6_T7_T9_mT8_P12ihipStream_tbDpT10_ENKUlT_T0_E_clISt17integral_constantIbLb0EES15_IbLb1EEEEDaS11_S12_EUlS11_E_NS1_11comp_targetILNS1_3genE10ELNS1_11target_archE1200ELNS1_3gpuE4ELNS1_3repE0EEENS1_30default_config_static_selectorELNS0_4arch9wavefront6targetE1EEEvT1_.num_vgpr, 0
	.set _ZN7rocprim17ROCPRIM_400000_NS6detail17trampoline_kernelINS0_14default_configENS1_25partition_config_selectorILNS1_17partition_subalgoE5ElNS0_10empty_typeEbEEZZNS1_14partition_implILS5_5ELb0ES3_mN6hipcub16HIPCUB_304000_NS21CountingInputIteratorIllEEPS6_NSA_22TransformInputIteratorIb7NonZeroIiEPilEENS0_5tupleIJPlS6_EEENSJ_IJSD_SD_EEES6_SK_JS6_EEE10hipError_tPvRmT3_T4_T5_T6_T7_T9_mT8_P12ihipStream_tbDpT10_ENKUlT_T0_E_clISt17integral_constantIbLb0EES15_IbLb1EEEEDaS11_S12_EUlS11_E_NS1_11comp_targetILNS1_3genE10ELNS1_11target_archE1200ELNS1_3gpuE4ELNS1_3repE0EEENS1_30default_config_static_selectorELNS0_4arch9wavefront6targetE1EEEvT1_.num_agpr, 0
	.set _ZN7rocprim17ROCPRIM_400000_NS6detail17trampoline_kernelINS0_14default_configENS1_25partition_config_selectorILNS1_17partition_subalgoE5ElNS0_10empty_typeEbEEZZNS1_14partition_implILS5_5ELb0ES3_mN6hipcub16HIPCUB_304000_NS21CountingInputIteratorIllEEPS6_NSA_22TransformInputIteratorIb7NonZeroIiEPilEENS0_5tupleIJPlS6_EEENSJ_IJSD_SD_EEES6_SK_JS6_EEE10hipError_tPvRmT3_T4_T5_T6_T7_T9_mT8_P12ihipStream_tbDpT10_ENKUlT_T0_E_clISt17integral_constantIbLb0EES15_IbLb1EEEEDaS11_S12_EUlS11_E_NS1_11comp_targetILNS1_3genE10ELNS1_11target_archE1200ELNS1_3gpuE4ELNS1_3repE0EEENS1_30default_config_static_selectorELNS0_4arch9wavefront6targetE1EEEvT1_.numbered_sgpr, 0
	.set _ZN7rocprim17ROCPRIM_400000_NS6detail17trampoline_kernelINS0_14default_configENS1_25partition_config_selectorILNS1_17partition_subalgoE5ElNS0_10empty_typeEbEEZZNS1_14partition_implILS5_5ELb0ES3_mN6hipcub16HIPCUB_304000_NS21CountingInputIteratorIllEEPS6_NSA_22TransformInputIteratorIb7NonZeroIiEPilEENS0_5tupleIJPlS6_EEENSJ_IJSD_SD_EEES6_SK_JS6_EEE10hipError_tPvRmT3_T4_T5_T6_T7_T9_mT8_P12ihipStream_tbDpT10_ENKUlT_T0_E_clISt17integral_constantIbLb0EES15_IbLb1EEEEDaS11_S12_EUlS11_E_NS1_11comp_targetILNS1_3genE10ELNS1_11target_archE1200ELNS1_3gpuE4ELNS1_3repE0EEENS1_30default_config_static_selectorELNS0_4arch9wavefront6targetE1EEEvT1_.num_named_barrier, 0
	.set _ZN7rocprim17ROCPRIM_400000_NS6detail17trampoline_kernelINS0_14default_configENS1_25partition_config_selectorILNS1_17partition_subalgoE5ElNS0_10empty_typeEbEEZZNS1_14partition_implILS5_5ELb0ES3_mN6hipcub16HIPCUB_304000_NS21CountingInputIteratorIllEEPS6_NSA_22TransformInputIteratorIb7NonZeroIiEPilEENS0_5tupleIJPlS6_EEENSJ_IJSD_SD_EEES6_SK_JS6_EEE10hipError_tPvRmT3_T4_T5_T6_T7_T9_mT8_P12ihipStream_tbDpT10_ENKUlT_T0_E_clISt17integral_constantIbLb0EES15_IbLb1EEEEDaS11_S12_EUlS11_E_NS1_11comp_targetILNS1_3genE10ELNS1_11target_archE1200ELNS1_3gpuE4ELNS1_3repE0EEENS1_30default_config_static_selectorELNS0_4arch9wavefront6targetE1EEEvT1_.private_seg_size, 0
	.set _ZN7rocprim17ROCPRIM_400000_NS6detail17trampoline_kernelINS0_14default_configENS1_25partition_config_selectorILNS1_17partition_subalgoE5ElNS0_10empty_typeEbEEZZNS1_14partition_implILS5_5ELb0ES3_mN6hipcub16HIPCUB_304000_NS21CountingInputIteratorIllEEPS6_NSA_22TransformInputIteratorIb7NonZeroIiEPilEENS0_5tupleIJPlS6_EEENSJ_IJSD_SD_EEES6_SK_JS6_EEE10hipError_tPvRmT3_T4_T5_T6_T7_T9_mT8_P12ihipStream_tbDpT10_ENKUlT_T0_E_clISt17integral_constantIbLb0EES15_IbLb1EEEEDaS11_S12_EUlS11_E_NS1_11comp_targetILNS1_3genE10ELNS1_11target_archE1200ELNS1_3gpuE4ELNS1_3repE0EEENS1_30default_config_static_selectorELNS0_4arch9wavefront6targetE1EEEvT1_.uses_vcc, 0
	.set _ZN7rocprim17ROCPRIM_400000_NS6detail17trampoline_kernelINS0_14default_configENS1_25partition_config_selectorILNS1_17partition_subalgoE5ElNS0_10empty_typeEbEEZZNS1_14partition_implILS5_5ELb0ES3_mN6hipcub16HIPCUB_304000_NS21CountingInputIteratorIllEEPS6_NSA_22TransformInputIteratorIb7NonZeroIiEPilEENS0_5tupleIJPlS6_EEENSJ_IJSD_SD_EEES6_SK_JS6_EEE10hipError_tPvRmT3_T4_T5_T6_T7_T9_mT8_P12ihipStream_tbDpT10_ENKUlT_T0_E_clISt17integral_constantIbLb0EES15_IbLb1EEEEDaS11_S12_EUlS11_E_NS1_11comp_targetILNS1_3genE10ELNS1_11target_archE1200ELNS1_3gpuE4ELNS1_3repE0EEENS1_30default_config_static_selectorELNS0_4arch9wavefront6targetE1EEEvT1_.uses_flat_scratch, 0
	.set _ZN7rocprim17ROCPRIM_400000_NS6detail17trampoline_kernelINS0_14default_configENS1_25partition_config_selectorILNS1_17partition_subalgoE5ElNS0_10empty_typeEbEEZZNS1_14partition_implILS5_5ELb0ES3_mN6hipcub16HIPCUB_304000_NS21CountingInputIteratorIllEEPS6_NSA_22TransformInputIteratorIb7NonZeroIiEPilEENS0_5tupleIJPlS6_EEENSJ_IJSD_SD_EEES6_SK_JS6_EEE10hipError_tPvRmT3_T4_T5_T6_T7_T9_mT8_P12ihipStream_tbDpT10_ENKUlT_T0_E_clISt17integral_constantIbLb0EES15_IbLb1EEEEDaS11_S12_EUlS11_E_NS1_11comp_targetILNS1_3genE10ELNS1_11target_archE1200ELNS1_3gpuE4ELNS1_3repE0EEENS1_30default_config_static_selectorELNS0_4arch9wavefront6targetE1EEEvT1_.has_dyn_sized_stack, 0
	.set _ZN7rocprim17ROCPRIM_400000_NS6detail17trampoline_kernelINS0_14default_configENS1_25partition_config_selectorILNS1_17partition_subalgoE5ElNS0_10empty_typeEbEEZZNS1_14partition_implILS5_5ELb0ES3_mN6hipcub16HIPCUB_304000_NS21CountingInputIteratorIllEEPS6_NSA_22TransformInputIteratorIb7NonZeroIiEPilEENS0_5tupleIJPlS6_EEENSJ_IJSD_SD_EEES6_SK_JS6_EEE10hipError_tPvRmT3_T4_T5_T6_T7_T9_mT8_P12ihipStream_tbDpT10_ENKUlT_T0_E_clISt17integral_constantIbLb0EES15_IbLb1EEEEDaS11_S12_EUlS11_E_NS1_11comp_targetILNS1_3genE10ELNS1_11target_archE1200ELNS1_3gpuE4ELNS1_3repE0EEENS1_30default_config_static_selectorELNS0_4arch9wavefront6targetE1EEEvT1_.has_recursion, 0
	.set _ZN7rocprim17ROCPRIM_400000_NS6detail17trampoline_kernelINS0_14default_configENS1_25partition_config_selectorILNS1_17partition_subalgoE5ElNS0_10empty_typeEbEEZZNS1_14partition_implILS5_5ELb0ES3_mN6hipcub16HIPCUB_304000_NS21CountingInputIteratorIllEEPS6_NSA_22TransformInputIteratorIb7NonZeroIiEPilEENS0_5tupleIJPlS6_EEENSJ_IJSD_SD_EEES6_SK_JS6_EEE10hipError_tPvRmT3_T4_T5_T6_T7_T9_mT8_P12ihipStream_tbDpT10_ENKUlT_T0_E_clISt17integral_constantIbLb0EES15_IbLb1EEEEDaS11_S12_EUlS11_E_NS1_11comp_targetILNS1_3genE10ELNS1_11target_archE1200ELNS1_3gpuE4ELNS1_3repE0EEENS1_30default_config_static_selectorELNS0_4arch9wavefront6targetE1EEEvT1_.has_indirect_call, 0
	.section	.AMDGPU.csdata,"",@progbits
; Kernel info:
; codeLenInByte = 0
; TotalNumSgprs: 6
; NumVgprs: 0
; NumAgprs: 0
; TotalNumVgprs: 0
; ScratchSize: 0
; MemoryBound: 0
; FloatMode: 240
; IeeeMode: 1
; LDSByteSize: 0 bytes/workgroup (compile time only)
; SGPRBlocks: 0
; VGPRBlocks: 0
; NumSGPRsForWavesPerEU: 6
; NumVGPRsForWavesPerEU: 1
; AccumOffset: 4
; Occupancy: 8
; WaveLimiterHint : 0
; COMPUTE_PGM_RSRC2:SCRATCH_EN: 0
; COMPUTE_PGM_RSRC2:USER_SGPR: 2
; COMPUTE_PGM_RSRC2:TRAP_HANDLER: 0
; COMPUTE_PGM_RSRC2:TGID_X_EN: 1
; COMPUTE_PGM_RSRC2:TGID_Y_EN: 0
; COMPUTE_PGM_RSRC2:TGID_Z_EN: 0
; COMPUTE_PGM_RSRC2:TIDIG_COMP_CNT: 0
; COMPUTE_PGM_RSRC3_GFX90A:ACCUM_OFFSET: 0
; COMPUTE_PGM_RSRC3_GFX90A:TG_SPLIT: 0
	.section	.text._ZN7rocprim17ROCPRIM_400000_NS6detail17trampoline_kernelINS0_14default_configENS1_25partition_config_selectorILNS1_17partition_subalgoE5ElNS0_10empty_typeEbEEZZNS1_14partition_implILS5_5ELb0ES3_mN6hipcub16HIPCUB_304000_NS21CountingInputIteratorIllEEPS6_NSA_22TransformInputIteratorIb7NonZeroIiEPilEENS0_5tupleIJPlS6_EEENSJ_IJSD_SD_EEES6_SK_JS6_EEE10hipError_tPvRmT3_T4_T5_T6_T7_T9_mT8_P12ihipStream_tbDpT10_ENKUlT_T0_E_clISt17integral_constantIbLb0EES15_IbLb1EEEEDaS11_S12_EUlS11_E_NS1_11comp_targetILNS1_3genE9ELNS1_11target_archE1100ELNS1_3gpuE3ELNS1_3repE0EEENS1_30default_config_static_selectorELNS0_4arch9wavefront6targetE1EEEvT1_,"axG",@progbits,_ZN7rocprim17ROCPRIM_400000_NS6detail17trampoline_kernelINS0_14default_configENS1_25partition_config_selectorILNS1_17partition_subalgoE5ElNS0_10empty_typeEbEEZZNS1_14partition_implILS5_5ELb0ES3_mN6hipcub16HIPCUB_304000_NS21CountingInputIteratorIllEEPS6_NSA_22TransformInputIteratorIb7NonZeroIiEPilEENS0_5tupleIJPlS6_EEENSJ_IJSD_SD_EEES6_SK_JS6_EEE10hipError_tPvRmT3_T4_T5_T6_T7_T9_mT8_P12ihipStream_tbDpT10_ENKUlT_T0_E_clISt17integral_constantIbLb0EES15_IbLb1EEEEDaS11_S12_EUlS11_E_NS1_11comp_targetILNS1_3genE9ELNS1_11target_archE1100ELNS1_3gpuE3ELNS1_3repE0EEENS1_30default_config_static_selectorELNS0_4arch9wavefront6targetE1EEEvT1_,comdat
	.protected	_ZN7rocprim17ROCPRIM_400000_NS6detail17trampoline_kernelINS0_14default_configENS1_25partition_config_selectorILNS1_17partition_subalgoE5ElNS0_10empty_typeEbEEZZNS1_14partition_implILS5_5ELb0ES3_mN6hipcub16HIPCUB_304000_NS21CountingInputIteratorIllEEPS6_NSA_22TransformInputIteratorIb7NonZeroIiEPilEENS0_5tupleIJPlS6_EEENSJ_IJSD_SD_EEES6_SK_JS6_EEE10hipError_tPvRmT3_T4_T5_T6_T7_T9_mT8_P12ihipStream_tbDpT10_ENKUlT_T0_E_clISt17integral_constantIbLb0EES15_IbLb1EEEEDaS11_S12_EUlS11_E_NS1_11comp_targetILNS1_3genE9ELNS1_11target_archE1100ELNS1_3gpuE3ELNS1_3repE0EEENS1_30default_config_static_selectorELNS0_4arch9wavefront6targetE1EEEvT1_ ; -- Begin function _ZN7rocprim17ROCPRIM_400000_NS6detail17trampoline_kernelINS0_14default_configENS1_25partition_config_selectorILNS1_17partition_subalgoE5ElNS0_10empty_typeEbEEZZNS1_14partition_implILS5_5ELb0ES3_mN6hipcub16HIPCUB_304000_NS21CountingInputIteratorIllEEPS6_NSA_22TransformInputIteratorIb7NonZeroIiEPilEENS0_5tupleIJPlS6_EEENSJ_IJSD_SD_EEES6_SK_JS6_EEE10hipError_tPvRmT3_T4_T5_T6_T7_T9_mT8_P12ihipStream_tbDpT10_ENKUlT_T0_E_clISt17integral_constantIbLb0EES15_IbLb1EEEEDaS11_S12_EUlS11_E_NS1_11comp_targetILNS1_3genE9ELNS1_11target_archE1100ELNS1_3gpuE3ELNS1_3repE0EEENS1_30default_config_static_selectorELNS0_4arch9wavefront6targetE1EEEvT1_
	.globl	_ZN7rocprim17ROCPRIM_400000_NS6detail17trampoline_kernelINS0_14default_configENS1_25partition_config_selectorILNS1_17partition_subalgoE5ElNS0_10empty_typeEbEEZZNS1_14partition_implILS5_5ELb0ES3_mN6hipcub16HIPCUB_304000_NS21CountingInputIteratorIllEEPS6_NSA_22TransformInputIteratorIb7NonZeroIiEPilEENS0_5tupleIJPlS6_EEENSJ_IJSD_SD_EEES6_SK_JS6_EEE10hipError_tPvRmT3_T4_T5_T6_T7_T9_mT8_P12ihipStream_tbDpT10_ENKUlT_T0_E_clISt17integral_constantIbLb0EES15_IbLb1EEEEDaS11_S12_EUlS11_E_NS1_11comp_targetILNS1_3genE9ELNS1_11target_archE1100ELNS1_3gpuE3ELNS1_3repE0EEENS1_30default_config_static_selectorELNS0_4arch9wavefront6targetE1EEEvT1_
	.p2align	8
	.type	_ZN7rocprim17ROCPRIM_400000_NS6detail17trampoline_kernelINS0_14default_configENS1_25partition_config_selectorILNS1_17partition_subalgoE5ElNS0_10empty_typeEbEEZZNS1_14partition_implILS5_5ELb0ES3_mN6hipcub16HIPCUB_304000_NS21CountingInputIteratorIllEEPS6_NSA_22TransformInputIteratorIb7NonZeroIiEPilEENS0_5tupleIJPlS6_EEENSJ_IJSD_SD_EEES6_SK_JS6_EEE10hipError_tPvRmT3_T4_T5_T6_T7_T9_mT8_P12ihipStream_tbDpT10_ENKUlT_T0_E_clISt17integral_constantIbLb0EES15_IbLb1EEEEDaS11_S12_EUlS11_E_NS1_11comp_targetILNS1_3genE9ELNS1_11target_archE1100ELNS1_3gpuE3ELNS1_3repE0EEENS1_30default_config_static_selectorELNS0_4arch9wavefront6targetE1EEEvT1_,@function
_ZN7rocprim17ROCPRIM_400000_NS6detail17trampoline_kernelINS0_14default_configENS1_25partition_config_selectorILNS1_17partition_subalgoE5ElNS0_10empty_typeEbEEZZNS1_14partition_implILS5_5ELb0ES3_mN6hipcub16HIPCUB_304000_NS21CountingInputIteratorIllEEPS6_NSA_22TransformInputIteratorIb7NonZeroIiEPilEENS0_5tupleIJPlS6_EEENSJ_IJSD_SD_EEES6_SK_JS6_EEE10hipError_tPvRmT3_T4_T5_T6_T7_T9_mT8_P12ihipStream_tbDpT10_ENKUlT_T0_E_clISt17integral_constantIbLb0EES15_IbLb1EEEEDaS11_S12_EUlS11_E_NS1_11comp_targetILNS1_3genE9ELNS1_11target_archE1100ELNS1_3gpuE3ELNS1_3repE0EEENS1_30default_config_static_selectorELNS0_4arch9wavefront6targetE1EEEvT1_: ; @_ZN7rocprim17ROCPRIM_400000_NS6detail17trampoline_kernelINS0_14default_configENS1_25partition_config_selectorILNS1_17partition_subalgoE5ElNS0_10empty_typeEbEEZZNS1_14partition_implILS5_5ELb0ES3_mN6hipcub16HIPCUB_304000_NS21CountingInputIteratorIllEEPS6_NSA_22TransformInputIteratorIb7NonZeroIiEPilEENS0_5tupleIJPlS6_EEENSJ_IJSD_SD_EEES6_SK_JS6_EEE10hipError_tPvRmT3_T4_T5_T6_T7_T9_mT8_P12ihipStream_tbDpT10_ENKUlT_T0_E_clISt17integral_constantIbLb0EES15_IbLb1EEEEDaS11_S12_EUlS11_E_NS1_11comp_targetILNS1_3genE9ELNS1_11target_archE1100ELNS1_3gpuE3ELNS1_3repE0EEENS1_30default_config_static_selectorELNS0_4arch9wavefront6targetE1EEEvT1_
; %bb.0:
	.section	.rodata,"a",@progbits
	.p2align	6, 0x0
	.amdhsa_kernel _ZN7rocprim17ROCPRIM_400000_NS6detail17trampoline_kernelINS0_14default_configENS1_25partition_config_selectorILNS1_17partition_subalgoE5ElNS0_10empty_typeEbEEZZNS1_14partition_implILS5_5ELb0ES3_mN6hipcub16HIPCUB_304000_NS21CountingInputIteratorIllEEPS6_NSA_22TransformInputIteratorIb7NonZeroIiEPilEENS0_5tupleIJPlS6_EEENSJ_IJSD_SD_EEES6_SK_JS6_EEE10hipError_tPvRmT3_T4_T5_T6_T7_T9_mT8_P12ihipStream_tbDpT10_ENKUlT_T0_E_clISt17integral_constantIbLb0EES15_IbLb1EEEEDaS11_S12_EUlS11_E_NS1_11comp_targetILNS1_3genE9ELNS1_11target_archE1100ELNS1_3gpuE3ELNS1_3repE0EEENS1_30default_config_static_selectorELNS0_4arch9wavefront6targetE1EEEvT1_
		.amdhsa_group_segment_fixed_size 0
		.amdhsa_private_segment_fixed_size 0
		.amdhsa_kernarg_size 136
		.amdhsa_user_sgpr_count 2
		.amdhsa_user_sgpr_dispatch_ptr 0
		.amdhsa_user_sgpr_queue_ptr 0
		.amdhsa_user_sgpr_kernarg_segment_ptr 1
		.amdhsa_user_sgpr_dispatch_id 0
		.amdhsa_user_sgpr_kernarg_preload_length 0
		.amdhsa_user_sgpr_kernarg_preload_offset 0
		.amdhsa_user_sgpr_private_segment_size 0
		.amdhsa_uses_dynamic_stack 0
		.amdhsa_enable_private_segment 0
		.amdhsa_system_sgpr_workgroup_id_x 1
		.amdhsa_system_sgpr_workgroup_id_y 0
		.amdhsa_system_sgpr_workgroup_id_z 0
		.amdhsa_system_sgpr_workgroup_info 0
		.amdhsa_system_vgpr_workitem_id 0
		.amdhsa_next_free_vgpr 1
		.amdhsa_next_free_sgpr 0
		.amdhsa_accum_offset 4
		.amdhsa_reserve_vcc 0
		.amdhsa_float_round_mode_32 0
		.amdhsa_float_round_mode_16_64 0
		.amdhsa_float_denorm_mode_32 3
		.amdhsa_float_denorm_mode_16_64 3
		.amdhsa_dx10_clamp 1
		.amdhsa_ieee_mode 1
		.amdhsa_fp16_overflow 0
		.amdhsa_tg_split 0
		.amdhsa_exception_fp_ieee_invalid_op 0
		.amdhsa_exception_fp_denorm_src 0
		.amdhsa_exception_fp_ieee_div_zero 0
		.amdhsa_exception_fp_ieee_overflow 0
		.amdhsa_exception_fp_ieee_underflow 0
		.amdhsa_exception_fp_ieee_inexact 0
		.amdhsa_exception_int_div_zero 0
	.end_amdhsa_kernel
	.section	.text._ZN7rocprim17ROCPRIM_400000_NS6detail17trampoline_kernelINS0_14default_configENS1_25partition_config_selectorILNS1_17partition_subalgoE5ElNS0_10empty_typeEbEEZZNS1_14partition_implILS5_5ELb0ES3_mN6hipcub16HIPCUB_304000_NS21CountingInputIteratorIllEEPS6_NSA_22TransformInputIteratorIb7NonZeroIiEPilEENS0_5tupleIJPlS6_EEENSJ_IJSD_SD_EEES6_SK_JS6_EEE10hipError_tPvRmT3_T4_T5_T6_T7_T9_mT8_P12ihipStream_tbDpT10_ENKUlT_T0_E_clISt17integral_constantIbLb0EES15_IbLb1EEEEDaS11_S12_EUlS11_E_NS1_11comp_targetILNS1_3genE9ELNS1_11target_archE1100ELNS1_3gpuE3ELNS1_3repE0EEENS1_30default_config_static_selectorELNS0_4arch9wavefront6targetE1EEEvT1_,"axG",@progbits,_ZN7rocprim17ROCPRIM_400000_NS6detail17trampoline_kernelINS0_14default_configENS1_25partition_config_selectorILNS1_17partition_subalgoE5ElNS0_10empty_typeEbEEZZNS1_14partition_implILS5_5ELb0ES3_mN6hipcub16HIPCUB_304000_NS21CountingInputIteratorIllEEPS6_NSA_22TransformInputIteratorIb7NonZeroIiEPilEENS0_5tupleIJPlS6_EEENSJ_IJSD_SD_EEES6_SK_JS6_EEE10hipError_tPvRmT3_T4_T5_T6_T7_T9_mT8_P12ihipStream_tbDpT10_ENKUlT_T0_E_clISt17integral_constantIbLb0EES15_IbLb1EEEEDaS11_S12_EUlS11_E_NS1_11comp_targetILNS1_3genE9ELNS1_11target_archE1100ELNS1_3gpuE3ELNS1_3repE0EEENS1_30default_config_static_selectorELNS0_4arch9wavefront6targetE1EEEvT1_,comdat
.Lfunc_end215:
	.size	_ZN7rocprim17ROCPRIM_400000_NS6detail17trampoline_kernelINS0_14default_configENS1_25partition_config_selectorILNS1_17partition_subalgoE5ElNS0_10empty_typeEbEEZZNS1_14partition_implILS5_5ELb0ES3_mN6hipcub16HIPCUB_304000_NS21CountingInputIteratorIllEEPS6_NSA_22TransformInputIteratorIb7NonZeroIiEPilEENS0_5tupleIJPlS6_EEENSJ_IJSD_SD_EEES6_SK_JS6_EEE10hipError_tPvRmT3_T4_T5_T6_T7_T9_mT8_P12ihipStream_tbDpT10_ENKUlT_T0_E_clISt17integral_constantIbLb0EES15_IbLb1EEEEDaS11_S12_EUlS11_E_NS1_11comp_targetILNS1_3genE9ELNS1_11target_archE1100ELNS1_3gpuE3ELNS1_3repE0EEENS1_30default_config_static_selectorELNS0_4arch9wavefront6targetE1EEEvT1_, .Lfunc_end215-_ZN7rocprim17ROCPRIM_400000_NS6detail17trampoline_kernelINS0_14default_configENS1_25partition_config_selectorILNS1_17partition_subalgoE5ElNS0_10empty_typeEbEEZZNS1_14partition_implILS5_5ELb0ES3_mN6hipcub16HIPCUB_304000_NS21CountingInputIteratorIllEEPS6_NSA_22TransformInputIteratorIb7NonZeroIiEPilEENS0_5tupleIJPlS6_EEENSJ_IJSD_SD_EEES6_SK_JS6_EEE10hipError_tPvRmT3_T4_T5_T6_T7_T9_mT8_P12ihipStream_tbDpT10_ENKUlT_T0_E_clISt17integral_constantIbLb0EES15_IbLb1EEEEDaS11_S12_EUlS11_E_NS1_11comp_targetILNS1_3genE9ELNS1_11target_archE1100ELNS1_3gpuE3ELNS1_3repE0EEENS1_30default_config_static_selectorELNS0_4arch9wavefront6targetE1EEEvT1_
                                        ; -- End function
	.set _ZN7rocprim17ROCPRIM_400000_NS6detail17trampoline_kernelINS0_14default_configENS1_25partition_config_selectorILNS1_17partition_subalgoE5ElNS0_10empty_typeEbEEZZNS1_14partition_implILS5_5ELb0ES3_mN6hipcub16HIPCUB_304000_NS21CountingInputIteratorIllEEPS6_NSA_22TransformInputIteratorIb7NonZeroIiEPilEENS0_5tupleIJPlS6_EEENSJ_IJSD_SD_EEES6_SK_JS6_EEE10hipError_tPvRmT3_T4_T5_T6_T7_T9_mT8_P12ihipStream_tbDpT10_ENKUlT_T0_E_clISt17integral_constantIbLb0EES15_IbLb1EEEEDaS11_S12_EUlS11_E_NS1_11comp_targetILNS1_3genE9ELNS1_11target_archE1100ELNS1_3gpuE3ELNS1_3repE0EEENS1_30default_config_static_selectorELNS0_4arch9wavefront6targetE1EEEvT1_.num_vgpr, 0
	.set _ZN7rocprim17ROCPRIM_400000_NS6detail17trampoline_kernelINS0_14default_configENS1_25partition_config_selectorILNS1_17partition_subalgoE5ElNS0_10empty_typeEbEEZZNS1_14partition_implILS5_5ELb0ES3_mN6hipcub16HIPCUB_304000_NS21CountingInputIteratorIllEEPS6_NSA_22TransformInputIteratorIb7NonZeroIiEPilEENS0_5tupleIJPlS6_EEENSJ_IJSD_SD_EEES6_SK_JS6_EEE10hipError_tPvRmT3_T4_T5_T6_T7_T9_mT8_P12ihipStream_tbDpT10_ENKUlT_T0_E_clISt17integral_constantIbLb0EES15_IbLb1EEEEDaS11_S12_EUlS11_E_NS1_11comp_targetILNS1_3genE9ELNS1_11target_archE1100ELNS1_3gpuE3ELNS1_3repE0EEENS1_30default_config_static_selectorELNS0_4arch9wavefront6targetE1EEEvT1_.num_agpr, 0
	.set _ZN7rocprim17ROCPRIM_400000_NS6detail17trampoline_kernelINS0_14default_configENS1_25partition_config_selectorILNS1_17partition_subalgoE5ElNS0_10empty_typeEbEEZZNS1_14partition_implILS5_5ELb0ES3_mN6hipcub16HIPCUB_304000_NS21CountingInputIteratorIllEEPS6_NSA_22TransformInputIteratorIb7NonZeroIiEPilEENS0_5tupleIJPlS6_EEENSJ_IJSD_SD_EEES6_SK_JS6_EEE10hipError_tPvRmT3_T4_T5_T6_T7_T9_mT8_P12ihipStream_tbDpT10_ENKUlT_T0_E_clISt17integral_constantIbLb0EES15_IbLb1EEEEDaS11_S12_EUlS11_E_NS1_11comp_targetILNS1_3genE9ELNS1_11target_archE1100ELNS1_3gpuE3ELNS1_3repE0EEENS1_30default_config_static_selectorELNS0_4arch9wavefront6targetE1EEEvT1_.numbered_sgpr, 0
	.set _ZN7rocprim17ROCPRIM_400000_NS6detail17trampoline_kernelINS0_14default_configENS1_25partition_config_selectorILNS1_17partition_subalgoE5ElNS0_10empty_typeEbEEZZNS1_14partition_implILS5_5ELb0ES3_mN6hipcub16HIPCUB_304000_NS21CountingInputIteratorIllEEPS6_NSA_22TransformInputIteratorIb7NonZeroIiEPilEENS0_5tupleIJPlS6_EEENSJ_IJSD_SD_EEES6_SK_JS6_EEE10hipError_tPvRmT3_T4_T5_T6_T7_T9_mT8_P12ihipStream_tbDpT10_ENKUlT_T0_E_clISt17integral_constantIbLb0EES15_IbLb1EEEEDaS11_S12_EUlS11_E_NS1_11comp_targetILNS1_3genE9ELNS1_11target_archE1100ELNS1_3gpuE3ELNS1_3repE0EEENS1_30default_config_static_selectorELNS0_4arch9wavefront6targetE1EEEvT1_.num_named_barrier, 0
	.set _ZN7rocprim17ROCPRIM_400000_NS6detail17trampoline_kernelINS0_14default_configENS1_25partition_config_selectorILNS1_17partition_subalgoE5ElNS0_10empty_typeEbEEZZNS1_14partition_implILS5_5ELb0ES3_mN6hipcub16HIPCUB_304000_NS21CountingInputIteratorIllEEPS6_NSA_22TransformInputIteratorIb7NonZeroIiEPilEENS0_5tupleIJPlS6_EEENSJ_IJSD_SD_EEES6_SK_JS6_EEE10hipError_tPvRmT3_T4_T5_T6_T7_T9_mT8_P12ihipStream_tbDpT10_ENKUlT_T0_E_clISt17integral_constantIbLb0EES15_IbLb1EEEEDaS11_S12_EUlS11_E_NS1_11comp_targetILNS1_3genE9ELNS1_11target_archE1100ELNS1_3gpuE3ELNS1_3repE0EEENS1_30default_config_static_selectorELNS0_4arch9wavefront6targetE1EEEvT1_.private_seg_size, 0
	.set _ZN7rocprim17ROCPRIM_400000_NS6detail17trampoline_kernelINS0_14default_configENS1_25partition_config_selectorILNS1_17partition_subalgoE5ElNS0_10empty_typeEbEEZZNS1_14partition_implILS5_5ELb0ES3_mN6hipcub16HIPCUB_304000_NS21CountingInputIteratorIllEEPS6_NSA_22TransformInputIteratorIb7NonZeroIiEPilEENS0_5tupleIJPlS6_EEENSJ_IJSD_SD_EEES6_SK_JS6_EEE10hipError_tPvRmT3_T4_T5_T6_T7_T9_mT8_P12ihipStream_tbDpT10_ENKUlT_T0_E_clISt17integral_constantIbLb0EES15_IbLb1EEEEDaS11_S12_EUlS11_E_NS1_11comp_targetILNS1_3genE9ELNS1_11target_archE1100ELNS1_3gpuE3ELNS1_3repE0EEENS1_30default_config_static_selectorELNS0_4arch9wavefront6targetE1EEEvT1_.uses_vcc, 0
	.set _ZN7rocprim17ROCPRIM_400000_NS6detail17trampoline_kernelINS0_14default_configENS1_25partition_config_selectorILNS1_17partition_subalgoE5ElNS0_10empty_typeEbEEZZNS1_14partition_implILS5_5ELb0ES3_mN6hipcub16HIPCUB_304000_NS21CountingInputIteratorIllEEPS6_NSA_22TransformInputIteratorIb7NonZeroIiEPilEENS0_5tupleIJPlS6_EEENSJ_IJSD_SD_EEES6_SK_JS6_EEE10hipError_tPvRmT3_T4_T5_T6_T7_T9_mT8_P12ihipStream_tbDpT10_ENKUlT_T0_E_clISt17integral_constantIbLb0EES15_IbLb1EEEEDaS11_S12_EUlS11_E_NS1_11comp_targetILNS1_3genE9ELNS1_11target_archE1100ELNS1_3gpuE3ELNS1_3repE0EEENS1_30default_config_static_selectorELNS0_4arch9wavefront6targetE1EEEvT1_.uses_flat_scratch, 0
	.set _ZN7rocprim17ROCPRIM_400000_NS6detail17trampoline_kernelINS0_14default_configENS1_25partition_config_selectorILNS1_17partition_subalgoE5ElNS0_10empty_typeEbEEZZNS1_14partition_implILS5_5ELb0ES3_mN6hipcub16HIPCUB_304000_NS21CountingInputIteratorIllEEPS6_NSA_22TransformInputIteratorIb7NonZeroIiEPilEENS0_5tupleIJPlS6_EEENSJ_IJSD_SD_EEES6_SK_JS6_EEE10hipError_tPvRmT3_T4_T5_T6_T7_T9_mT8_P12ihipStream_tbDpT10_ENKUlT_T0_E_clISt17integral_constantIbLb0EES15_IbLb1EEEEDaS11_S12_EUlS11_E_NS1_11comp_targetILNS1_3genE9ELNS1_11target_archE1100ELNS1_3gpuE3ELNS1_3repE0EEENS1_30default_config_static_selectorELNS0_4arch9wavefront6targetE1EEEvT1_.has_dyn_sized_stack, 0
	.set _ZN7rocprim17ROCPRIM_400000_NS6detail17trampoline_kernelINS0_14default_configENS1_25partition_config_selectorILNS1_17partition_subalgoE5ElNS0_10empty_typeEbEEZZNS1_14partition_implILS5_5ELb0ES3_mN6hipcub16HIPCUB_304000_NS21CountingInputIteratorIllEEPS6_NSA_22TransformInputIteratorIb7NonZeroIiEPilEENS0_5tupleIJPlS6_EEENSJ_IJSD_SD_EEES6_SK_JS6_EEE10hipError_tPvRmT3_T4_T5_T6_T7_T9_mT8_P12ihipStream_tbDpT10_ENKUlT_T0_E_clISt17integral_constantIbLb0EES15_IbLb1EEEEDaS11_S12_EUlS11_E_NS1_11comp_targetILNS1_3genE9ELNS1_11target_archE1100ELNS1_3gpuE3ELNS1_3repE0EEENS1_30default_config_static_selectorELNS0_4arch9wavefront6targetE1EEEvT1_.has_recursion, 0
	.set _ZN7rocprim17ROCPRIM_400000_NS6detail17trampoline_kernelINS0_14default_configENS1_25partition_config_selectorILNS1_17partition_subalgoE5ElNS0_10empty_typeEbEEZZNS1_14partition_implILS5_5ELb0ES3_mN6hipcub16HIPCUB_304000_NS21CountingInputIteratorIllEEPS6_NSA_22TransformInputIteratorIb7NonZeroIiEPilEENS0_5tupleIJPlS6_EEENSJ_IJSD_SD_EEES6_SK_JS6_EEE10hipError_tPvRmT3_T4_T5_T6_T7_T9_mT8_P12ihipStream_tbDpT10_ENKUlT_T0_E_clISt17integral_constantIbLb0EES15_IbLb1EEEEDaS11_S12_EUlS11_E_NS1_11comp_targetILNS1_3genE9ELNS1_11target_archE1100ELNS1_3gpuE3ELNS1_3repE0EEENS1_30default_config_static_selectorELNS0_4arch9wavefront6targetE1EEEvT1_.has_indirect_call, 0
	.section	.AMDGPU.csdata,"",@progbits
; Kernel info:
; codeLenInByte = 0
; TotalNumSgprs: 6
; NumVgprs: 0
; NumAgprs: 0
; TotalNumVgprs: 0
; ScratchSize: 0
; MemoryBound: 0
; FloatMode: 240
; IeeeMode: 1
; LDSByteSize: 0 bytes/workgroup (compile time only)
; SGPRBlocks: 0
; VGPRBlocks: 0
; NumSGPRsForWavesPerEU: 6
; NumVGPRsForWavesPerEU: 1
; AccumOffset: 4
; Occupancy: 8
; WaveLimiterHint : 0
; COMPUTE_PGM_RSRC2:SCRATCH_EN: 0
; COMPUTE_PGM_RSRC2:USER_SGPR: 2
; COMPUTE_PGM_RSRC2:TRAP_HANDLER: 0
; COMPUTE_PGM_RSRC2:TGID_X_EN: 1
; COMPUTE_PGM_RSRC2:TGID_Y_EN: 0
; COMPUTE_PGM_RSRC2:TGID_Z_EN: 0
; COMPUTE_PGM_RSRC2:TIDIG_COMP_CNT: 0
; COMPUTE_PGM_RSRC3_GFX90A:ACCUM_OFFSET: 0
; COMPUTE_PGM_RSRC3_GFX90A:TG_SPLIT: 0
	.section	.text._ZN7rocprim17ROCPRIM_400000_NS6detail17trampoline_kernelINS0_14default_configENS1_25partition_config_selectorILNS1_17partition_subalgoE5ElNS0_10empty_typeEbEEZZNS1_14partition_implILS5_5ELb0ES3_mN6hipcub16HIPCUB_304000_NS21CountingInputIteratorIllEEPS6_NSA_22TransformInputIteratorIb7NonZeroIiEPilEENS0_5tupleIJPlS6_EEENSJ_IJSD_SD_EEES6_SK_JS6_EEE10hipError_tPvRmT3_T4_T5_T6_T7_T9_mT8_P12ihipStream_tbDpT10_ENKUlT_T0_E_clISt17integral_constantIbLb0EES15_IbLb1EEEEDaS11_S12_EUlS11_E_NS1_11comp_targetILNS1_3genE8ELNS1_11target_archE1030ELNS1_3gpuE2ELNS1_3repE0EEENS1_30default_config_static_selectorELNS0_4arch9wavefront6targetE1EEEvT1_,"axG",@progbits,_ZN7rocprim17ROCPRIM_400000_NS6detail17trampoline_kernelINS0_14default_configENS1_25partition_config_selectorILNS1_17partition_subalgoE5ElNS0_10empty_typeEbEEZZNS1_14partition_implILS5_5ELb0ES3_mN6hipcub16HIPCUB_304000_NS21CountingInputIteratorIllEEPS6_NSA_22TransformInputIteratorIb7NonZeroIiEPilEENS0_5tupleIJPlS6_EEENSJ_IJSD_SD_EEES6_SK_JS6_EEE10hipError_tPvRmT3_T4_T5_T6_T7_T9_mT8_P12ihipStream_tbDpT10_ENKUlT_T0_E_clISt17integral_constantIbLb0EES15_IbLb1EEEEDaS11_S12_EUlS11_E_NS1_11comp_targetILNS1_3genE8ELNS1_11target_archE1030ELNS1_3gpuE2ELNS1_3repE0EEENS1_30default_config_static_selectorELNS0_4arch9wavefront6targetE1EEEvT1_,comdat
	.protected	_ZN7rocprim17ROCPRIM_400000_NS6detail17trampoline_kernelINS0_14default_configENS1_25partition_config_selectorILNS1_17partition_subalgoE5ElNS0_10empty_typeEbEEZZNS1_14partition_implILS5_5ELb0ES3_mN6hipcub16HIPCUB_304000_NS21CountingInputIteratorIllEEPS6_NSA_22TransformInputIteratorIb7NonZeroIiEPilEENS0_5tupleIJPlS6_EEENSJ_IJSD_SD_EEES6_SK_JS6_EEE10hipError_tPvRmT3_T4_T5_T6_T7_T9_mT8_P12ihipStream_tbDpT10_ENKUlT_T0_E_clISt17integral_constantIbLb0EES15_IbLb1EEEEDaS11_S12_EUlS11_E_NS1_11comp_targetILNS1_3genE8ELNS1_11target_archE1030ELNS1_3gpuE2ELNS1_3repE0EEENS1_30default_config_static_selectorELNS0_4arch9wavefront6targetE1EEEvT1_ ; -- Begin function _ZN7rocprim17ROCPRIM_400000_NS6detail17trampoline_kernelINS0_14default_configENS1_25partition_config_selectorILNS1_17partition_subalgoE5ElNS0_10empty_typeEbEEZZNS1_14partition_implILS5_5ELb0ES3_mN6hipcub16HIPCUB_304000_NS21CountingInputIteratorIllEEPS6_NSA_22TransformInputIteratorIb7NonZeroIiEPilEENS0_5tupleIJPlS6_EEENSJ_IJSD_SD_EEES6_SK_JS6_EEE10hipError_tPvRmT3_T4_T5_T6_T7_T9_mT8_P12ihipStream_tbDpT10_ENKUlT_T0_E_clISt17integral_constantIbLb0EES15_IbLb1EEEEDaS11_S12_EUlS11_E_NS1_11comp_targetILNS1_3genE8ELNS1_11target_archE1030ELNS1_3gpuE2ELNS1_3repE0EEENS1_30default_config_static_selectorELNS0_4arch9wavefront6targetE1EEEvT1_
	.globl	_ZN7rocprim17ROCPRIM_400000_NS6detail17trampoline_kernelINS0_14default_configENS1_25partition_config_selectorILNS1_17partition_subalgoE5ElNS0_10empty_typeEbEEZZNS1_14partition_implILS5_5ELb0ES3_mN6hipcub16HIPCUB_304000_NS21CountingInputIteratorIllEEPS6_NSA_22TransformInputIteratorIb7NonZeroIiEPilEENS0_5tupleIJPlS6_EEENSJ_IJSD_SD_EEES6_SK_JS6_EEE10hipError_tPvRmT3_T4_T5_T6_T7_T9_mT8_P12ihipStream_tbDpT10_ENKUlT_T0_E_clISt17integral_constantIbLb0EES15_IbLb1EEEEDaS11_S12_EUlS11_E_NS1_11comp_targetILNS1_3genE8ELNS1_11target_archE1030ELNS1_3gpuE2ELNS1_3repE0EEENS1_30default_config_static_selectorELNS0_4arch9wavefront6targetE1EEEvT1_
	.p2align	8
	.type	_ZN7rocprim17ROCPRIM_400000_NS6detail17trampoline_kernelINS0_14default_configENS1_25partition_config_selectorILNS1_17partition_subalgoE5ElNS0_10empty_typeEbEEZZNS1_14partition_implILS5_5ELb0ES3_mN6hipcub16HIPCUB_304000_NS21CountingInputIteratorIllEEPS6_NSA_22TransformInputIteratorIb7NonZeroIiEPilEENS0_5tupleIJPlS6_EEENSJ_IJSD_SD_EEES6_SK_JS6_EEE10hipError_tPvRmT3_T4_T5_T6_T7_T9_mT8_P12ihipStream_tbDpT10_ENKUlT_T0_E_clISt17integral_constantIbLb0EES15_IbLb1EEEEDaS11_S12_EUlS11_E_NS1_11comp_targetILNS1_3genE8ELNS1_11target_archE1030ELNS1_3gpuE2ELNS1_3repE0EEENS1_30default_config_static_selectorELNS0_4arch9wavefront6targetE1EEEvT1_,@function
_ZN7rocprim17ROCPRIM_400000_NS6detail17trampoline_kernelINS0_14default_configENS1_25partition_config_selectorILNS1_17partition_subalgoE5ElNS0_10empty_typeEbEEZZNS1_14partition_implILS5_5ELb0ES3_mN6hipcub16HIPCUB_304000_NS21CountingInputIteratorIllEEPS6_NSA_22TransformInputIteratorIb7NonZeroIiEPilEENS0_5tupleIJPlS6_EEENSJ_IJSD_SD_EEES6_SK_JS6_EEE10hipError_tPvRmT3_T4_T5_T6_T7_T9_mT8_P12ihipStream_tbDpT10_ENKUlT_T0_E_clISt17integral_constantIbLb0EES15_IbLb1EEEEDaS11_S12_EUlS11_E_NS1_11comp_targetILNS1_3genE8ELNS1_11target_archE1030ELNS1_3gpuE2ELNS1_3repE0EEENS1_30default_config_static_selectorELNS0_4arch9wavefront6targetE1EEEvT1_: ; @_ZN7rocprim17ROCPRIM_400000_NS6detail17trampoline_kernelINS0_14default_configENS1_25partition_config_selectorILNS1_17partition_subalgoE5ElNS0_10empty_typeEbEEZZNS1_14partition_implILS5_5ELb0ES3_mN6hipcub16HIPCUB_304000_NS21CountingInputIteratorIllEEPS6_NSA_22TransformInputIteratorIb7NonZeroIiEPilEENS0_5tupleIJPlS6_EEENSJ_IJSD_SD_EEES6_SK_JS6_EEE10hipError_tPvRmT3_T4_T5_T6_T7_T9_mT8_P12ihipStream_tbDpT10_ENKUlT_T0_E_clISt17integral_constantIbLb0EES15_IbLb1EEEEDaS11_S12_EUlS11_E_NS1_11comp_targetILNS1_3genE8ELNS1_11target_archE1030ELNS1_3gpuE2ELNS1_3repE0EEENS1_30default_config_static_selectorELNS0_4arch9wavefront6targetE1EEEvT1_
; %bb.0:
	.section	.rodata,"a",@progbits
	.p2align	6, 0x0
	.amdhsa_kernel _ZN7rocprim17ROCPRIM_400000_NS6detail17trampoline_kernelINS0_14default_configENS1_25partition_config_selectorILNS1_17partition_subalgoE5ElNS0_10empty_typeEbEEZZNS1_14partition_implILS5_5ELb0ES3_mN6hipcub16HIPCUB_304000_NS21CountingInputIteratorIllEEPS6_NSA_22TransformInputIteratorIb7NonZeroIiEPilEENS0_5tupleIJPlS6_EEENSJ_IJSD_SD_EEES6_SK_JS6_EEE10hipError_tPvRmT3_T4_T5_T6_T7_T9_mT8_P12ihipStream_tbDpT10_ENKUlT_T0_E_clISt17integral_constantIbLb0EES15_IbLb1EEEEDaS11_S12_EUlS11_E_NS1_11comp_targetILNS1_3genE8ELNS1_11target_archE1030ELNS1_3gpuE2ELNS1_3repE0EEENS1_30default_config_static_selectorELNS0_4arch9wavefront6targetE1EEEvT1_
		.amdhsa_group_segment_fixed_size 0
		.amdhsa_private_segment_fixed_size 0
		.amdhsa_kernarg_size 136
		.amdhsa_user_sgpr_count 2
		.amdhsa_user_sgpr_dispatch_ptr 0
		.amdhsa_user_sgpr_queue_ptr 0
		.amdhsa_user_sgpr_kernarg_segment_ptr 1
		.amdhsa_user_sgpr_dispatch_id 0
		.amdhsa_user_sgpr_kernarg_preload_length 0
		.amdhsa_user_sgpr_kernarg_preload_offset 0
		.amdhsa_user_sgpr_private_segment_size 0
		.amdhsa_uses_dynamic_stack 0
		.amdhsa_enable_private_segment 0
		.amdhsa_system_sgpr_workgroup_id_x 1
		.amdhsa_system_sgpr_workgroup_id_y 0
		.amdhsa_system_sgpr_workgroup_id_z 0
		.amdhsa_system_sgpr_workgroup_info 0
		.amdhsa_system_vgpr_workitem_id 0
		.amdhsa_next_free_vgpr 1
		.amdhsa_next_free_sgpr 0
		.amdhsa_accum_offset 4
		.amdhsa_reserve_vcc 0
		.amdhsa_float_round_mode_32 0
		.amdhsa_float_round_mode_16_64 0
		.amdhsa_float_denorm_mode_32 3
		.amdhsa_float_denorm_mode_16_64 3
		.amdhsa_dx10_clamp 1
		.amdhsa_ieee_mode 1
		.amdhsa_fp16_overflow 0
		.amdhsa_tg_split 0
		.amdhsa_exception_fp_ieee_invalid_op 0
		.amdhsa_exception_fp_denorm_src 0
		.amdhsa_exception_fp_ieee_div_zero 0
		.amdhsa_exception_fp_ieee_overflow 0
		.amdhsa_exception_fp_ieee_underflow 0
		.amdhsa_exception_fp_ieee_inexact 0
		.amdhsa_exception_int_div_zero 0
	.end_amdhsa_kernel
	.section	.text._ZN7rocprim17ROCPRIM_400000_NS6detail17trampoline_kernelINS0_14default_configENS1_25partition_config_selectorILNS1_17partition_subalgoE5ElNS0_10empty_typeEbEEZZNS1_14partition_implILS5_5ELb0ES3_mN6hipcub16HIPCUB_304000_NS21CountingInputIteratorIllEEPS6_NSA_22TransformInputIteratorIb7NonZeroIiEPilEENS0_5tupleIJPlS6_EEENSJ_IJSD_SD_EEES6_SK_JS6_EEE10hipError_tPvRmT3_T4_T5_T6_T7_T9_mT8_P12ihipStream_tbDpT10_ENKUlT_T0_E_clISt17integral_constantIbLb0EES15_IbLb1EEEEDaS11_S12_EUlS11_E_NS1_11comp_targetILNS1_3genE8ELNS1_11target_archE1030ELNS1_3gpuE2ELNS1_3repE0EEENS1_30default_config_static_selectorELNS0_4arch9wavefront6targetE1EEEvT1_,"axG",@progbits,_ZN7rocprim17ROCPRIM_400000_NS6detail17trampoline_kernelINS0_14default_configENS1_25partition_config_selectorILNS1_17partition_subalgoE5ElNS0_10empty_typeEbEEZZNS1_14partition_implILS5_5ELb0ES3_mN6hipcub16HIPCUB_304000_NS21CountingInputIteratorIllEEPS6_NSA_22TransformInputIteratorIb7NonZeroIiEPilEENS0_5tupleIJPlS6_EEENSJ_IJSD_SD_EEES6_SK_JS6_EEE10hipError_tPvRmT3_T4_T5_T6_T7_T9_mT8_P12ihipStream_tbDpT10_ENKUlT_T0_E_clISt17integral_constantIbLb0EES15_IbLb1EEEEDaS11_S12_EUlS11_E_NS1_11comp_targetILNS1_3genE8ELNS1_11target_archE1030ELNS1_3gpuE2ELNS1_3repE0EEENS1_30default_config_static_selectorELNS0_4arch9wavefront6targetE1EEEvT1_,comdat
.Lfunc_end216:
	.size	_ZN7rocprim17ROCPRIM_400000_NS6detail17trampoline_kernelINS0_14default_configENS1_25partition_config_selectorILNS1_17partition_subalgoE5ElNS0_10empty_typeEbEEZZNS1_14partition_implILS5_5ELb0ES3_mN6hipcub16HIPCUB_304000_NS21CountingInputIteratorIllEEPS6_NSA_22TransformInputIteratorIb7NonZeroIiEPilEENS0_5tupleIJPlS6_EEENSJ_IJSD_SD_EEES6_SK_JS6_EEE10hipError_tPvRmT3_T4_T5_T6_T7_T9_mT8_P12ihipStream_tbDpT10_ENKUlT_T0_E_clISt17integral_constantIbLb0EES15_IbLb1EEEEDaS11_S12_EUlS11_E_NS1_11comp_targetILNS1_3genE8ELNS1_11target_archE1030ELNS1_3gpuE2ELNS1_3repE0EEENS1_30default_config_static_selectorELNS0_4arch9wavefront6targetE1EEEvT1_, .Lfunc_end216-_ZN7rocprim17ROCPRIM_400000_NS6detail17trampoline_kernelINS0_14default_configENS1_25partition_config_selectorILNS1_17partition_subalgoE5ElNS0_10empty_typeEbEEZZNS1_14partition_implILS5_5ELb0ES3_mN6hipcub16HIPCUB_304000_NS21CountingInputIteratorIllEEPS6_NSA_22TransformInputIteratorIb7NonZeroIiEPilEENS0_5tupleIJPlS6_EEENSJ_IJSD_SD_EEES6_SK_JS6_EEE10hipError_tPvRmT3_T4_T5_T6_T7_T9_mT8_P12ihipStream_tbDpT10_ENKUlT_T0_E_clISt17integral_constantIbLb0EES15_IbLb1EEEEDaS11_S12_EUlS11_E_NS1_11comp_targetILNS1_3genE8ELNS1_11target_archE1030ELNS1_3gpuE2ELNS1_3repE0EEENS1_30default_config_static_selectorELNS0_4arch9wavefront6targetE1EEEvT1_
                                        ; -- End function
	.set _ZN7rocprim17ROCPRIM_400000_NS6detail17trampoline_kernelINS0_14default_configENS1_25partition_config_selectorILNS1_17partition_subalgoE5ElNS0_10empty_typeEbEEZZNS1_14partition_implILS5_5ELb0ES3_mN6hipcub16HIPCUB_304000_NS21CountingInputIteratorIllEEPS6_NSA_22TransformInputIteratorIb7NonZeroIiEPilEENS0_5tupleIJPlS6_EEENSJ_IJSD_SD_EEES6_SK_JS6_EEE10hipError_tPvRmT3_T4_T5_T6_T7_T9_mT8_P12ihipStream_tbDpT10_ENKUlT_T0_E_clISt17integral_constantIbLb0EES15_IbLb1EEEEDaS11_S12_EUlS11_E_NS1_11comp_targetILNS1_3genE8ELNS1_11target_archE1030ELNS1_3gpuE2ELNS1_3repE0EEENS1_30default_config_static_selectorELNS0_4arch9wavefront6targetE1EEEvT1_.num_vgpr, 0
	.set _ZN7rocprim17ROCPRIM_400000_NS6detail17trampoline_kernelINS0_14default_configENS1_25partition_config_selectorILNS1_17partition_subalgoE5ElNS0_10empty_typeEbEEZZNS1_14partition_implILS5_5ELb0ES3_mN6hipcub16HIPCUB_304000_NS21CountingInputIteratorIllEEPS6_NSA_22TransformInputIteratorIb7NonZeroIiEPilEENS0_5tupleIJPlS6_EEENSJ_IJSD_SD_EEES6_SK_JS6_EEE10hipError_tPvRmT3_T4_T5_T6_T7_T9_mT8_P12ihipStream_tbDpT10_ENKUlT_T0_E_clISt17integral_constantIbLb0EES15_IbLb1EEEEDaS11_S12_EUlS11_E_NS1_11comp_targetILNS1_3genE8ELNS1_11target_archE1030ELNS1_3gpuE2ELNS1_3repE0EEENS1_30default_config_static_selectorELNS0_4arch9wavefront6targetE1EEEvT1_.num_agpr, 0
	.set _ZN7rocprim17ROCPRIM_400000_NS6detail17trampoline_kernelINS0_14default_configENS1_25partition_config_selectorILNS1_17partition_subalgoE5ElNS0_10empty_typeEbEEZZNS1_14partition_implILS5_5ELb0ES3_mN6hipcub16HIPCUB_304000_NS21CountingInputIteratorIllEEPS6_NSA_22TransformInputIteratorIb7NonZeroIiEPilEENS0_5tupleIJPlS6_EEENSJ_IJSD_SD_EEES6_SK_JS6_EEE10hipError_tPvRmT3_T4_T5_T6_T7_T9_mT8_P12ihipStream_tbDpT10_ENKUlT_T0_E_clISt17integral_constantIbLb0EES15_IbLb1EEEEDaS11_S12_EUlS11_E_NS1_11comp_targetILNS1_3genE8ELNS1_11target_archE1030ELNS1_3gpuE2ELNS1_3repE0EEENS1_30default_config_static_selectorELNS0_4arch9wavefront6targetE1EEEvT1_.numbered_sgpr, 0
	.set _ZN7rocprim17ROCPRIM_400000_NS6detail17trampoline_kernelINS0_14default_configENS1_25partition_config_selectorILNS1_17partition_subalgoE5ElNS0_10empty_typeEbEEZZNS1_14partition_implILS5_5ELb0ES3_mN6hipcub16HIPCUB_304000_NS21CountingInputIteratorIllEEPS6_NSA_22TransformInputIteratorIb7NonZeroIiEPilEENS0_5tupleIJPlS6_EEENSJ_IJSD_SD_EEES6_SK_JS6_EEE10hipError_tPvRmT3_T4_T5_T6_T7_T9_mT8_P12ihipStream_tbDpT10_ENKUlT_T0_E_clISt17integral_constantIbLb0EES15_IbLb1EEEEDaS11_S12_EUlS11_E_NS1_11comp_targetILNS1_3genE8ELNS1_11target_archE1030ELNS1_3gpuE2ELNS1_3repE0EEENS1_30default_config_static_selectorELNS0_4arch9wavefront6targetE1EEEvT1_.num_named_barrier, 0
	.set _ZN7rocprim17ROCPRIM_400000_NS6detail17trampoline_kernelINS0_14default_configENS1_25partition_config_selectorILNS1_17partition_subalgoE5ElNS0_10empty_typeEbEEZZNS1_14partition_implILS5_5ELb0ES3_mN6hipcub16HIPCUB_304000_NS21CountingInputIteratorIllEEPS6_NSA_22TransformInputIteratorIb7NonZeroIiEPilEENS0_5tupleIJPlS6_EEENSJ_IJSD_SD_EEES6_SK_JS6_EEE10hipError_tPvRmT3_T4_T5_T6_T7_T9_mT8_P12ihipStream_tbDpT10_ENKUlT_T0_E_clISt17integral_constantIbLb0EES15_IbLb1EEEEDaS11_S12_EUlS11_E_NS1_11comp_targetILNS1_3genE8ELNS1_11target_archE1030ELNS1_3gpuE2ELNS1_3repE0EEENS1_30default_config_static_selectorELNS0_4arch9wavefront6targetE1EEEvT1_.private_seg_size, 0
	.set _ZN7rocprim17ROCPRIM_400000_NS6detail17trampoline_kernelINS0_14default_configENS1_25partition_config_selectorILNS1_17partition_subalgoE5ElNS0_10empty_typeEbEEZZNS1_14partition_implILS5_5ELb0ES3_mN6hipcub16HIPCUB_304000_NS21CountingInputIteratorIllEEPS6_NSA_22TransformInputIteratorIb7NonZeroIiEPilEENS0_5tupleIJPlS6_EEENSJ_IJSD_SD_EEES6_SK_JS6_EEE10hipError_tPvRmT3_T4_T5_T6_T7_T9_mT8_P12ihipStream_tbDpT10_ENKUlT_T0_E_clISt17integral_constantIbLb0EES15_IbLb1EEEEDaS11_S12_EUlS11_E_NS1_11comp_targetILNS1_3genE8ELNS1_11target_archE1030ELNS1_3gpuE2ELNS1_3repE0EEENS1_30default_config_static_selectorELNS0_4arch9wavefront6targetE1EEEvT1_.uses_vcc, 0
	.set _ZN7rocprim17ROCPRIM_400000_NS6detail17trampoline_kernelINS0_14default_configENS1_25partition_config_selectorILNS1_17partition_subalgoE5ElNS0_10empty_typeEbEEZZNS1_14partition_implILS5_5ELb0ES3_mN6hipcub16HIPCUB_304000_NS21CountingInputIteratorIllEEPS6_NSA_22TransformInputIteratorIb7NonZeroIiEPilEENS0_5tupleIJPlS6_EEENSJ_IJSD_SD_EEES6_SK_JS6_EEE10hipError_tPvRmT3_T4_T5_T6_T7_T9_mT8_P12ihipStream_tbDpT10_ENKUlT_T0_E_clISt17integral_constantIbLb0EES15_IbLb1EEEEDaS11_S12_EUlS11_E_NS1_11comp_targetILNS1_3genE8ELNS1_11target_archE1030ELNS1_3gpuE2ELNS1_3repE0EEENS1_30default_config_static_selectorELNS0_4arch9wavefront6targetE1EEEvT1_.uses_flat_scratch, 0
	.set _ZN7rocprim17ROCPRIM_400000_NS6detail17trampoline_kernelINS0_14default_configENS1_25partition_config_selectorILNS1_17partition_subalgoE5ElNS0_10empty_typeEbEEZZNS1_14partition_implILS5_5ELb0ES3_mN6hipcub16HIPCUB_304000_NS21CountingInputIteratorIllEEPS6_NSA_22TransformInputIteratorIb7NonZeroIiEPilEENS0_5tupleIJPlS6_EEENSJ_IJSD_SD_EEES6_SK_JS6_EEE10hipError_tPvRmT3_T4_T5_T6_T7_T9_mT8_P12ihipStream_tbDpT10_ENKUlT_T0_E_clISt17integral_constantIbLb0EES15_IbLb1EEEEDaS11_S12_EUlS11_E_NS1_11comp_targetILNS1_3genE8ELNS1_11target_archE1030ELNS1_3gpuE2ELNS1_3repE0EEENS1_30default_config_static_selectorELNS0_4arch9wavefront6targetE1EEEvT1_.has_dyn_sized_stack, 0
	.set _ZN7rocprim17ROCPRIM_400000_NS6detail17trampoline_kernelINS0_14default_configENS1_25partition_config_selectorILNS1_17partition_subalgoE5ElNS0_10empty_typeEbEEZZNS1_14partition_implILS5_5ELb0ES3_mN6hipcub16HIPCUB_304000_NS21CountingInputIteratorIllEEPS6_NSA_22TransformInputIteratorIb7NonZeroIiEPilEENS0_5tupleIJPlS6_EEENSJ_IJSD_SD_EEES6_SK_JS6_EEE10hipError_tPvRmT3_T4_T5_T6_T7_T9_mT8_P12ihipStream_tbDpT10_ENKUlT_T0_E_clISt17integral_constantIbLb0EES15_IbLb1EEEEDaS11_S12_EUlS11_E_NS1_11comp_targetILNS1_3genE8ELNS1_11target_archE1030ELNS1_3gpuE2ELNS1_3repE0EEENS1_30default_config_static_selectorELNS0_4arch9wavefront6targetE1EEEvT1_.has_recursion, 0
	.set _ZN7rocprim17ROCPRIM_400000_NS6detail17trampoline_kernelINS0_14default_configENS1_25partition_config_selectorILNS1_17partition_subalgoE5ElNS0_10empty_typeEbEEZZNS1_14partition_implILS5_5ELb0ES3_mN6hipcub16HIPCUB_304000_NS21CountingInputIteratorIllEEPS6_NSA_22TransformInputIteratorIb7NonZeroIiEPilEENS0_5tupleIJPlS6_EEENSJ_IJSD_SD_EEES6_SK_JS6_EEE10hipError_tPvRmT3_T4_T5_T6_T7_T9_mT8_P12ihipStream_tbDpT10_ENKUlT_T0_E_clISt17integral_constantIbLb0EES15_IbLb1EEEEDaS11_S12_EUlS11_E_NS1_11comp_targetILNS1_3genE8ELNS1_11target_archE1030ELNS1_3gpuE2ELNS1_3repE0EEENS1_30default_config_static_selectorELNS0_4arch9wavefront6targetE1EEEvT1_.has_indirect_call, 0
	.section	.AMDGPU.csdata,"",@progbits
; Kernel info:
; codeLenInByte = 0
; TotalNumSgprs: 6
; NumVgprs: 0
; NumAgprs: 0
; TotalNumVgprs: 0
; ScratchSize: 0
; MemoryBound: 0
; FloatMode: 240
; IeeeMode: 1
; LDSByteSize: 0 bytes/workgroup (compile time only)
; SGPRBlocks: 0
; VGPRBlocks: 0
; NumSGPRsForWavesPerEU: 6
; NumVGPRsForWavesPerEU: 1
; AccumOffset: 4
; Occupancy: 8
; WaveLimiterHint : 0
; COMPUTE_PGM_RSRC2:SCRATCH_EN: 0
; COMPUTE_PGM_RSRC2:USER_SGPR: 2
; COMPUTE_PGM_RSRC2:TRAP_HANDLER: 0
; COMPUTE_PGM_RSRC2:TGID_X_EN: 1
; COMPUTE_PGM_RSRC2:TGID_Y_EN: 0
; COMPUTE_PGM_RSRC2:TGID_Z_EN: 0
; COMPUTE_PGM_RSRC2:TIDIG_COMP_CNT: 0
; COMPUTE_PGM_RSRC3_GFX90A:ACCUM_OFFSET: 0
; COMPUTE_PGM_RSRC3_GFX90A:TG_SPLIT: 0
	.section	.text._ZN7rocprim17ROCPRIM_400000_NS6detail17trampoline_kernelINS0_14default_configENS1_22reduce_config_selectorIlEEZNS1_11reduce_implILb1ES3_PlS7_lN6hipcub16HIPCUB_304000_NS6detail34convert_binary_result_type_wrapperINS9_3SumENS9_22TransformInputIteratorIb7NonZeroIfEPflEElEEEE10hipError_tPvRmT1_T2_T3_mT4_P12ihipStream_tbEUlT_E0_NS1_11comp_targetILNS1_3genE0ELNS1_11target_archE4294967295ELNS1_3gpuE0ELNS1_3repE0EEENS1_30default_config_static_selectorELNS0_4arch9wavefront6targetE1EEEvSM_,"axG",@progbits,_ZN7rocprim17ROCPRIM_400000_NS6detail17trampoline_kernelINS0_14default_configENS1_22reduce_config_selectorIlEEZNS1_11reduce_implILb1ES3_PlS7_lN6hipcub16HIPCUB_304000_NS6detail34convert_binary_result_type_wrapperINS9_3SumENS9_22TransformInputIteratorIb7NonZeroIfEPflEElEEEE10hipError_tPvRmT1_T2_T3_mT4_P12ihipStream_tbEUlT_E0_NS1_11comp_targetILNS1_3genE0ELNS1_11target_archE4294967295ELNS1_3gpuE0ELNS1_3repE0EEENS1_30default_config_static_selectorELNS0_4arch9wavefront6targetE1EEEvSM_,comdat
	.protected	_ZN7rocprim17ROCPRIM_400000_NS6detail17trampoline_kernelINS0_14default_configENS1_22reduce_config_selectorIlEEZNS1_11reduce_implILb1ES3_PlS7_lN6hipcub16HIPCUB_304000_NS6detail34convert_binary_result_type_wrapperINS9_3SumENS9_22TransformInputIteratorIb7NonZeroIfEPflEElEEEE10hipError_tPvRmT1_T2_T3_mT4_P12ihipStream_tbEUlT_E0_NS1_11comp_targetILNS1_3genE0ELNS1_11target_archE4294967295ELNS1_3gpuE0ELNS1_3repE0EEENS1_30default_config_static_selectorELNS0_4arch9wavefront6targetE1EEEvSM_ ; -- Begin function _ZN7rocprim17ROCPRIM_400000_NS6detail17trampoline_kernelINS0_14default_configENS1_22reduce_config_selectorIlEEZNS1_11reduce_implILb1ES3_PlS7_lN6hipcub16HIPCUB_304000_NS6detail34convert_binary_result_type_wrapperINS9_3SumENS9_22TransformInputIteratorIb7NonZeroIfEPflEElEEEE10hipError_tPvRmT1_T2_T3_mT4_P12ihipStream_tbEUlT_E0_NS1_11comp_targetILNS1_3genE0ELNS1_11target_archE4294967295ELNS1_3gpuE0ELNS1_3repE0EEENS1_30default_config_static_selectorELNS0_4arch9wavefront6targetE1EEEvSM_
	.globl	_ZN7rocprim17ROCPRIM_400000_NS6detail17trampoline_kernelINS0_14default_configENS1_22reduce_config_selectorIlEEZNS1_11reduce_implILb1ES3_PlS7_lN6hipcub16HIPCUB_304000_NS6detail34convert_binary_result_type_wrapperINS9_3SumENS9_22TransformInputIteratorIb7NonZeroIfEPflEElEEEE10hipError_tPvRmT1_T2_T3_mT4_P12ihipStream_tbEUlT_E0_NS1_11comp_targetILNS1_3genE0ELNS1_11target_archE4294967295ELNS1_3gpuE0ELNS1_3repE0EEENS1_30default_config_static_selectorELNS0_4arch9wavefront6targetE1EEEvSM_
	.p2align	8
	.type	_ZN7rocprim17ROCPRIM_400000_NS6detail17trampoline_kernelINS0_14default_configENS1_22reduce_config_selectorIlEEZNS1_11reduce_implILb1ES3_PlS7_lN6hipcub16HIPCUB_304000_NS6detail34convert_binary_result_type_wrapperINS9_3SumENS9_22TransformInputIteratorIb7NonZeroIfEPflEElEEEE10hipError_tPvRmT1_T2_T3_mT4_P12ihipStream_tbEUlT_E0_NS1_11comp_targetILNS1_3genE0ELNS1_11target_archE4294967295ELNS1_3gpuE0ELNS1_3repE0EEENS1_30default_config_static_selectorELNS0_4arch9wavefront6targetE1EEEvSM_,@function
_ZN7rocprim17ROCPRIM_400000_NS6detail17trampoline_kernelINS0_14default_configENS1_22reduce_config_selectorIlEEZNS1_11reduce_implILb1ES3_PlS7_lN6hipcub16HIPCUB_304000_NS6detail34convert_binary_result_type_wrapperINS9_3SumENS9_22TransformInputIteratorIb7NonZeroIfEPflEElEEEE10hipError_tPvRmT1_T2_T3_mT4_P12ihipStream_tbEUlT_E0_NS1_11comp_targetILNS1_3genE0ELNS1_11target_archE4294967295ELNS1_3gpuE0ELNS1_3repE0EEENS1_30default_config_static_selectorELNS0_4arch9wavefront6targetE1EEEvSM_: ; @_ZN7rocprim17ROCPRIM_400000_NS6detail17trampoline_kernelINS0_14default_configENS1_22reduce_config_selectorIlEEZNS1_11reduce_implILb1ES3_PlS7_lN6hipcub16HIPCUB_304000_NS6detail34convert_binary_result_type_wrapperINS9_3SumENS9_22TransformInputIteratorIb7NonZeroIfEPflEElEEEE10hipError_tPvRmT1_T2_T3_mT4_P12ihipStream_tbEUlT_E0_NS1_11comp_targetILNS1_3genE0ELNS1_11target_archE4294967295ELNS1_3gpuE0ELNS1_3repE0EEENS1_30default_config_static_selectorELNS0_4arch9wavefront6targetE1EEEvSM_
; %bb.0:
	s_load_dwordx8 s[36:43], s[0:1], 0x0
	s_load_dwordx4 s[44:47], s[0:1], 0x20
	s_load_dwordx2 s[30:31], s[0:1], 0x30
	v_lshlrev_b32_e32 v34, 3, v0
	v_mbcnt_lo_u32_b32 v1, -1, 0
	s_waitcnt lgkmcnt(0)
	s_lshl_b64 s[0:1], s[38:39], 3
	s_add_u32 s8, s36, s0
	s_addc_u32 s9, s37, s1
	s_lshl_b32 s0, s2, 12
	s_mov_b32 s1, 0
	s_lshr_b64 s[4:5], s[40:41], 12
	s_lshl_b64 s[6:7], s[0:1], 3
	s_add_u32 s34, s8, s6
	s_mov_b32 s3, s1
	s_addc_u32 s35, s9, s7
	s_cmp_lg_u64 s[4:5], s[2:3]
	s_cbranch_scc0 .LBB217_6
; %bb.1:
	v_mov_b32_e32 v35, 0
	v_lshl_add_u64 v[2:3], s[34:35], 0, v[34:35]
	global_load_dwordx2 v[6:7], v34, s[34:35]
	global_load_dwordx2 v[8:9], v34, s[34:35] offset:2048
	v_add_co_u32_e32 v4, vcc, 0x1000, v2
	v_mov_b32_e32 v41, v35
	s_nop 0
	v_addc_co_u32_e32 v5, vcc, 0, v3, vcc
	v_add_co_u32_e32 v10, vcc, 0x2000, v2
	v_mov_b32_e32 v45, v35
	s_nop 0
	v_addc_co_u32_e32 v11, vcc, 0, v3, vcc
	global_load_dwordx2 v[12:13], v[4:5], off
	global_load_dwordx2 v[14:15], v[4:5], off offset:2048
	global_load_dwordx2 v[16:17], v[10:11], off
	global_load_dwordx2 v[18:19], v[10:11], off offset:2048
	v_add_co_u32_e32 v4, vcc, 0x3000, v2
	v_mov_b32_e32 v42, v35
	s_nop 0
	v_addc_co_u32_e32 v5, vcc, 0, v3, vcc
	v_add_co_u32_e32 v10, vcc, 0x4000, v2
	v_mov_b32_e32 v49, v35
	s_nop 0
	v_addc_co_u32_e32 v11, vcc, 0, v3, vcc
	global_load_dwordx2 v[20:21], v[4:5], off
	global_load_dwordx2 v[22:23], v[4:5], off offset:2048
	global_load_dwordx2 v[24:25], v[10:11], off
	global_load_dwordx2 v[26:27], v[10:11], off offset:2048
	;; [unrolled: 12-line block ×3, first 2 shown]
	v_add_co_u32_e32 v2, vcc, 0x7000, v2
	v_mov_b32_e32 v50, v35
	s_nop 0
	v_addc_co_u32_e32 v3, vcc, 0, v3, vcc
	global_load_dwordx2 v[10:11], v[2:3], off
	global_load_dwordx2 v[38:39], v[2:3], off offset:2048
	v_mov_b32_e32 v2, v35
	v_mov_b32_e32 v57, v35
	;; [unrolled: 1-line block ×3, first 2 shown]
	v_mbcnt_hi_u32_b32 v4, -1, v1
	v_mov_b32_e32 v59, v35
	v_lshlrev_b32_e32 v5, 2, v4
	v_or_b32_e32 v35, 0xfc, v5
	v_cmp_eq_u32_e32 vcc, 0, v4
	s_waitcnt vmcnt(14)
	v_lshl_add_u64 v[6:7], v[8:9], 0, v[6:7]
	s_waitcnt vmcnt(13)
	v_lshl_add_u64 v[6:7], v[6:7], 0, v[12:13]
	;; [unrolled: 2-line block ×15, first 2 shown]
	s_nop 1
	v_mov_b32_dpp v40, v6 quad_perm:[1,0,3,2] row_mask:0xf bank_mask:0xf bound_ctrl:1
	v_mov_b32_dpp v3, v7 quad_perm:[1,0,3,2] row_mask:0xf bank_mask:0xf bound_ctrl:1
	v_lshl_add_u64 v[6:7], v[6:7], 0, v[40:41]
	v_lshl_add_u64 v[2:3], v[2:3], 0, v[6:7]
	s_nop 0
	v_mov_b32_dpp v44, v6 quad_perm:[2,3,0,1] row_mask:0xf bank_mask:0xf bound_ctrl:1
	v_mov_b32_dpp v43, v3 quad_perm:[2,3,0,1] row_mask:0xf bank_mask:0xf bound_ctrl:1
	v_lshl_add_u64 v[2:3], v[2:3], 0, v[44:45]
	v_lshl_add_u64 v[6:7], v[2:3], 0, v[42:43]
	s_nop 0
	v_mov_b32_dpp v48, v2 row_ror:4 row_mask:0xf bank_mask:0xf bound_ctrl:1
	v_mov_b32_dpp v47, v7 row_ror:4 row_mask:0xf bank_mask:0xf bound_ctrl:1
	v_lshl_add_u64 v[2:3], v[6:7], 0, v[48:49]
	v_lshl_add_u64 v[6:7], v[2:3], 0, v[46:47]
	s_nop 0
	v_mov_b32_dpp v52, v2 row_ror:8 row_mask:0xf bank_mask:0xf bound_ctrl:1
	v_mov_b32_dpp v51, v7 row_ror:8 row_mask:0xf bank_mask:0xf bound_ctrl:1
	v_lshl_add_u64 v[2:3], v[6:7], 0, v[52:53]
	v_lshl_add_u64 v[6:7], v[2:3], 0, v[50:51]
	s_nop 0
	v_mov_b32_dpp v56, v2 row_bcast:15 row_mask:0xf bank_mask:0xf bound_ctrl:1
	v_mov_b32_dpp v55, v7 row_bcast:15 row_mask:0xf bank_mask:0xf bound_ctrl:1
	v_lshl_add_u64 v[2:3], v[6:7], 0, v[56:57]
	v_lshl_add_u64 v[6:7], v[2:3], 0, v[54:55]
	s_nop 0
	v_mov_b32_dpp v58, v2 row_bcast:31 row_mask:0xf bank_mask:0xf bound_ctrl:1
	v_lshl_add_u64 v[2:3], v[6:7], 0, v[58:59]
	ds_bpermute_b32 v2, v35, v2
	s_nop 0
	v_add_u32_dpp v3, v7, v3 row_bcast:31 row_mask:0xf bank_mask:0xf bound_ctrl:1
	ds_bpermute_b32 v3, v35, v3
	s_and_saveexec_b64 s[4:5], vcc
	s_cbranch_execz .LBB217_3
; %bb.2:
	v_lshrrev_b32_e32 v6, 3, v0
	v_and_b32_e32 v6, 24, v6
	s_waitcnt lgkmcnt(0)
	ds_write_b64 v6, v[2:3]
.LBB217_3:
	s_or_b64 exec, exec, s[4:5]
	v_cmp_gt_u32_e32 vcc, 64, v0
	s_waitcnt lgkmcnt(0)
	s_barrier
	s_and_saveexec_b64 s[4:5], vcc
	s_cbranch_execz .LBB217_5
; %bb.4:
	v_and_b32_e32 v6, 3, v4
	v_lshlrev_b32_e32 v2, 3, v6
	ds_read_b64 v[2:3], v2
	v_cmp_ne_u32_e32 vcc, 3, v6
	v_or_b32_e32 v8, 8, v5
	s_nop 0
	v_addc_co_u32_e32 v4, vcc, 0, v4, vcc
	v_lshlrev_b32_e32 v6, 2, v4
	s_waitcnt lgkmcnt(0)
	ds_bpermute_b32 v4, v6, v2
	ds_bpermute_b32 v7, v6, v3
	v_mov_b32_e32 v6, 0
	v_mov_b32_e32 v5, v6
	s_waitcnt lgkmcnt(1)
	v_lshl_add_u64 v[2:3], v[2:3], 0, v[4:5]
	s_waitcnt lgkmcnt(0)
	v_lshl_add_u64 v[4:5], v[6:7], 0, v[2:3]
	ds_bpermute_b32 v2, v8, v2
	ds_bpermute_b32 v7, v8, v5
	v_mov_b32_e32 v3, v6
	s_waitcnt lgkmcnt(1)
	v_lshl_add_u64 v[2:3], v[4:5], 0, v[2:3]
	s_waitcnt lgkmcnt(0)
	v_lshl_add_u64 v[2:3], v[2:3], 0, v[6:7]
.LBB217_5:
	s_or_b64 exec, exec, s[4:5]
	s_branch .LBB217_48
.LBB217_6:
                                        ; implicit-def: $vgpr2_vgpr3
	s_cbranch_execz .LBB217_48
; %bb.7:
	s_sub_i32 s33, s40, s0
	v_mov_b32_e32 v2, 0
	v_cmp_gt_u32_e32 vcc, s33, v0
	v_mov_b32_e32 v3, v2
	v_mov_b32_e32 v4, v2
	;; [unrolled: 1-line block ×31, first 2 shown]
	s_and_saveexec_b64 s[0:1], vcc
	s_cbranch_execz .LBB217_9
; %bb.8:
	global_load_dwordx2 v[36:37], v34, s[34:35]
	v_mov_b32_e32 v38, v2
	v_mov_b32_e32 v39, v2
	;; [unrolled: 1-line block ×30, first 2 shown]
	s_waitcnt vmcnt(0)
	v_mov_b64_e32 v[2:3], v[36:37]
	v_mov_b64_e32 v[4:5], v[38:39]
	v_mov_b64_e32 v[6:7], v[40:41]
	v_mov_b64_e32 v[8:9], v[42:43]
	v_mov_b64_e32 v[10:11], v[44:45]
	v_mov_b64_e32 v[12:13], v[46:47]
	v_mov_b64_e32 v[14:15], v[48:49]
	v_mov_b64_e32 v[16:17], v[50:51]
	v_mov_b64_e32 v[18:19], v[52:53]
	v_mov_b64_e32 v[20:21], v[54:55]
	v_mov_b64_e32 v[22:23], v[56:57]
	v_mov_b64_e32 v[24:25], v[58:59]
	v_mov_b64_e32 v[26:27], v[60:61]
	v_mov_b64_e32 v[28:29], v[62:63]
	v_mov_b64_e32 v[30:31], v[64:65]
	v_mov_b64_e32 v[32:33], v[66:67]
.LBB217_9:
	s_or_b64 exec, exec, s[0:1]
	v_or_b32_e32 v35, 0x100, v0
	v_cmp_gt_u32_e32 vcc, s33, v35
	s_and_saveexec_b64 s[0:1], vcc
	s_cbranch_execz .LBB217_11
; %bb.10:
	global_load_dwordx2 v[4:5], v34, s[34:35] offset:2048
.LBB217_11:
	s_or_b64 exec, exec, s[0:1]
	v_or_b32_e32 v34, 0x200, v0
	v_cmp_gt_u32_e64 s[0:1], s33, v34
	s_and_saveexec_b64 s[4:5], s[0:1]
	s_cbranch_execz .LBB217_13
; %bb.12:
	v_lshlrev_b32_e32 v6, 3, v34
	global_load_dwordx2 v[6:7], v6, s[34:35]
.LBB217_13:
	s_or_b64 exec, exec, s[4:5]
	v_or_b32_e32 v34, 0x300, v0
	v_cmp_gt_u32_e64 s[4:5], s33, v34
	s_and_saveexec_b64 s[6:7], s[4:5]
	s_cbranch_execz .LBB217_15
; %bb.14:
	v_lshlrev_b32_e32 v8, 3, v34
	global_load_dwordx2 v[8:9], v8, s[34:35]
.LBB217_15:
	;; [unrolled: 9-line block ×14, first 2 shown]
	s_or_b64 exec, exec, s[36:37]
	s_waitcnt vmcnt(0)
	v_cndmask_b32_e32 v5, 0, v5, vcc
	v_cndmask_b32_e32 v4, 0, v4, vcc
	v_lshl_add_u64 v[2:3], v[4:5], 0, v[2:3]
	v_cndmask_b32_e64 v5, 0, v7, s[0:1]
	v_cndmask_b32_e64 v4, 0, v6, s[0:1]
	v_lshl_add_u64 v[2:3], v[2:3], 0, v[4:5]
	v_cndmask_b32_e64 v5, 0, v9, s[4:5]
	v_cndmask_b32_e64 v4, 0, v8, s[4:5]
	;; [unrolled: 3-line block ×13, first 2 shown]
	v_mbcnt_hi_u32_b32 v1, -1, v1
	v_lshl_add_u64 v[2:3], v[2:3], 0, v[4:5]
	v_cndmask_b32_e64 v5, 0, v33, s[28:29]
	v_cndmask_b32_e64 v4, 0, v32, s[28:29]
	v_and_b32_e32 v9, 63, v1
	v_lshl_add_u64 v[2:3], v[2:3], 0, v[4:5]
	s_min_u32 s6, s33, 0x100
	v_and_b32_e32 v4, 0xc0, v0
	v_cmp_ne_u32_e32 vcc, 63, v9
	v_sub_u32_e64 v8, s6, v4 clamp
	v_mov_b32_e32 v6, 0
	v_addc_co_u32_e32 v4, vcc, 0, v1, vcc
	v_lshlrev_b32_e32 v5, 2, v4
	ds_bpermute_b32 v4, v5, v2
	ds_bpermute_b32 v7, v5, v3
	v_add_u32_e32 v10, 1, v9
	v_mov_b32_e32 v5, v6
	v_cmp_lt_u32_e64 s[0:1], v10, v8
	s_waitcnt lgkmcnt(1)
	v_lshl_add_u64 v[4:5], v[2:3], 0, v[4:5]
	v_cmp_gt_u32_e32 vcc, 62, v9
	s_waitcnt lgkmcnt(0)
	v_lshl_add_u64 v[6:7], v[4:5], 0, v[6:7]
	v_cndmask_b32_e64 v12, v2, v4, s[0:1]
	v_cndmask_b32_e64 v4, 0, 2, vcc
	v_cndmask_b32_e64 v5, v3, v7, s[0:1]
	v_add_lshl_u32 v4, v4, v1, 2
	ds_bpermute_b32 v10, v4, v12
	ds_bpermute_b32 v11, v4, v5
	v_cndmask_b32_e64 v4, v2, v6, s[0:1]
	v_add_u32_e32 v13, 2, v9
	v_cmp_lt_u32_e32 vcc, v13, v8
	v_cmp_gt_u32_e64 s[4:5], 60, v9
	s_waitcnt lgkmcnt(0)
	v_lshl_add_u64 v[6:7], v[10:11], 0, v[4:5]
	v_cndmask_b32_e32 v5, v5, v7, vcc
	v_cndmask_b32_e64 v7, 0, 4, s[4:5]
	v_cndmask_b32_e32 v12, v12, v6, vcc
	v_add_lshl_u32 v7, v7, v1, 2
	ds_bpermute_b32 v10, v7, v12
	ds_bpermute_b32 v11, v7, v5
	v_cndmask_b32_e32 v4, v4, v6, vcc
	v_add_u32_e32 v13, 4, v9
	v_cmp_lt_u32_e32 vcc, v13, v8
	v_cmp_gt_u32_e64 s[4:5], 56, v9
	s_waitcnt lgkmcnt(0)
	v_lshl_add_u64 v[6:7], v[10:11], 0, v[4:5]
	v_cndmask_b32_e32 v5, v5, v7, vcc
	v_cndmask_b32_e64 v7, 0, 8, s[4:5]
	v_cndmask_b32_e32 v12, v12, v6, vcc
	v_add_lshl_u32 v7, v7, v1, 2
	ds_bpermute_b32 v10, v7, v12
	ds_bpermute_b32 v11, v7, v5
	v_cndmask_b32_e32 v4, v4, v6, vcc
	;; [unrolled: 12-line block ×3, first 2 shown]
	v_add_u32_e32 v13, 16, v9
	v_cmp_lt_u32_e32 vcc, v13, v8
	s_waitcnt lgkmcnt(0)
	v_lshl_add_u64 v[6:7], v[10:11], 0, v[4:5]
	v_lshlrev_b32_e32 v10, 2, v1
	v_cndmask_b32_e32 v13, v5, v7, vcc
	v_cndmask_b32_e32 v11, v12, v6, vcc
	v_or_b32_e32 v12, 0x80, v10
	ds_bpermute_b32 v11, v12, v11
	ds_bpermute_b32 v12, v12, v13
	s_and_saveexec_b64 s[4:5], s[0:1]
	s_cbranch_execz .LBB217_41
; %bb.40:
	v_add_u32_e32 v9, 32, v9
	v_cndmask_b32_e32 v3, v5, v7, vcc
	v_cndmask_b32_e32 v2, v4, v6, vcc
	v_cmp_lt_u32_e32 vcc, v9, v8
	s_waitcnt lgkmcnt(0)
	s_nop 0
	v_cndmask_b32_e32 v5, 0, v12, vcc
	v_cndmask_b32_e32 v4, 0, v11, vcc
	v_lshl_add_u64 v[2:3], v[2:3], 0, v[4:5]
.LBB217_41:
	s_or_b64 exec, exec, s[4:5]
	v_cmp_eq_u32_e32 vcc, 0, v1
	s_and_saveexec_b64 s[0:1], vcc
; %bb.42:
	v_lshrrev_b32_e32 v4, 3, v0
	v_and_b32_e32 v4, 24, v4
	ds_write_b64 v4, v[2:3] offset:32
; %bb.43:
	s_or_b64 exec, exec, s[0:1]
	v_cmp_gt_u32_e32 vcc, 4, v0
	s_waitcnt lgkmcnt(0)
	s_barrier
	s_and_saveexec_b64 s[0:1], vcc
	s_cbranch_execz .LBB217_47
; %bb.44:
	v_lshlrev_b32_e32 v2, 3, v1
	ds_read_b64 v[2:3], v2 offset:32
	v_and_b32_e32 v6, 3, v1
	v_cmp_ne_u32_e32 vcc, 3, v6
	v_mov_b32_e32 v8, 0
	s_add_i32 s6, s6, 63
	v_addc_co_u32_e32 v1, vcc, 0, v1, vcc
	v_lshlrev_b32_e32 v1, 2, v1
	s_waitcnt lgkmcnt(0)
	ds_bpermute_b32 v4, v1, v2
	ds_bpermute_b32 v9, v1, v3
	v_mov_b32_e32 v5, v8
	s_lshr_b32 s6, s6, 6
	v_add_u32_e32 v1, 1, v6
	s_waitcnt lgkmcnt(1)
	v_lshl_add_u64 v[12:13], v[2:3], 0, v[4:5]
	s_waitcnt lgkmcnt(0)
	v_lshl_add_u64 v[4:5], v[8:9], 0, v[12:13]
	v_cmp_gt_u32_e32 vcc, s6, v1
	v_or_b32_e32 v8, 8, v10
	s_nop 0
	v_cndmask_b32_e32 v7, v3, v5, vcc
	v_cndmask_b32_e32 v1, v2, v12, vcc
	ds_bpermute_b32 v1, v8, v1
	ds_bpermute_b32 v7, v8, v7
	s_and_saveexec_b64 s[4:5], vcc
	s_cbranch_execz .LBB217_46
; %bb.45:
	v_add_u32_e32 v2, 2, v6
	v_cmp_gt_u32_e32 vcc, s6, v2
	s_waitcnt lgkmcnt(0)
	s_nop 0
	v_cndmask_b32_e32 v3, 0, v7, vcc
	v_cndmask_b32_e32 v2, 0, v1, vcc
	v_lshl_add_u64 v[2:3], v[2:3], 0, v[4:5]
.LBB217_46:
	s_or_b64 exec, exec, s[4:5]
.LBB217_47:
	s_or_b64 exec, exec, s[0:1]
.LBB217_48:
	v_cmp_eq_u32_e32 vcc, 0, v0
	s_and_saveexec_b64 s[0:1], vcc
	s_cbranch_execnz .LBB217_50
; %bb.49:
	s_endpgm
.LBB217_50:
	s_mul_i32 s0, s46, s45
	s_mul_hi_u32 s1, s46, s44
	s_add_i32 s0, s1, s0
	s_mul_i32 s1, s47, s44
	s_add_i32 s1, s0, s1
	s_mul_i32 s0, s46, s44
	s_lshl_b64 s[0:1], s[0:1], 3
	s_add_u32 s4, s42, s0
	s_addc_u32 s5, s43, s1
	s_cmp_eq_u64 s[40:41], 0
	v_mov_b32_e32 v0, s31
	s_cselect_b64 vcc, -1, 0
	s_lshl_b64 s[0:1], s[2:3], 3
	s_waitcnt lgkmcnt(1)
	v_cndmask_b32_e32 v1, v3, v0, vcc
	v_mov_b32_e32 v0, s30
	s_add_u32 s0, s4, s0
	v_cndmask_b32_e32 v0, v2, v0, vcc
	s_addc_u32 s1, s5, s1
	v_mov_b32_e32 v2, 0
	global_store_dwordx2 v2, v[0:1], s[0:1]
	s_endpgm
	.section	.rodata,"a",@progbits
	.p2align	6, 0x0
	.amdhsa_kernel _ZN7rocprim17ROCPRIM_400000_NS6detail17trampoline_kernelINS0_14default_configENS1_22reduce_config_selectorIlEEZNS1_11reduce_implILb1ES3_PlS7_lN6hipcub16HIPCUB_304000_NS6detail34convert_binary_result_type_wrapperINS9_3SumENS9_22TransformInputIteratorIb7NonZeroIfEPflEElEEEE10hipError_tPvRmT1_T2_T3_mT4_P12ihipStream_tbEUlT_E0_NS1_11comp_targetILNS1_3genE0ELNS1_11target_archE4294967295ELNS1_3gpuE0ELNS1_3repE0EEENS1_30default_config_static_selectorELNS0_4arch9wavefront6targetE1EEEvSM_
		.amdhsa_group_segment_fixed_size 64
		.amdhsa_private_segment_fixed_size 0
		.amdhsa_kernarg_size 64
		.amdhsa_user_sgpr_count 2
		.amdhsa_user_sgpr_dispatch_ptr 0
		.amdhsa_user_sgpr_queue_ptr 0
		.amdhsa_user_sgpr_kernarg_segment_ptr 1
		.amdhsa_user_sgpr_dispatch_id 0
		.amdhsa_user_sgpr_kernarg_preload_length 0
		.amdhsa_user_sgpr_kernarg_preload_offset 0
		.amdhsa_user_sgpr_private_segment_size 0
		.amdhsa_uses_dynamic_stack 0
		.amdhsa_enable_private_segment 0
		.amdhsa_system_sgpr_workgroup_id_x 1
		.amdhsa_system_sgpr_workgroup_id_y 0
		.amdhsa_system_sgpr_workgroup_id_z 0
		.amdhsa_system_sgpr_workgroup_info 0
		.amdhsa_system_vgpr_workitem_id 0
		.amdhsa_next_free_vgpr 68
		.amdhsa_next_free_sgpr 48
		.amdhsa_accum_offset 68
		.amdhsa_reserve_vcc 1
		.amdhsa_float_round_mode_32 0
		.amdhsa_float_round_mode_16_64 0
		.amdhsa_float_denorm_mode_32 3
		.amdhsa_float_denorm_mode_16_64 3
		.amdhsa_dx10_clamp 1
		.amdhsa_ieee_mode 1
		.amdhsa_fp16_overflow 0
		.amdhsa_tg_split 0
		.amdhsa_exception_fp_ieee_invalid_op 0
		.amdhsa_exception_fp_denorm_src 0
		.amdhsa_exception_fp_ieee_div_zero 0
		.amdhsa_exception_fp_ieee_overflow 0
		.amdhsa_exception_fp_ieee_underflow 0
		.amdhsa_exception_fp_ieee_inexact 0
		.amdhsa_exception_int_div_zero 0
	.end_amdhsa_kernel
	.section	.text._ZN7rocprim17ROCPRIM_400000_NS6detail17trampoline_kernelINS0_14default_configENS1_22reduce_config_selectorIlEEZNS1_11reduce_implILb1ES3_PlS7_lN6hipcub16HIPCUB_304000_NS6detail34convert_binary_result_type_wrapperINS9_3SumENS9_22TransformInputIteratorIb7NonZeroIfEPflEElEEEE10hipError_tPvRmT1_T2_T3_mT4_P12ihipStream_tbEUlT_E0_NS1_11comp_targetILNS1_3genE0ELNS1_11target_archE4294967295ELNS1_3gpuE0ELNS1_3repE0EEENS1_30default_config_static_selectorELNS0_4arch9wavefront6targetE1EEEvSM_,"axG",@progbits,_ZN7rocprim17ROCPRIM_400000_NS6detail17trampoline_kernelINS0_14default_configENS1_22reduce_config_selectorIlEEZNS1_11reduce_implILb1ES3_PlS7_lN6hipcub16HIPCUB_304000_NS6detail34convert_binary_result_type_wrapperINS9_3SumENS9_22TransformInputIteratorIb7NonZeroIfEPflEElEEEE10hipError_tPvRmT1_T2_T3_mT4_P12ihipStream_tbEUlT_E0_NS1_11comp_targetILNS1_3genE0ELNS1_11target_archE4294967295ELNS1_3gpuE0ELNS1_3repE0EEENS1_30default_config_static_selectorELNS0_4arch9wavefront6targetE1EEEvSM_,comdat
.Lfunc_end217:
	.size	_ZN7rocprim17ROCPRIM_400000_NS6detail17trampoline_kernelINS0_14default_configENS1_22reduce_config_selectorIlEEZNS1_11reduce_implILb1ES3_PlS7_lN6hipcub16HIPCUB_304000_NS6detail34convert_binary_result_type_wrapperINS9_3SumENS9_22TransformInputIteratorIb7NonZeroIfEPflEElEEEE10hipError_tPvRmT1_T2_T3_mT4_P12ihipStream_tbEUlT_E0_NS1_11comp_targetILNS1_3genE0ELNS1_11target_archE4294967295ELNS1_3gpuE0ELNS1_3repE0EEENS1_30default_config_static_selectorELNS0_4arch9wavefront6targetE1EEEvSM_, .Lfunc_end217-_ZN7rocprim17ROCPRIM_400000_NS6detail17trampoline_kernelINS0_14default_configENS1_22reduce_config_selectorIlEEZNS1_11reduce_implILb1ES3_PlS7_lN6hipcub16HIPCUB_304000_NS6detail34convert_binary_result_type_wrapperINS9_3SumENS9_22TransformInputIteratorIb7NonZeroIfEPflEElEEEE10hipError_tPvRmT1_T2_T3_mT4_P12ihipStream_tbEUlT_E0_NS1_11comp_targetILNS1_3genE0ELNS1_11target_archE4294967295ELNS1_3gpuE0ELNS1_3repE0EEENS1_30default_config_static_selectorELNS0_4arch9wavefront6targetE1EEEvSM_
                                        ; -- End function
	.set _ZN7rocprim17ROCPRIM_400000_NS6detail17trampoline_kernelINS0_14default_configENS1_22reduce_config_selectorIlEEZNS1_11reduce_implILb1ES3_PlS7_lN6hipcub16HIPCUB_304000_NS6detail34convert_binary_result_type_wrapperINS9_3SumENS9_22TransformInputIteratorIb7NonZeroIfEPflEElEEEE10hipError_tPvRmT1_T2_T3_mT4_P12ihipStream_tbEUlT_E0_NS1_11comp_targetILNS1_3genE0ELNS1_11target_archE4294967295ELNS1_3gpuE0ELNS1_3repE0EEENS1_30default_config_static_selectorELNS0_4arch9wavefront6targetE1EEEvSM_.num_vgpr, 68
	.set _ZN7rocprim17ROCPRIM_400000_NS6detail17trampoline_kernelINS0_14default_configENS1_22reduce_config_selectorIlEEZNS1_11reduce_implILb1ES3_PlS7_lN6hipcub16HIPCUB_304000_NS6detail34convert_binary_result_type_wrapperINS9_3SumENS9_22TransformInputIteratorIb7NonZeroIfEPflEElEEEE10hipError_tPvRmT1_T2_T3_mT4_P12ihipStream_tbEUlT_E0_NS1_11comp_targetILNS1_3genE0ELNS1_11target_archE4294967295ELNS1_3gpuE0ELNS1_3repE0EEENS1_30default_config_static_selectorELNS0_4arch9wavefront6targetE1EEEvSM_.num_agpr, 0
	.set _ZN7rocprim17ROCPRIM_400000_NS6detail17trampoline_kernelINS0_14default_configENS1_22reduce_config_selectorIlEEZNS1_11reduce_implILb1ES3_PlS7_lN6hipcub16HIPCUB_304000_NS6detail34convert_binary_result_type_wrapperINS9_3SumENS9_22TransformInputIteratorIb7NonZeroIfEPflEElEEEE10hipError_tPvRmT1_T2_T3_mT4_P12ihipStream_tbEUlT_E0_NS1_11comp_targetILNS1_3genE0ELNS1_11target_archE4294967295ELNS1_3gpuE0ELNS1_3repE0EEENS1_30default_config_static_selectorELNS0_4arch9wavefront6targetE1EEEvSM_.numbered_sgpr, 48
	.set _ZN7rocprim17ROCPRIM_400000_NS6detail17trampoline_kernelINS0_14default_configENS1_22reduce_config_selectorIlEEZNS1_11reduce_implILb1ES3_PlS7_lN6hipcub16HIPCUB_304000_NS6detail34convert_binary_result_type_wrapperINS9_3SumENS9_22TransformInputIteratorIb7NonZeroIfEPflEElEEEE10hipError_tPvRmT1_T2_T3_mT4_P12ihipStream_tbEUlT_E0_NS1_11comp_targetILNS1_3genE0ELNS1_11target_archE4294967295ELNS1_3gpuE0ELNS1_3repE0EEENS1_30default_config_static_selectorELNS0_4arch9wavefront6targetE1EEEvSM_.num_named_barrier, 0
	.set _ZN7rocprim17ROCPRIM_400000_NS6detail17trampoline_kernelINS0_14default_configENS1_22reduce_config_selectorIlEEZNS1_11reduce_implILb1ES3_PlS7_lN6hipcub16HIPCUB_304000_NS6detail34convert_binary_result_type_wrapperINS9_3SumENS9_22TransformInputIteratorIb7NonZeroIfEPflEElEEEE10hipError_tPvRmT1_T2_T3_mT4_P12ihipStream_tbEUlT_E0_NS1_11comp_targetILNS1_3genE0ELNS1_11target_archE4294967295ELNS1_3gpuE0ELNS1_3repE0EEENS1_30default_config_static_selectorELNS0_4arch9wavefront6targetE1EEEvSM_.private_seg_size, 0
	.set _ZN7rocprim17ROCPRIM_400000_NS6detail17trampoline_kernelINS0_14default_configENS1_22reduce_config_selectorIlEEZNS1_11reduce_implILb1ES3_PlS7_lN6hipcub16HIPCUB_304000_NS6detail34convert_binary_result_type_wrapperINS9_3SumENS9_22TransformInputIteratorIb7NonZeroIfEPflEElEEEE10hipError_tPvRmT1_T2_T3_mT4_P12ihipStream_tbEUlT_E0_NS1_11comp_targetILNS1_3genE0ELNS1_11target_archE4294967295ELNS1_3gpuE0ELNS1_3repE0EEENS1_30default_config_static_selectorELNS0_4arch9wavefront6targetE1EEEvSM_.uses_vcc, 1
	.set _ZN7rocprim17ROCPRIM_400000_NS6detail17trampoline_kernelINS0_14default_configENS1_22reduce_config_selectorIlEEZNS1_11reduce_implILb1ES3_PlS7_lN6hipcub16HIPCUB_304000_NS6detail34convert_binary_result_type_wrapperINS9_3SumENS9_22TransformInputIteratorIb7NonZeroIfEPflEElEEEE10hipError_tPvRmT1_T2_T3_mT4_P12ihipStream_tbEUlT_E0_NS1_11comp_targetILNS1_3genE0ELNS1_11target_archE4294967295ELNS1_3gpuE0ELNS1_3repE0EEENS1_30default_config_static_selectorELNS0_4arch9wavefront6targetE1EEEvSM_.uses_flat_scratch, 0
	.set _ZN7rocprim17ROCPRIM_400000_NS6detail17trampoline_kernelINS0_14default_configENS1_22reduce_config_selectorIlEEZNS1_11reduce_implILb1ES3_PlS7_lN6hipcub16HIPCUB_304000_NS6detail34convert_binary_result_type_wrapperINS9_3SumENS9_22TransformInputIteratorIb7NonZeroIfEPflEElEEEE10hipError_tPvRmT1_T2_T3_mT4_P12ihipStream_tbEUlT_E0_NS1_11comp_targetILNS1_3genE0ELNS1_11target_archE4294967295ELNS1_3gpuE0ELNS1_3repE0EEENS1_30default_config_static_selectorELNS0_4arch9wavefront6targetE1EEEvSM_.has_dyn_sized_stack, 0
	.set _ZN7rocprim17ROCPRIM_400000_NS6detail17trampoline_kernelINS0_14default_configENS1_22reduce_config_selectorIlEEZNS1_11reduce_implILb1ES3_PlS7_lN6hipcub16HIPCUB_304000_NS6detail34convert_binary_result_type_wrapperINS9_3SumENS9_22TransformInputIteratorIb7NonZeroIfEPflEElEEEE10hipError_tPvRmT1_T2_T3_mT4_P12ihipStream_tbEUlT_E0_NS1_11comp_targetILNS1_3genE0ELNS1_11target_archE4294967295ELNS1_3gpuE0ELNS1_3repE0EEENS1_30default_config_static_selectorELNS0_4arch9wavefront6targetE1EEEvSM_.has_recursion, 0
	.set _ZN7rocprim17ROCPRIM_400000_NS6detail17trampoline_kernelINS0_14default_configENS1_22reduce_config_selectorIlEEZNS1_11reduce_implILb1ES3_PlS7_lN6hipcub16HIPCUB_304000_NS6detail34convert_binary_result_type_wrapperINS9_3SumENS9_22TransformInputIteratorIb7NonZeroIfEPflEElEEEE10hipError_tPvRmT1_T2_T3_mT4_P12ihipStream_tbEUlT_E0_NS1_11comp_targetILNS1_3genE0ELNS1_11target_archE4294967295ELNS1_3gpuE0ELNS1_3repE0EEENS1_30default_config_static_selectorELNS0_4arch9wavefront6targetE1EEEvSM_.has_indirect_call, 0
	.section	.AMDGPU.csdata,"",@progbits
; Kernel info:
; codeLenInByte = 3128
; TotalNumSgprs: 54
; NumVgprs: 68
; NumAgprs: 0
; TotalNumVgprs: 68
; ScratchSize: 0
; MemoryBound: 0
; FloatMode: 240
; IeeeMode: 1
; LDSByteSize: 64 bytes/workgroup (compile time only)
; SGPRBlocks: 6
; VGPRBlocks: 8
; NumSGPRsForWavesPerEU: 54
; NumVGPRsForWavesPerEU: 68
; AccumOffset: 68
; Occupancy: 7
; WaveLimiterHint : 1
; COMPUTE_PGM_RSRC2:SCRATCH_EN: 0
; COMPUTE_PGM_RSRC2:USER_SGPR: 2
; COMPUTE_PGM_RSRC2:TRAP_HANDLER: 0
; COMPUTE_PGM_RSRC2:TGID_X_EN: 1
; COMPUTE_PGM_RSRC2:TGID_Y_EN: 0
; COMPUTE_PGM_RSRC2:TGID_Z_EN: 0
; COMPUTE_PGM_RSRC2:TIDIG_COMP_CNT: 0
; COMPUTE_PGM_RSRC3_GFX90A:ACCUM_OFFSET: 16
; COMPUTE_PGM_RSRC3_GFX90A:TG_SPLIT: 0
	.section	.text._ZN7rocprim17ROCPRIM_400000_NS6detail17trampoline_kernelINS0_14default_configENS1_22reduce_config_selectorIlEEZNS1_11reduce_implILb1ES3_PlS7_lN6hipcub16HIPCUB_304000_NS6detail34convert_binary_result_type_wrapperINS9_3SumENS9_22TransformInputIteratorIb7NonZeroIfEPflEElEEEE10hipError_tPvRmT1_T2_T3_mT4_P12ihipStream_tbEUlT_E0_NS1_11comp_targetILNS1_3genE5ELNS1_11target_archE942ELNS1_3gpuE9ELNS1_3repE0EEENS1_30default_config_static_selectorELNS0_4arch9wavefront6targetE1EEEvSM_,"axG",@progbits,_ZN7rocprim17ROCPRIM_400000_NS6detail17trampoline_kernelINS0_14default_configENS1_22reduce_config_selectorIlEEZNS1_11reduce_implILb1ES3_PlS7_lN6hipcub16HIPCUB_304000_NS6detail34convert_binary_result_type_wrapperINS9_3SumENS9_22TransformInputIteratorIb7NonZeroIfEPflEElEEEE10hipError_tPvRmT1_T2_T3_mT4_P12ihipStream_tbEUlT_E0_NS1_11comp_targetILNS1_3genE5ELNS1_11target_archE942ELNS1_3gpuE9ELNS1_3repE0EEENS1_30default_config_static_selectorELNS0_4arch9wavefront6targetE1EEEvSM_,comdat
	.protected	_ZN7rocprim17ROCPRIM_400000_NS6detail17trampoline_kernelINS0_14default_configENS1_22reduce_config_selectorIlEEZNS1_11reduce_implILb1ES3_PlS7_lN6hipcub16HIPCUB_304000_NS6detail34convert_binary_result_type_wrapperINS9_3SumENS9_22TransformInputIteratorIb7NonZeroIfEPflEElEEEE10hipError_tPvRmT1_T2_T3_mT4_P12ihipStream_tbEUlT_E0_NS1_11comp_targetILNS1_3genE5ELNS1_11target_archE942ELNS1_3gpuE9ELNS1_3repE0EEENS1_30default_config_static_selectorELNS0_4arch9wavefront6targetE1EEEvSM_ ; -- Begin function _ZN7rocprim17ROCPRIM_400000_NS6detail17trampoline_kernelINS0_14default_configENS1_22reduce_config_selectorIlEEZNS1_11reduce_implILb1ES3_PlS7_lN6hipcub16HIPCUB_304000_NS6detail34convert_binary_result_type_wrapperINS9_3SumENS9_22TransformInputIteratorIb7NonZeroIfEPflEElEEEE10hipError_tPvRmT1_T2_T3_mT4_P12ihipStream_tbEUlT_E0_NS1_11comp_targetILNS1_3genE5ELNS1_11target_archE942ELNS1_3gpuE9ELNS1_3repE0EEENS1_30default_config_static_selectorELNS0_4arch9wavefront6targetE1EEEvSM_
	.globl	_ZN7rocprim17ROCPRIM_400000_NS6detail17trampoline_kernelINS0_14default_configENS1_22reduce_config_selectorIlEEZNS1_11reduce_implILb1ES3_PlS7_lN6hipcub16HIPCUB_304000_NS6detail34convert_binary_result_type_wrapperINS9_3SumENS9_22TransformInputIteratorIb7NonZeroIfEPflEElEEEE10hipError_tPvRmT1_T2_T3_mT4_P12ihipStream_tbEUlT_E0_NS1_11comp_targetILNS1_3genE5ELNS1_11target_archE942ELNS1_3gpuE9ELNS1_3repE0EEENS1_30default_config_static_selectorELNS0_4arch9wavefront6targetE1EEEvSM_
	.p2align	8
	.type	_ZN7rocprim17ROCPRIM_400000_NS6detail17trampoline_kernelINS0_14default_configENS1_22reduce_config_selectorIlEEZNS1_11reduce_implILb1ES3_PlS7_lN6hipcub16HIPCUB_304000_NS6detail34convert_binary_result_type_wrapperINS9_3SumENS9_22TransformInputIteratorIb7NonZeroIfEPflEElEEEE10hipError_tPvRmT1_T2_T3_mT4_P12ihipStream_tbEUlT_E0_NS1_11comp_targetILNS1_3genE5ELNS1_11target_archE942ELNS1_3gpuE9ELNS1_3repE0EEENS1_30default_config_static_selectorELNS0_4arch9wavefront6targetE1EEEvSM_,@function
_ZN7rocprim17ROCPRIM_400000_NS6detail17trampoline_kernelINS0_14default_configENS1_22reduce_config_selectorIlEEZNS1_11reduce_implILb1ES3_PlS7_lN6hipcub16HIPCUB_304000_NS6detail34convert_binary_result_type_wrapperINS9_3SumENS9_22TransformInputIteratorIb7NonZeroIfEPflEElEEEE10hipError_tPvRmT1_T2_T3_mT4_P12ihipStream_tbEUlT_E0_NS1_11comp_targetILNS1_3genE5ELNS1_11target_archE942ELNS1_3gpuE9ELNS1_3repE0EEENS1_30default_config_static_selectorELNS0_4arch9wavefront6targetE1EEEvSM_: ; @_ZN7rocprim17ROCPRIM_400000_NS6detail17trampoline_kernelINS0_14default_configENS1_22reduce_config_selectorIlEEZNS1_11reduce_implILb1ES3_PlS7_lN6hipcub16HIPCUB_304000_NS6detail34convert_binary_result_type_wrapperINS9_3SumENS9_22TransformInputIteratorIb7NonZeroIfEPflEElEEEE10hipError_tPvRmT1_T2_T3_mT4_P12ihipStream_tbEUlT_E0_NS1_11comp_targetILNS1_3genE5ELNS1_11target_archE942ELNS1_3gpuE9ELNS1_3repE0EEENS1_30default_config_static_selectorELNS0_4arch9wavefront6targetE1EEEvSM_
; %bb.0:
	.section	.rodata,"a",@progbits
	.p2align	6, 0x0
	.amdhsa_kernel _ZN7rocprim17ROCPRIM_400000_NS6detail17trampoline_kernelINS0_14default_configENS1_22reduce_config_selectorIlEEZNS1_11reduce_implILb1ES3_PlS7_lN6hipcub16HIPCUB_304000_NS6detail34convert_binary_result_type_wrapperINS9_3SumENS9_22TransformInputIteratorIb7NonZeroIfEPflEElEEEE10hipError_tPvRmT1_T2_T3_mT4_P12ihipStream_tbEUlT_E0_NS1_11comp_targetILNS1_3genE5ELNS1_11target_archE942ELNS1_3gpuE9ELNS1_3repE0EEENS1_30default_config_static_selectorELNS0_4arch9wavefront6targetE1EEEvSM_
		.amdhsa_group_segment_fixed_size 0
		.amdhsa_private_segment_fixed_size 0
		.amdhsa_kernarg_size 64
		.amdhsa_user_sgpr_count 2
		.amdhsa_user_sgpr_dispatch_ptr 0
		.amdhsa_user_sgpr_queue_ptr 0
		.amdhsa_user_sgpr_kernarg_segment_ptr 1
		.amdhsa_user_sgpr_dispatch_id 0
		.amdhsa_user_sgpr_kernarg_preload_length 0
		.amdhsa_user_sgpr_kernarg_preload_offset 0
		.amdhsa_user_sgpr_private_segment_size 0
		.amdhsa_uses_dynamic_stack 0
		.amdhsa_enable_private_segment 0
		.amdhsa_system_sgpr_workgroup_id_x 1
		.amdhsa_system_sgpr_workgroup_id_y 0
		.amdhsa_system_sgpr_workgroup_id_z 0
		.amdhsa_system_sgpr_workgroup_info 0
		.amdhsa_system_vgpr_workitem_id 0
		.amdhsa_next_free_vgpr 1
		.amdhsa_next_free_sgpr 0
		.amdhsa_accum_offset 4
		.amdhsa_reserve_vcc 0
		.amdhsa_float_round_mode_32 0
		.amdhsa_float_round_mode_16_64 0
		.amdhsa_float_denorm_mode_32 3
		.amdhsa_float_denorm_mode_16_64 3
		.amdhsa_dx10_clamp 1
		.amdhsa_ieee_mode 1
		.amdhsa_fp16_overflow 0
		.amdhsa_tg_split 0
		.amdhsa_exception_fp_ieee_invalid_op 0
		.amdhsa_exception_fp_denorm_src 0
		.amdhsa_exception_fp_ieee_div_zero 0
		.amdhsa_exception_fp_ieee_overflow 0
		.amdhsa_exception_fp_ieee_underflow 0
		.amdhsa_exception_fp_ieee_inexact 0
		.amdhsa_exception_int_div_zero 0
	.end_amdhsa_kernel
	.section	.text._ZN7rocprim17ROCPRIM_400000_NS6detail17trampoline_kernelINS0_14default_configENS1_22reduce_config_selectorIlEEZNS1_11reduce_implILb1ES3_PlS7_lN6hipcub16HIPCUB_304000_NS6detail34convert_binary_result_type_wrapperINS9_3SumENS9_22TransformInputIteratorIb7NonZeroIfEPflEElEEEE10hipError_tPvRmT1_T2_T3_mT4_P12ihipStream_tbEUlT_E0_NS1_11comp_targetILNS1_3genE5ELNS1_11target_archE942ELNS1_3gpuE9ELNS1_3repE0EEENS1_30default_config_static_selectorELNS0_4arch9wavefront6targetE1EEEvSM_,"axG",@progbits,_ZN7rocprim17ROCPRIM_400000_NS6detail17trampoline_kernelINS0_14default_configENS1_22reduce_config_selectorIlEEZNS1_11reduce_implILb1ES3_PlS7_lN6hipcub16HIPCUB_304000_NS6detail34convert_binary_result_type_wrapperINS9_3SumENS9_22TransformInputIteratorIb7NonZeroIfEPflEElEEEE10hipError_tPvRmT1_T2_T3_mT4_P12ihipStream_tbEUlT_E0_NS1_11comp_targetILNS1_3genE5ELNS1_11target_archE942ELNS1_3gpuE9ELNS1_3repE0EEENS1_30default_config_static_selectorELNS0_4arch9wavefront6targetE1EEEvSM_,comdat
.Lfunc_end218:
	.size	_ZN7rocprim17ROCPRIM_400000_NS6detail17trampoline_kernelINS0_14default_configENS1_22reduce_config_selectorIlEEZNS1_11reduce_implILb1ES3_PlS7_lN6hipcub16HIPCUB_304000_NS6detail34convert_binary_result_type_wrapperINS9_3SumENS9_22TransformInputIteratorIb7NonZeroIfEPflEElEEEE10hipError_tPvRmT1_T2_T3_mT4_P12ihipStream_tbEUlT_E0_NS1_11comp_targetILNS1_3genE5ELNS1_11target_archE942ELNS1_3gpuE9ELNS1_3repE0EEENS1_30default_config_static_selectorELNS0_4arch9wavefront6targetE1EEEvSM_, .Lfunc_end218-_ZN7rocprim17ROCPRIM_400000_NS6detail17trampoline_kernelINS0_14default_configENS1_22reduce_config_selectorIlEEZNS1_11reduce_implILb1ES3_PlS7_lN6hipcub16HIPCUB_304000_NS6detail34convert_binary_result_type_wrapperINS9_3SumENS9_22TransformInputIteratorIb7NonZeroIfEPflEElEEEE10hipError_tPvRmT1_T2_T3_mT4_P12ihipStream_tbEUlT_E0_NS1_11comp_targetILNS1_3genE5ELNS1_11target_archE942ELNS1_3gpuE9ELNS1_3repE0EEENS1_30default_config_static_selectorELNS0_4arch9wavefront6targetE1EEEvSM_
                                        ; -- End function
	.set _ZN7rocprim17ROCPRIM_400000_NS6detail17trampoline_kernelINS0_14default_configENS1_22reduce_config_selectorIlEEZNS1_11reduce_implILb1ES3_PlS7_lN6hipcub16HIPCUB_304000_NS6detail34convert_binary_result_type_wrapperINS9_3SumENS9_22TransformInputIteratorIb7NonZeroIfEPflEElEEEE10hipError_tPvRmT1_T2_T3_mT4_P12ihipStream_tbEUlT_E0_NS1_11comp_targetILNS1_3genE5ELNS1_11target_archE942ELNS1_3gpuE9ELNS1_3repE0EEENS1_30default_config_static_selectorELNS0_4arch9wavefront6targetE1EEEvSM_.num_vgpr, 0
	.set _ZN7rocprim17ROCPRIM_400000_NS6detail17trampoline_kernelINS0_14default_configENS1_22reduce_config_selectorIlEEZNS1_11reduce_implILb1ES3_PlS7_lN6hipcub16HIPCUB_304000_NS6detail34convert_binary_result_type_wrapperINS9_3SumENS9_22TransformInputIteratorIb7NonZeroIfEPflEElEEEE10hipError_tPvRmT1_T2_T3_mT4_P12ihipStream_tbEUlT_E0_NS1_11comp_targetILNS1_3genE5ELNS1_11target_archE942ELNS1_3gpuE9ELNS1_3repE0EEENS1_30default_config_static_selectorELNS0_4arch9wavefront6targetE1EEEvSM_.num_agpr, 0
	.set _ZN7rocprim17ROCPRIM_400000_NS6detail17trampoline_kernelINS0_14default_configENS1_22reduce_config_selectorIlEEZNS1_11reduce_implILb1ES3_PlS7_lN6hipcub16HIPCUB_304000_NS6detail34convert_binary_result_type_wrapperINS9_3SumENS9_22TransformInputIteratorIb7NonZeroIfEPflEElEEEE10hipError_tPvRmT1_T2_T3_mT4_P12ihipStream_tbEUlT_E0_NS1_11comp_targetILNS1_3genE5ELNS1_11target_archE942ELNS1_3gpuE9ELNS1_3repE0EEENS1_30default_config_static_selectorELNS0_4arch9wavefront6targetE1EEEvSM_.numbered_sgpr, 0
	.set _ZN7rocprim17ROCPRIM_400000_NS6detail17trampoline_kernelINS0_14default_configENS1_22reduce_config_selectorIlEEZNS1_11reduce_implILb1ES3_PlS7_lN6hipcub16HIPCUB_304000_NS6detail34convert_binary_result_type_wrapperINS9_3SumENS9_22TransformInputIteratorIb7NonZeroIfEPflEElEEEE10hipError_tPvRmT1_T2_T3_mT4_P12ihipStream_tbEUlT_E0_NS1_11comp_targetILNS1_3genE5ELNS1_11target_archE942ELNS1_3gpuE9ELNS1_3repE0EEENS1_30default_config_static_selectorELNS0_4arch9wavefront6targetE1EEEvSM_.num_named_barrier, 0
	.set _ZN7rocprim17ROCPRIM_400000_NS6detail17trampoline_kernelINS0_14default_configENS1_22reduce_config_selectorIlEEZNS1_11reduce_implILb1ES3_PlS7_lN6hipcub16HIPCUB_304000_NS6detail34convert_binary_result_type_wrapperINS9_3SumENS9_22TransformInputIteratorIb7NonZeroIfEPflEElEEEE10hipError_tPvRmT1_T2_T3_mT4_P12ihipStream_tbEUlT_E0_NS1_11comp_targetILNS1_3genE5ELNS1_11target_archE942ELNS1_3gpuE9ELNS1_3repE0EEENS1_30default_config_static_selectorELNS0_4arch9wavefront6targetE1EEEvSM_.private_seg_size, 0
	.set _ZN7rocprim17ROCPRIM_400000_NS6detail17trampoline_kernelINS0_14default_configENS1_22reduce_config_selectorIlEEZNS1_11reduce_implILb1ES3_PlS7_lN6hipcub16HIPCUB_304000_NS6detail34convert_binary_result_type_wrapperINS9_3SumENS9_22TransformInputIteratorIb7NonZeroIfEPflEElEEEE10hipError_tPvRmT1_T2_T3_mT4_P12ihipStream_tbEUlT_E0_NS1_11comp_targetILNS1_3genE5ELNS1_11target_archE942ELNS1_3gpuE9ELNS1_3repE0EEENS1_30default_config_static_selectorELNS0_4arch9wavefront6targetE1EEEvSM_.uses_vcc, 0
	.set _ZN7rocprim17ROCPRIM_400000_NS6detail17trampoline_kernelINS0_14default_configENS1_22reduce_config_selectorIlEEZNS1_11reduce_implILb1ES3_PlS7_lN6hipcub16HIPCUB_304000_NS6detail34convert_binary_result_type_wrapperINS9_3SumENS9_22TransformInputIteratorIb7NonZeroIfEPflEElEEEE10hipError_tPvRmT1_T2_T3_mT4_P12ihipStream_tbEUlT_E0_NS1_11comp_targetILNS1_3genE5ELNS1_11target_archE942ELNS1_3gpuE9ELNS1_3repE0EEENS1_30default_config_static_selectorELNS0_4arch9wavefront6targetE1EEEvSM_.uses_flat_scratch, 0
	.set _ZN7rocprim17ROCPRIM_400000_NS6detail17trampoline_kernelINS0_14default_configENS1_22reduce_config_selectorIlEEZNS1_11reduce_implILb1ES3_PlS7_lN6hipcub16HIPCUB_304000_NS6detail34convert_binary_result_type_wrapperINS9_3SumENS9_22TransformInputIteratorIb7NonZeroIfEPflEElEEEE10hipError_tPvRmT1_T2_T3_mT4_P12ihipStream_tbEUlT_E0_NS1_11comp_targetILNS1_3genE5ELNS1_11target_archE942ELNS1_3gpuE9ELNS1_3repE0EEENS1_30default_config_static_selectorELNS0_4arch9wavefront6targetE1EEEvSM_.has_dyn_sized_stack, 0
	.set _ZN7rocprim17ROCPRIM_400000_NS6detail17trampoline_kernelINS0_14default_configENS1_22reduce_config_selectorIlEEZNS1_11reduce_implILb1ES3_PlS7_lN6hipcub16HIPCUB_304000_NS6detail34convert_binary_result_type_wrapperINS9_3SumENS9_22TransformInputIteratorIb7NonZeroIfEPflEElEEEE10hipError_tPvRmT1_T2_T3_mT4_P12ihipStream_tbEUlT_E0_NS1_11comp_targetILNS1_3genE5ELNS1_11target_archE942ELNS1_3gpuE9ELNS1_3repE0EEENS1_30default_config_static_selectorELNS0_4arch9wavefront6targetE1EEEvSM_.has_recursion, 0
	.set _ZN7rocprim17ROCPRIM_400000_NS6detail17trampoline_kernelINS0_14default_configENS1_22reduce_config_selectorIlEEZNS1_11reduce_implILb1ES3_PlS7_lN6hipcub16HIPCUB_304000_NS6detail34convert_binary_result_type_wrapperINS9_3SumENS9_22TransformInputIteratorIb7NonZeroIfEPflEElEEEE10hipError_tPvRmT1_T2_T3_mT4_P12ihipStream_tbEUlT_E0_NS1_11comp_targetILNS1_3genE5ELNS1_11target_archE942ELNS1_3gpuE9ELNS1_3repE0EEENS1_30default_config_static_selectorELNS0_4arch9wavefront6targetE1EEEvSM_.has_indirect_call, 0
	.section	.AMDGPU.csdata,"",@progbits
; Kernel info:
; codeLenInByte = 0
; TotalNumSgprs: 6
; NumVgprs: 0
; NumAgprs: 0
; TotalNumVgprs: 0
; ScratchSize: 0
; MemoryBound: 0
; FloatMode: 240
; IeeeMode: 1
; LDSByteSize: 0 bytes/workgroup (compile time only)
; SGPRBlocks: 0
; VGPRBlocks: 0
; NumSGPRsForWavesPerEU: 6
; NumVGPRsForWavesPerEU: 1
; AccumOffset: 4
; Occupancy: 8
; WaveLimiterHint : 0
; COMPUTE_PGM_RSRC2:SCRATCH_EN: 0
; COMPUTE_PGM_RSRC2:USER_SGPR: 2
; COMPUTE_PGM_RSRC2:TRAP_HANDLER: 0
; COMPUTE_PGM_RSRC2:TGID_X_EN: 1
; COMPUTE_PGM_RSRC2:TGID_Y_EN: 0
; COMPUTE_PGM_RSRC2:TGID_Z_EN: 0
; COMPUTE_PGM_RSRC2:TIDIG_COMP_CNT: 0
; COMPUTE_PGM_RSRC3_GFX90A:ACCUM_OFFSET: 0
; COMPUTE_PGM_RSRC3_GFX90A:TG_SPLIT: 0
	.section	.text._ZN7rocprim17ROCPRIM_400000_NS6detail17trampoline_kernelINS0_14default_configENS1_22reduce_config_selectorIlEEZNS1_11reduce_implILb1ES3_PlS7_lN6hipcub16HIPCUB_304000_NS6detail34convert_binary_result_type_wrapperINS9_3SumENS9_22TransformInputIteratorIb7NonZeroIfEPflEElEEEE10hipError_tPvRmT1_T2_T3_mT4_P12ihipStream_tbEUlT_E0_NS1_11comp_targetILNS1_3genE4ELNS1_11target_archE910ELNS1_3gpuE8ELNS1_3repE0EEENS1_30default_config_static_selectorELNS0_4arch9wavefront6targetE1EEEvSM_,"axG",@progbits,_ZN7rocprim17ROCPRIM_400000_NS6detail17trampoline_kernelINS0_14default_configENS1_22reduce_config_selectorIlEEZNS1_11reduce_implILb1ES3_PlS7_lN6hipcub16HIPCUB_304000_NS6detail34convert_binary_result_type_wrapperINS9_3SumENS9_22TransformInputIteratorIb7NonZeroIfEPflEElEEEE10hipError_tPvRmT1_T2_T3_mT4_P12ihipStream_tbEUlT_E0_NS1_11comp_targetILNS1_3genE4ELNS1_11target_archE910ELNS1_3gpuE8ELNS1_3repE0EEENS1_30default_config_static_selectorELNS0_4arch9wavefront6targetE1EEEvSM_,comdat
	.protected	_ZN7rocprim17ROCPRIM_400000_NS6detail17trampoline_kernelINS0_14default_configENS1_22reduce_config_selectorIlEEZNS1_11reduce_implILb1ES3_PlS7_lN6hipcub16HIPCUB_304000_NS6detail34convert_binary_result_type_wrapperINS9_3SumENS9_22TransformInputIteratorIb7NonZeroIfEPflEElEEEE10hipError_tPvRmT1_T2_T3_mT4_P12ihipStream_tbEUlT_E0_NS1_11comp_targetILNS1_3genE4ELNS1_11target_archE910ELNS1_3gpuE8ELNS1_3repE0EEENS1_30default_config_static_selectorELNS0_4arch9wavefront6targetE1EEEvSM_ ; -- Begin function _ZN7rocprim17ROCPRIM_400000_NS6detail17trampoline_kernelINS0_14default_configENS1_22reduce_config_selectorIlEEZNS1_11reduce_implILb1ES3_PlS7_lN6hipcub16HIPCUB_304000_NS6detail34convert_binary_result_type_wrapperINS9_3SumENS9_22TransformInputIteratorIb7NonZeroIfEPflEElEEEE10hipError_tPvRmT1_T2_T3_mT4_P12ihipStream_tbEUlT_E0_NS1_11comp_targetILNS1_3genE4ELNS1_11target_archE910ELNS1_3gpuE8ELNS1_3repE0EEENS1_30default_config_static_selectorELNS0_4arch9wavefront6targetE1EEEvSM_
	.globl	_ZN7rocprim17ROCPRIM_400000_NS6detail17trampoline_kernelINS0_14default_configENS1_22reduce_config_selectorIlEEZNS1_11reduce_implILb1ES3_PlS7_lN6hipcub16HIPCUB_304000_NS6detail34convert_binary_result_type_wrapperINS9_3SumENS9_22TransformInputIteratorIb7NonZeroIfEPflEElEEEE10hipError_tPvRmT1_T2_T3_mT4_P12ihipStream_tbEUlT_E0_NS1_11comp_targetILNS1_3genE4ELNS1_11target_archE910ELNS1_3gpuE8ELNS1_3repE0EEENS1_30default_config_static_selectorELNS0_4arch9wavefront6targetE1EEEvSM_
	.p2align	8
	.type	_ZN7rocprim17ROCPRIM_400000_NS6detail17trampoline_kernelINS0_14default_configENS1_22reduce_config_selectorIlEEZNS1_11reduce_implILb1ES3_PlS7_lN6hipcub16HIPCUB_304000_NS6detail34convert_binary_result_type_wrapperINS9_3SumENS9_22TransformInputIteratorIb7NonZeroIfEPflEElEEEE10hipError_tPvRmT1_T2_T3_mT4_P12ihipStream_tbEUlT_E0_NS1_11comp_targetILNS1_3genE4ELNS1_11target_archE910ELNS1_3gpuE8ELNS1_3repE0EEENS1_30default_config_static_selectorELNS0_4arch9wavefront6targetE1EEEvSM_,@function
_ZN7rocprim17ROCPRIM_400000_NS6detail17trampoline_kernelINS0_14default_configENS1_22reduce_config_selectorIlEEZNS1_11reduce_implILb1ES3_PlS7_lN6hipcub16HIPCUB_304000_NS6detail34convert_binary_result_type_wrapperINS9_3SumENS9_22TransformInputIteratorIb7NonZeroIfEPflEElEEEE10hipError_tPvRmT1_T2_T3_mT4_P12ihipStream_tbEUlT_E0_NS1_11comp_targetILNS1_3genE4ELNS1_11target_archE910ELNS1_3gpuE8ELNS1_3repE0EEENS1_30default_config_static_selectorELNS0_4arch9wavefront6targetE1EEEvSM_: ; @_ZN7rocprim17ROCPRIM_400000_NS6detail17trampoline_kernelINS0_14default_configENS1_22reduce_config_selectorIlEEZNS1_11reduce_implILb1ES3_PlS7_lN6hipcub16HIPCUB_304000_NS6detail34convert_binary_result_type_wrapperINS9_3SumENS9_22TransformInputIteratorIb7NonZeroIfEPflEElEEEE10hipError_tPvRmT1_T2_T3_mT4_P12ihipStream_tbEUlT_E0_NS1_11comp_targetILNS1_3genE4ELNS1_11target_archE910ELNS1_3gpuE8ELNS1_3repE0EEENS1_30default_config_static_selectorELNS0_4arch9wavefront6targetE1EEEvSM_
; %bb.0:
	.section	.rodata,"a",@progbits
	.p2align	6, 0x0
	.amdhsa_kernel _ZN7rocprim17ROCPRIM_400000_NS6detail17trampoline_kernelINS0_14default_configENS1_22reduce_config_selectorIlEEZNS1_11reduce_implILb1ES3_PlS7_lN6hipcub16HIPCUB_304000_NS6detail34convert_binary_result_type_wrapperINS9_3SumENS9_22TransformInputIteratorIb7NonZeroIfEPflEElEEEE10hipError_tPvRmT1_T2_T3_mT4_P12ihipStream_tbEUlT_E0_NS1_11comp_targetILNS1_3genE4ELNS1_11target_archE910ELNS1_3gpuE8ELNS1_3repE0EEENS1_30default_config_static_selectorELNS0_4arch9wavefront6targetE1EEEvSM_
		.amdhsa_group_segment_fixed_size 0
		.amdhsa_private_segment_fixed_size 0
		.amdhsa_kernarg_size 64
		.amdhsa_user_sgpr_count 2
		.amdhsa_user_sgpr_dispatch_ptr 0
		.amdhsa_user_sgpr_queue_ptr 0
		.amdhsa_user_sgpr_kernarg_segment_ptr 1
		.amdhsa_user_sgpr_dispatch_id 0
		.amdhsa_user_sgpr_kernarg_preload_length 0
		.amdhsa_user_sgpr_kernarg_preload_offset 0
		.amdhsa_user_sgpr_private_segment_size 0
		.amdhsa_uses_dynamic_stack 0
		.amdhsa_enable_private_segment 0
		.amdhsa_system_sgpr_workgroup_id_x 1
		.amdhsa_system_sgpr_workgroup_id_y 0
		.amdhsa_system_sgpr_workgroup_id_z 0
		.amdhsa_system_sgpr_workgroup_info 0
		.amdhsa_system_vgpr_workitem_id 0
		.amdhsa_next_free_vgpr 1
		.amdhsa_next_free_sgpr 0
		.amdhsa_accum_offset 4
		.amdhsa_reserve_vcc 0
		.amdhsa_float_round_mode_32 0
		.amdhsa_float_round_mode_16_64 0
		.amdhsa_float_denorm_mode_32 3
		.amdhsa_float_denorm_mode_16_64 3
		.amdhsa_dx10_clamp 1
		.amdhsa_ieee_mode 1
		.amdhsa_fp16_overflow 0
		.amdhsa_tg_split 0
		.amdhsa_exception_fp_ieee_invalid_op 0
		.amdhsa_exception_fp_denorm_src 0
		.amdhsa_exception_fp_ieee_div_zero 0
		.amdhsa_exception_fp_ieee_overflow 0
		.amdhsa_exception_fp_ieee_underflow 0
		.amdhsa_exception_fp_ieee_inexact 0
		.amdhsa_exception_int_div_zero 0
	.end_amdhsa_kernel
	.section	.text._ZN7rocprim17ROCPRIM_400000_NS6detail17trampoline_kernelINS0_14default_configENS1_22reduce_config_selectorIlEEZNS1_11reduce_implILb1ES3_PlS7_lN6hipcub16HIPCUB_304000_NS6detail34convert_binary_result_type_wrapperINS9_3SumENS9_22TransformInputIteratorIb7NonZeroIfEPflEElEEEE10hipError_tPvRmT1_T2_T3_mT4_P12ihipStream_tbEUlT_E0_NS1_11comp_targetILNS1_3genE4ELNS1_11target_archE910ELNS1_3gpuE8ELNS1_3repE0EEENS1_30default_config_static_selectorELNS0_4arch9wavefront6targetE1EEEvSM_,"axG",@progbits,_ZN7rocprim17ROCPRIM_400000_NS6detail17trampoline_kernelINS0_14default_configENS1_22reduce_config_selectorIlEEZNS1_11reduce_implILb1ES3_PlS7_lN6hipcub16HIPCUB_304000_NS6detail34convert_binary_result_type_wrapperINS9_3SumENS9_22TransformInputIteratorIb7NonZeroIfEPflEElEEEE10hipError_tPvRmT1_T2_T3_mT4_P12ihipStream_tbEUlT_E0_NS1_11comp_targetILNS1_3genE4ELNS1_11target_archE910ELNS1_3gpuE8ELNS1_3repE0EEENS1_30default_config_static_selectorELNS0_4arch9wavefront6targetE1EEEvSM_,comdat
.Lfunc_end219:
	.size	_ZN7rocprim17ROCPRIM_400000_NS6detail17trampoline_kernelINS0_14default_configENS1_22reduce_config_selectorIlEEZNS1_11reduce_implILb1ES3_PlS7_lN6hipcub16HIPCUB_304000_NS6detail34convert_binary_result_type_wrapperINS9_3SumENS9_22TransformInputIteratorIb7NonZeroIfEPflEElEEEE10hipError_tPvRmT1_T2_T3_mT4_P12ihipStream_tbEUlT_E0_NS1_11comp_targetILNS1_3genE4ELNS1_11target_archE910ELNS1_3gpuE8ELNS1_3repE0EEENS1_30default_config_static_selectorELNS0_4arch9wavefront6targetE1EEEvSM_, .Lfunc_end219-_ZN7rocprim17ROCPRIM_400000_NS6detail17trampoline_kernelINS0_14default_configENS1_22reduce_config_selectorIlEEZNS1_11reduce_implILb1ES3_PlS7_lN6hipcub16HIPCUB_304000_NS6detail34convert_binary_result_type_wrapperINS9_3SumENS9_22TransformInputIteratorIb7NonZeroIfEPflEElEEEE10hipError_tPvRmT1_T2_T3_mT4_P12ihipStream_tbEUlT_E0_NS1_11comp_targetILNS1_3genE4ELNS1_11target_archE910ELNS1_3gpuE8ELNS1_3repE0EEENS1_30default_config_static_selectorELNS0_4arch9wavefront6targetE1EEEvSM_
                                        ; -- End function
	.set _ZN7rocprim17ROCPRIM_400000_NS6detail17trampoline_kernelINS0_14default_configENS1_22reduce_config_selectorIlEEZNS1_11reduce_implILb1ES3_PlS7_lN6hipcub16HIPCUB_304000_NS6detail34convert_binary_result_type_wrapperINS9_3SumENS9_22TransformInputIteratorIb7NonZeroIfEPflEElEEEE10hipError_tPvRmT1_T2_T3_mT4_P12ihipStream_tbEUlT_E0_NS1_11comp_targetILNS1_3genE4ELNS1_11target_archE910ELNS1_3gpuE8ELNS1_3repE0EEENS1_30default_config_static_selectorELNS0_4arch9wavefront6targetE1EEEvSM_.num_vgpr, 0
	.set _ZN7rocprim17ROCPRIM_400000_NS6detail17trampoline_kernelINS0_14default_configENS1_22reduce_config_selectorIlEEZNS1_11reduce_implILb1ES3_PlS7_lN6hipcub16HIPCUB_304000_NS6detail34convert_binary_result_type_wrapperINS9_3SumENS9_22TransformInputIteratorIb7NonZeroIfEPflEElEEEE10hipError_tPvRmT1_T2_T3_mT4_P12ihipStream_tbEUlT_E0_NS1_11comp_targetILNS1_3genE4ELNS1_11target_archE910ELNS1_3gpuE8ELNS1_3repE0EEENS1_30default_config_static_selectorELNS0_4arch9wavefront6targetE1EEEvSM_.num_agpr, 0
	.set _ZN7rocprim17ROCPRIM_400000_NS6detail17trampoline_kernelINS0_14default_configENS1_22reduce_config_selectorIlEEZNS1_11reduce_implILb1ES3_PlS7_lN6hipcub16HIPCUB_304000_NS6detail34convert_binary_result_type_wrapperINS9_3SumENS9_22TransformInputIteratorIb7NonZeroIfEPflEElEEEE10hipError_tPvRmT1_T2_T3_mT4_P12ihipStream_tbEUlT_E0_NS1_11comp_targetILNS1_3genE4ELNS1_11target_archE910ELNS1_3gpuE8ELNS1_3repE0EEENS1_30default_config_static_selectorELNS0_4arch9wavefront6targetE1EEEvSM_.numbered_sgpr, 0
	.set _ZN7rocprim17ROCPRIM_400000_NS6detail17trampoline_kernelINS0_14default_configENS1_22reduce_config_selectorIlEEZNS1_11reduce_implILb1ES3_PlS7_lN6hipcub16HIPCUB_304000_NS6detail34convert_binary_result_type_wrapperINS9_3SumENS9_22TransformInputIteratorIb7NonZeroIfEPflEElEEEE10hipError_tPvRmT1_T2_T3_mT4_P12ihipStream_tbEUlT_E0_NS1_11comp_targetILNS1_3genE4ELNS1_11target_archE910ELNS1_3gpuE8ELNS1_3repE0EEENS1_30default_config_static_selectorELNS0_4arch9wavefront6targetE1EEEvSM_.num_named_barrier, 0
	.set _ZN7rocprim17ROCPRIM_400000_NS6detail17trampoline_kernelINS0_14default_configENS1_22reduce_config_selectorIlEEZNS1_11reduce_implILb1ES3_PlS7_lN6hipcub16HIPCUB_304000_NS6detail34convert_binary_result_type_wrapperINS9_3SumENS9_22TransformInputIteratorIb7NonZeroIfEPflEElEEEE10hipError_tPvRmT1_T2_T3_mT4_P12ihipStream_tbEUlT_E0_NS1_11comp_targetILNS1_3genE4ELNS1_11target_archE910ELNS1_3gpuE8ELNS1_3repE0EEENS1_30default_config_static_selectorELNS0_4arch9wavefront6targetE1EEEvSM_.private_seg_size, 0
	.set _ZN7rocprim17ROCPRIM_400000_NS6detail17trampoline_kernelINS0_14default_configENS1_22reduce_config_selectorIlEEZNS1_11reduce_implILb1ES3_PlS7_lN6hipcub16HIPCUB_304000_NS6detail34convert_binary_result_type_wrapperINS9_3SumENS9_22TransformInputIteratorIb7NonZeroIfEPflEElEEEE10hipError_tPvRmT1_T2_T3_mT4_P12ihipStream_tbEUlT_E0_NS1_11comp_targetILNS1_3genE4ELNS1_11target_archE910ELNS1_3gpuE8ELNS1_3repE0EEENS1_30default_config_static_selectorELNS0_4arch9wavefront6targetE1EEEvSM_.uses_vcc, 0
	.set _ZN7rocprim17ROCPRIM_400000_NS6detail17trampoline_kernelINS0_14default_configENS1_22reduce_config_selectorIlEEZNS1_11reduce_implILb1ES3_PlS7_lN6hipcub16HIPCUB_304000_NS6detail34convert_binary_result_type_wrapperINS9_3SumENS9_22TransformInputIteratorIb7NonZeroIfEPflEElEEEE10hipError_tPvRmT1_T2_T3_mT4_P12ihipStream_tbEUlT_E0_NS1_11comp_targetILNS1_3genE4ELNS1_11target_archE910ELNS1_3gpuE8ELNS1_3repE0EEENS1_30default_config_static_selectorELNS0_4arch9wavefront6targetE1EEEvSM_.uses_flat_scratch, 0
	.set _ZN7rocprim17ROCPRIM_400000_NS6detail17trampoline_kernelINS0_14default_configENS1_22reduce_config_selectorIlEEZNS1_11reduce_implILb1ES3_PlS7_lN6hipcub16HIPCUB_304000_NS6detail34convert_binary_result_type_wrapperINS9_3SumENS9_22TransformInputIteratorIb7NonZeroIfEPflEElEEEE10hipError_tPvRmT1_T2_T3_mT4_P12ihipStream_tbEUlT_E0_NS1_11comp_targetILNS1_3genE4ELNS1_11target_archE910ELNS1_3gpuE8ELNS1_3repE0EEENS1_30default_config_static_selectorELNS0_4arch9wavefront6targetE1EEEvSM_.has_dyn_sized_stack, 0
	.set _ZN7rocprim17ROCPRIM_400000_NS6detail17trampoline_kernelINS0_14default_configENS1_22reduce_config_selectorIlEEZNS1_11reduce_implILb1ES3_PlS7_lN6hipcub16HIPCUB_304000_NS6detail34convert_binary_result_type_wrapperINS9_3SumENS9_22TransformInputIteratorIb7NonZeroIfEPflEElEEEE10hipError_tPvRmT1_T2_T3_mT4_P12ihipStream_tbEUlT_E0_NS1_11comp_targetILNS1_3genE4ELNS1_11target_archE910ELNS1_3gpuE8ELNS1_3repE0EEENS1_30default_config_static_selectorELNS0_4arch9wavefront6targetE1EEEvSM_.has_recursion, 0
	.set _ZN7rocprim17ROCPRIM_400000_NS6detail17trampoline_kernelINS0_14default_configENS1_22reduce_config_selectorIlEEZNS1_11reduce_implILb1ES3_PlS7_lN6hipcub16HIPCUB_304000_NS6detail34convert_binary_result_type_wrapperINS9_3SumENS9_22TransformInputIteratorIb7NonZeroIfEPflEElEEEE10hipError_tPvRmT1_T2_T3_mT4_P12ihipStream_tbEUlT_E0_NS1_11comp_targetILNS1_3genE4ELNS1_11target_archE910ELNS1_3gpuE8ELNS1_3repE0EEENS1_30default_config_static_selectorELNS0_4arch9wavefront6targetE1EEEvSM_.has_indirect_call, 0
	.section	.AMDGPU.csdata,"",@progbits
; Kernel info:
; codeLenInByte = 0
; TotalNumSgprs: 6
; NumVgprs: 0
; NumAgprs: 0
; TotalNumVgprs: 0
; ScratchSize: 0
; MemoryBound: 0
; FloatMode: 240
; IeeeMode: 1
; LDSByteSize: 0 bytes/workgroup (compile time only)
; SGPRBlocks: 0
; VGPRBlocks: 0
; NumSGPRsForWavesPerEU: 6
; NumVGPRsForWavesPerEU: 1
; AccumOffset: 4
; Occupancy: 8
; WaveLimiterHint : 0
; COMPUTE_PGM_RSRC2:SCRATCH_EN: 0
; COMPUTE_PGM_RSRC2:USER_SGPR: 2
; COMPUTE_PGM_RSRC2:TRAP_HANDLER: 0
; COMPUTE_PGM_RSRC2:TGID_X_EN: 1
; COMPUTE_PGM_RSRC2:TGID_Y_EN: 0
; COMPUTE_PGM_RSRC2:TGID_Z_EN: 0
; COMPUTE_PGM_RSRC2:TIDIG_COMP_CNT: 0
; COMPUTE_PGM_RSRC3_GFX90A:ACCUM_OFFSET: 0
; COMPUTE_PGM_RSRC3_GFX90A:TG_SPLIT: 0
	.section	.text._ZN7rocprim17ROCPRIM_400000_NS6detail17trampoline_kernelINS0_14default_configENS1_22reduce_config_selectorIlEEZNS1_11reduce_implILb1ES3_PlS7_lN6hipcub16HIPCUB_304000_NS6detail34convert_binary_result_type_wrapperINS9_3SumENS9_22TransformInputIteratorIb7NonZeroIfEPflEElEEEE10hipError_tPvRmT1_T2_T3_mT4_P12ihipStream_tbEUlT_E0_NS1_11comp_targetILNS1_3genE3ELNS1_11target_archE908ELNS1_3gpuE7ELNS1_3repE0EEENS1_30default_config_static_selectorELNS0_4arch9wavefront6targetE1EEEvSM_,"axG",@progbits,_ZN7rocprim17ROCPRIM_400000_NS6detail17trampoline_kernelINS0_14default_configENS1_22reduce_config_selectorIlEEZNS1_11reduce_implILb1ES3_PlS7_lN6hipcub16HIPCUB_304000_NS6detail34convert_binary_result_type_wrapperINS9_3SumENS9_22TransformInputIteratorIb7NonZeroIfEPflEElEEEE10hipError_tPvRmT1_T2_T3_mT4_P12ihipStream_tbEUlT_E0_NS1_11comp_targetILNS1_3genE3ELNS1_11target_archE908ELNS1_3gpuE7ELNS1_3repE0EEENS1_30default_config_static_selectorELNS0_4arch9wavefront6targetE1EEEvSM_,comdat
	.protected	_ZN7rocprim17ROCPRIM_400000_NS6detail17trampoline_kernelINS0_14default_configENS1_22reduce_config_selectorIlEEZNS1_11reduce_implILb1ES3_PlS7_lN6hipcub16HIPCUB_304000_NS6detail34convert_binary_result_type_wrapperINS9_3SumENS9_22TransformInputIteratorIb7NonZeroIfEPflEElEEEE10hipError_tPvRmT1_T2_T3_mT4_P12ihipStream_tbEUlT_E0_NS1_11comp_targetILNS1_3genE3ELNS1_11target_archE908ELNS1_3gpuE7ELNS1_3repE0EEENS1_30default_config_static_selectorELNS0_4arch9wavefront6targetE1EEEvSM_ ; -- Begin function _ZN7rocprim17ROCPRIM_400000_NS6detail17trampoline_kernelINS0_14default_configENS1_22reduce_config_selectorIlEEZNS1_11reduce_implILb1ES3_PlS7_lN6hipcub16HIPCUB_304000_NS6detail34convert_binary_result_type_wrapperINS9_3SumENS9_22TransformInputIteratorIb7NonZeroIfEPflEElEEEE10hipError_tPvRmT1_T2_T3_mT4_P12ihipStream_tbEUlT_E0_NS1_11comp_targetILNS1_3genE3ELNS1_11target_archE908ELNS1_3gpuE7ELNS1_3repE0EEENS1_30default_config_static_selectorELNS0_4arch9wavefront6targetE1EEEvSM_
	.globl	_ZN7rocprim17ROCPRIM_400000_NS6detail17trampoline_kernelINS0_14default_configENS1_22reduce_config_selectorIlEEZNS1_11reduce_implILb1ES3_PlS7_lN6hipcub16HIPCUB_304000_NS6detail34convert_binary_result_type_wrapperINS9_3SumENS9_22TransformInputIteratorIb7NonZeroIfEPflEElEEEE10hipError_tPvRmT1_T2_T3_mT4_P12ihipStream_tbEUlT_E0_NS1_11comp_targetILNS1_3genE3ELNS1_11target_archE908ELNS1_3gpuE7ELNS1_3repE0EEENS1_30default_config_static_selectorELNS0_4arch9wavefront6targetE1EEEvSM_
	.p2align	8
	.type	_ZN7rocprim17ROCPRIM_400000_NS6detail17trampoline_kernelINS0_14default_configENS1_22reduce_config_selectorIlEEZNS1_11reduce_implILb1ES3_PlS7_lN6hipcub16HIPCUB_304000_NS6detail34convert_binary_result_type_wrapperINS9_3SumENS9_22TransformInputIteratorIb7NonZeroIfEPflEElEEEE10hipError_tPvRmT1_T2_T3_mT4_P12ihipStream_tbEUlT_E0_NS1_11comp_targetILNS1_3genE3ELNS1_11target_archE908ELNS1_3gpuE7ELNS1_3repE0EEENS1_30default_config_static_selectorELNS0_4arch9wavefront6targetE1EEEvSM_,@function
_ZN7rocprim17ROCPRIM_400000_NS6detail17trampoline_kernelINS0_14default_configENS1_22reduce_config_selectorIlEEZNS1_11reduce_implILb1ES3_PlS7_lN6hipcub16HIPCUB_304000_NS6detail34convert_binary_result_type_wrapperINS9_3SumENS9_22TransformInputIteratorIb7NonZeroIfEPflEElEEEE10hipError_tPvRmT1_T2_T3_mT4_P12ihipStream_tbEUlT_E0_NS1_11comp_targetILNS1_3genE3ELNS1_11target_archE908ELNS1_3gpuE7ELNS1_3repE0EEENS1_30default_config_static_selectorELNS0_4arch9wavefront6targetE1EEEvSM_: ; @_ZN7rocprim17ROCPRIM_400000_NS6detail17trampoline_kernelINS0_14default_configENS1_22reduce_config_selectorIlEEZNS1_11reduce_implILb1ES3_PlS7_lN6hipcub16HIPCUB_304000_NS6detail34convert_binary_result_type_wrapperINS9_3SumENS9_22TransformInputIteratorIb7NonZeroIfEPflEElEEEE10hipError_tPvRmT1_T2_T3_mT4_P12ihipStream_tbEUlT_E0_NS1_11comp_targetILNS1_3genE3ELNS1_11target_archE908ELNS1_3gpuE7ELNS1_3repE0EEENS1_30default_config_static_selectorELNS0_4arch9wavefront6targetE1EEEvSM_
; %bb.0:
	.section	.rodata,"a",@progbits
	.p2align	6, 0x0
	.amdhsa_kernel _ZN7rocprim17ROCPRIM_400000_NS6detail17trampoline_kernelINS0_14default_configENS1_22reduce_config_selectorIlEEZNS1_11reduce_implILb1ES3_PlS7_lN6hipcub16HIPCUB_304000_NS6detail34convert_binary_result_type_wrapperINS9_3SumENS9_22TransformInputIteratorIb7NonZeroIfEPflEElEEEE10hipError_tPvRmT1_T2_T3_mT4_P12ihipStream_tbEUlT_E0_NS1_11comp_targetILNS1_3genE3ELNS1_11target_archE908ELNS1_3gpuE7ELNS1_3repE0EEENS1_30default_config_static_selectorELNS0_4arch9wavefront6targetE1EEEvSM_
		.amdhsa_group_segment_fixed_size 0
		.amdhsa_private_segment_fixed_size 0
		.amdhsa_kernarg_size 64
		.amdhsa_user_sgpr_count 2
		.amdhsa_user_sgpr_dispatch_ptr 0
		.amdhsa_user_sgpr_queue_ptr 0
		.amdhsa_user_sgpr_kernarg_segment_ptr 1
		.amdhsa_user_sgpr_dispatch_id 0
		.amdhsa_user_sgpr_kernarg_preload_length 0
		.amdhsa_user_sgpr_kernarg_preload_offset 0
		.amdhsa_user_sgpr_private_segment_size 0
		.amdhsa_uses_dynamic_stack 0
		.amdhsa_enable_private_segment 0
		.amdhsa_system_sgpr_workgroup_id_x 1
		.amdhsa_system_sgpr_workgroup_id_y 0
		.amdhsa_system_sgpr_workgroup_id_z 0
		.amdhsa_system_sgpr_workgroup_info 0
		.amdhsa_system_vgpr_workitem_id 0
		.amdhsa_next_free_vgpr 1
		.amdhsa_next_free_sgpr 0
		.amdhsa_accum_offset 4
		.amdhsa_reserve_vcc 0
		.amdhsa_float_round_mode_32 0
		.amdhsa_float_round_mode_16_64 0
		.amdhsa_float_denorm_mode_32 3
		.amdhsa_float_denorm_mode_16_64 3
		.amdhsa_dx10_clamp 1
		.amdhsa_ieee_mode 1
		.amdhsa_fp16_overflow 0
		.amdhsa_tg_split 0
		.amdhsa_exception_fp_ieee_invalid_op 0
		.amdhsa_exception_fp_denorm_src 0
		.amdhsa_exception_fp_ieee_div_zero 0
		.amdhsa_exception_fp_ieee_overflow 0
		.amdhsa_exception_fp_ieee_underflow 0
		.amdhsa_exception_fp_ieee_inexact 0
		.amdhsa_exception_int_div_zero 0
	.end_amdhsa_kernel
	.section	.text._ZN7rocprim17ROCPRIM_400000_NS6detail17trampoline_kernelINS0_14default_configENS1_22reduce_config_selectorIlEEZNS1_11reduce_implILb1ES3_PlS7_lN6hipcub16HIPCUB_304000_NS6detail34convert_binary_result_type_wrapperINS9_3SumENS9_22TransformInputIteratorIb7NonZeroIfEPflEElEEEE10hipError_tPvRmT1_T2_T3_mT4_P12ihipStream_tbEUlT_E0_NS1_11comp_targetILNS1_3genE3ELNS1_11target_archE908ELNS1_3gpuE7ELNS1_3repE0EEENS1_30default_config_static_selectorELNS0_4arch9wavefront6targetE1EEEvSM_,"axG",@progbits,_ZN7rocprim17ROCPRIM_400000_NS6detail17trampoline_kernelINS0_14default_configENS1_22reduce_config_selectorIlEEZNS1_11reduce_implILb1ES3_PlS7_lN6hipcub16HIPCUB_304000_NS6detail34convert_binary_result_type_wrapperINS9_3SumENS9_22TransformInputIteratorIb7NonZeroIfEPflEElEEEE10hipError_tPvRmT1_T2_T3_mT4_P12ihipStream_tbEUlT_E0_NS1_11comp_targetILNS1_3genE3ELNS1_11target_archE908ELNS1_3gpuE7ELNS1_3repE0EEENS1_30default_config_static_selectorELNS0_4arch9wavefront6targetE1EEEvSM_,comdat
.Lfunc_end220:
	.size	_ZN7rocprim17ROCPRIM_400000_NS6detail17trampoline_kernelINS0_14default_configENS1_22reduce_config_selectorIlEEZNS1_11reduce_implILb1ES3_PlS7_lN6hipcub16HIPCUB_304000_NS6detail34convert_binary_result_type_wrapperINS9_3SumENS9_22TransformInputIteratorIb7NonZeroIfEPflEElEEEE10hipError_tPvRmT1_T2_T3_mT4_P12ihipStream_tbEUlT_E0_NS1_11comp_targetILNS1_3genE3ELNS1_11target_archE908ELNS1_3gpuE7ELNS1_3repE0EEENS1_30default_config_static_selectorELNS0_4arch9wavefront6targetE1EEEvSM_, .Lfunc_end220-_ZN7rocprim17ROCPRIM_400000_NS6detail17trampoline_kernelINS0_14default_configENS1_22reduce_config_selectorIlEEZNS1_11reduce_implILb1ES3_PlS7_lN6hipcub16HIPCUB_304000_NS6detail34convert_binary_result_type_wrapperINS9_3SumENS9_22TransformInputIteratorIb7NonZeroIfEPflEElEEEE10hipError_tPvRmT1_T2_T3_mT4_P12ihipStream_tbEUlT_E0_NS1_11comp_targetILNS1_3genE3ELNS1_11target_archE908ELNS1_3gpuE7ELNS1_3repE0EEENS1_30default_config_static_selectorELNS0_4arch9wavefront6targetE1EEEvSM_
                                        ; -- End function
	.set _ZN7rocprim17ROCPRIM_400000_NS6detail17trampoline_kernelINS0_14default_configENS1_22reduce_config_selectorIlEEZNS1_11reduce_implILb1ES3_PlS7_lN6hipcub16HIPCUB_304000_NS6detail34convert_binary_result_type_wrapperINS9_3SumENS9_22TransformInputIteratorIb7NonZeroIfEPflEElEEEE10hipError_tPvRmT1_T2_T3_mT4_P12ihipStream_tbEUlT_E0_NS1_11comp_targetILNS1_3genE3ELNS1_11target_archE908ELNS1_3gpuE7ELNS1_3repE0EEENS1_30default_config_static_selectorELNS0_4arch9wavefront6targetE1EEEvSM_.num_vgpr, 0
	.set _ZN7rocprim17ROCPRIM_400000_NS6detail17trampoline_kernelINS0_14default_configENS1_22reduce_config_selectorIlEEZNS1_11reduce_implILb1ES3_PlS7_lN6hipcub16HIPCUB_304000_NS6detail34convert_binary_result_type_wrapperINS9_3SumENS9_22TransformInputIteratorIb7NonZeroIfEPflEElEEEE10hipError_tPvRmT1_T2_T3_mT4_P12ihipStream_tbEUlT_E0_NS1_11comp_targetILNS1_3genE3ELNS1_11target_archE908ELNS1_3gpuE7ELNS1_3repE0EEENS1_30default_config_static_selectorELNS0_4arch9wavefront6targetE1EEEvSM_.num_agpr, 0
	.set _ZN7rocprim17ROCPRIM_400000_NS6detail17trampoline_kernelINS0_14default_configENS1_22reduce_config_selectorIlEEZNS1_11reduce_implILb1ES3_PlS7_lN6hipcub16HIPCUB_304000_NS6detail34convert_binary_result_type_wrapperINS9_3SumENS9_22TransformInputIteratorIb7NonZeroIfEPflEElEEEE10hipError_tPvRmT1_T2_T3_mT4_P12ihipStream_tbEUlT_E0_NS1_11comp_targetILNS1_3genE3ELNS1_11target_archE908ELNS1_3gpuE7ELNS1_3repE0EEENS1_30default_config_static_selectorELNS0_4arch9wavefront6targetE1EEEvSM_.numbered_sgpr, 0
	.set _ZN7rocprim17ROCPRIM_400000_NS6detail17trampoline_kernelINS0_14default_configENS1_22reduce_config_selectorIlEEZNS1_11reduce_implILb1ES3_PlS7_lN6hipcub16HIPCUB_304000_NS6detail34convert_binary_result_type_wrapperINS9_3SumENS9_22TransformInputIteratorIb7NonZeroIfEPflEElEEEE10hipError_tPvRmT1_T2_T3_mT4_P12ihipStream_tbEUlT_E0_NS1_11comp_targetILNS1_3genE3ELNS1_11target_archE908ELNS1_3gpuE7ELNS1_3repE0EEENS1_30default_config_static_selectorELNS0_4arch9wavefront6targetE1EEEvSM_.num_named_barrier, 0
	.set _ZN7rocprim17ROCPRIM_400000_NS6detail17trampoline_kernelINS0_14default_configENS1_22reduce_config_selectorIlEEZNS1_11reduce_implILb1ES3_PlS7_lN6hipcub16HIPCUB_304000_NS6detail34convert_binary_result_type_wrapperINS9_3SumENS9_22TransformInputIteratorIb7NonZeroIfEPflEElEEEE10hipError_tPvRmT1_T2_T3_mT4_P12ihipStream_tbEUlT_E0_NS1_11comp_targetILNS1_3genE3ELNS1_11target_archE908ELNS1_3gpuE7ELNS1_3repE0EEENS1_30default_config_static_selectorELNS0_4arch9wavefront6targetE1EEEvSM_.private_seg_size, 0
	.set _ZN7rocprim17ROCPRIM_400000_NS6detail17trampoline_kernelINS0_14default_configENS1_22reduce_config_selectorIlEEZNS1_11reduce_implILb1ES3_PlS7_lN6hipcub16HIPCUB_304000_NS6detail34convert_binary_result_type_wrapperINS9_3SumENS9_22TransformInputIteratorIb7NonZeroIfEPflEElEEEE10hipError_tPvRmT1_T2_T3_mT4_P12ihipStream_tbEUlT_E0_NS1_11comp_targetILNS1_3genE3ELNS1_11target_archE908ELNS1_3gpuE7ELNS1_3repE0EEENS1_30default_config_static_selectorELNS0_4arch9wavefront6targetE1EEEvSM_.uses_vcc, 0
	.set _ZN7rocprim17ROCPRIM_400000_NS6detail17trampoline_kernelINS0_14default_configENS1_22reduce_config_selectorIlEEZNS1_11reduce_implILb1ES3_PlS7_lN6hipcub16HIPCUB_304000_NS6detail34convert_binary_result_type_wrapperINS9_3SumENS9_22TransformInputIteratorIb7NonZeroIfEPflEElEEEE10hipError_tPvRmT1_T2_T3_mT4_P12ihipStream_tbEUlT_E0_NS1_11comp_targetILNS1_3genE3ELNS1_11target_archE908ELNS1_3gpuE7ELNS1_3repE0EEENS1_30default_config_static_selectorELNS0_4arch9wavefront6targetE1EEEvSM_.uses_flat_scratch, 0
	.set _ZN7rocprim17ROCPRIM_400000_NS6detail17trampoline_kernelINS0_14default_configENS1_22reduce_config_selectorIlEEZNS1_11reduce_implILb1ES3_PlS7_lN6hipcub16HIPCUB_304000_NS6detail34convert_binary_result_type_wrapperINS9_3SumENS9_22TransformInputIteratorIb7NonZeroIfEPflEElEEEE10hipError_tPvRmT1_T2_T3_mT4_P12ihipStream_tbEUlT_E0_NS1_11comp_targetILNS1_3genE3ELNS1_11target_archE908ELNS1_3gpuE7ELNS1_3repE0EEENS1_30default_config_static_selectorELNS0_4arch9wavefront6targetE1EEEvSM_.has_dyn_sized_stack, 0
	.set _ZN7rocprim17ROCPRIM_400000_NS6detail17trampoline_kernelINS0_14default_configENS1_22reduce_config_selectorIlEEZNS1_11reduce_implILb1ES3_PlS7_lN6hipcub16HIPCUB_304000_NS6detail34convert_binary_result_type_wrapperINS9_3SumENS9_22TransformInputIteratorIb7NonZeroIfEPflEElEEEE10hipError_tPvRmT1_T2_T3_mT4_P12ihipStream_tbEUlT_E0_NS1_11comp_targetILNS1_3genE3ELNS1_11target_archE908ELNS1_3gpuE7ELNS1_3repE0EEENS1_30default_config_static_selectorELNS0_4arch9wavefront6targetE1EEEvSM_.has_recursion, 0
	.set _ZN7rocprim17ROCPRIM_400000_NS6detail17trampoline_kernelINS0_14default_configENS1_22reduce_config_selectorIlEEZNS1_11reduce_implILb1ES3_PlS7_lN6hipcub16HIPCUB_304000_NS6detail34convert_binary_result_type_wrapperINS9_3SumENS9_22TransformInputIteratorIb7NonZeroIfEPflEElEEEE10hipError_tPvRmT1_T2_T3_mT4_P12ihipStream_tbEUlT_E0_NS1_11comp_targetILNS1_3genE3ELNS1_11target_archE908ELNS1_3gpuE7ELNS1_3repE0EEENS1_30default_config_static_selectorELNS0_4arch9wavefront6targetE1EEEvSM_.has_indirect_call, 0
	.section	.AMDGPU.csdata,"",@progbits
; Kernel info:
; codeLenInByte = 0
; TotalNumSgprs: 6
; NumVgprs: 0
; NumAgprs: 0
; TotalNumVgprs: 0
; ScratchSize: 0
; MemoryBound: 0
; FloatMode: 240
; IeeeMode: 1
; LDSByteSize: 0 bytes/workgroup (compile time only)
; SGPRBlocks: 0
; VGPRBlocks: 0
; NumSGPRsForWavesPerEU: 6
; NumVGPRsForWavesPerEU: 1
; AccumOffset: 4
; Occupancy: 8
; WaveLimiterHint : 0
; COMPUTE_PGM_RSRC2:SCRATCH_EN: 0
; COMPUTE_PGM_RSRC2:USER_SGPR: 2
; COMPUTE_PGM_RSRC2:TRAP_HANDLER: 0
; COMPUTE_PGM_RSRC2:TGID_X_EN: 1
; COMPUTE_PGM_RSRC2:TGID_Y_EN: 0
; COMPUTE_PGM_RSRC2:TGID_Z_EN: 0
; COMPUTE_PGM_RSRC2:TIDIG_COMP_CNT: 0
; COMPUTE_PGM_RSRC3_GFX90A:ACCUM_OFFSET: 0
; COMPUTE_PGM_RSRC3_GFX90A:TG_SPLIT: 0
	.section	.text._ZN7rocprim17ROCPRIM_400000_NS6detail17trampoline_kernelINS0_14default_configENS1_22reduce_config_selectorIlEEZNS1_11reduce_implILb1ES3_PlS7_lN6hipcub16HIPCUB_304000_NS6detail34convert_binary_result_type_wrapperINS9_3SumENS9_22TransformInputIteratorIb7NonZeroIfEPflEElEEEE10hipError_tPvRmT1_T2_T3_mT4_P12ihipStream_tbEUlT_E0_NS1_11comp_targetILNS1_3genE2ELNS1_11target_archE906ELNS1_3gpuE6ELNS1_3repE0EEENS1_30default_config_static_selectorELNS0_4arch9wavefront6targetE1EEEvSM_,"axG",@progbits,_ZN7rocprim17ROCPRIM_400000_NS6detail17trampoline_kernelINS0_14default_configENS1_22reduce_config_selectorIlEEZNS1_11reduce_implILb1ES3_PlS7_lN6hipcub16HIPCUB_304000_NS6detail34convert_binary_result_type_wrapperINS9_3SumENS9_22TransformInputIteratorIb7NonZeroIfEPflEElEEEE10hipError_tPvRmT1_T2_T3_mT4_P12ihipStream_tbEUlT_E0_NS1_11comp_targetILNS1_3genE2ELNS1_11target_archE906ELNS1_3gpuE6ELNS1_3repE0EEENS1_30default_config_static_selectorELNS0_4arch9wavefront6targetE1EEEvSM_,comdat
	.protected	_ZN7rocprim17ROCPRIM_400000_NS6detail17trampoline_kernelINS0_14default_configENS1_22reduce_config_selectorIlEEZNS1_11reduce_implILb1ES3_PlS7_lN6hipcub16HIPCUB_304000_NS6detail34convert_binary_result_type_wrapperINS9_3SumENS9_22TransformInputIteratorIb7NonZeroIfEPflEElEEEE10hipError_tPvRmT1_T2_T3_mT4_P12ihipStream_tbEUlT_E0_NS1_11comp_targetILNS1_3genE2ELNS1_11target_archE906ELNS1_3gpuE6ELNS1_3repE0EEENS1_30default_config_static_selectorELNS0_4arch9wavefront6targetE1EEEvSM_ ; -- Begin function _ZN7rocprim17ROCPRIM_400000_NS6detail17trampoline_kernelINS0_14default_configENS1_22reduce_config_selectorIlEEZNS1_11reduce_implILb1ES3_PlS7_lN6hipcub16HIPCUB_304000_NS6detail34convert_binary_result_type_wrapperINS9_3SumENS9_22TransformInputIteratorIb7NonZeroIfEPflEElEEEE10hipError_tPvRmT1_T2_T3_mT4_P12ihipStream_tbEUlT_E0_NS1_11comp_targetILNS1_3genE2ELNS1_11target_archE906ELNS1_3gpuE6ELNS1_3repE0EEENS1_30default_config_static_selectorELNS0_4arch9wavefront6targetE1EEEvSM_
	.globl	_ZN7rocprim17ROCPRIM_400000_NS6detail17trampoline_kernelINS0_14default_configENS1_22reduce_config_selectorIlEEZNS1_11reduce_implILb1ES3_PlS7_lN6hipcub16HIPCUB_304000_NS6detail34convert_binary_result_type_wrapperINS9_3SumENS9_22TransformInputIteratorIb7NonZeroIfEPflEElEEEE10hipError_tPvRmT1_T2_T3_mT4_P12ihipStream_tbEUlT_E0_NS1_11comp_targetILNS1_3genE2ELNS1_11target_archE906ELNS1_3gpuE6ELNS1_3repE0EEENS1_30default_config_static_selectorELNS0_4arch9wavefront6targetE1EEEvSM_
	.p2align	8
	.type	_ZN7rocprim17ROCPRIM_400000_NS6detail17trampoline_kernelINS0_14default_configENS1_22reduce_config_selectorIlEEZNS1_11reduce_implILb1ES3_PlS7_lN6hipcub16HIPCUB_304000_NS6detail34convert_binary_result_type_wrapperINS9_3SumENS9_22TransformInputIteratorIb7NonZeroIfEPflEElEEEE10hipError_tPvRmT1_T2_T3_mT4_P12ihipStream_tbEUlT_E0_NS1_11comp_targetILNS1_3genE2ELNS1_11target_archE906ELNS1_3gpuE6ELNS1_3repE0EEENS1_30default_config_static_selectorELNS0_4arch9wavefront6targetE1EEEvSM_,@function
_ZN7rocprim17ROCPRIM_400000_NS6detail17trampoline_kernelINS0_14default_configENS1_22reduce_config_selectorIlEEZNS1_11reduce_implILb1ES3_PlS7_lN6hipcub16HIPCUB_304000_NS6detail34convert_binary_result_type_wrapperINS9_3SumENS9_22TransformInputIteratorIb7NonZeroIfEPflEElEEEE10hipError_tPvRmT1_T2_T3_mT4_P12ihipStream_tbEUlT_E0_NS1_11comp_targetILNS1_3genE2ELNS1_11target_archE906ELNS1_3gpuE6ELNS1_3repE0EEENS1_30default_config_static_selectorELNS0_4arch9wavefront6targetE1EEEvSM_: ; @_ZN7rocprim17ROCPRIM_400000_NS6detail17trampoline_kernelINS0_14default_configENS1_22reduce_config_selectorIlEEZNS1_11reduce_implILb1ES3_PlS7_lN6hipcub16HIPCUB_304000_NS6detail34convert_binary_result_type_wrapperINS9_3SumENS9_22TransformInputIteratorIb7NonZeroIfEPflEElEEEE10hipError_tPvRmT1_T2_T3_mT4_P12ihipStream_tbEUlT_E0_NS1_11comp_targetILNS1_3genE2ELNS1_11target_archE906ELNS1_3gpuE6ELNS1_3repE0EEENS1_30default_config_static_selectorELNS0_4arch9wavefront6targetE1EEEvSM_
; %bb.0:
	.section	.rodata,"a",@progbits
	.p2align	6, 0x0
	.amdhsa_kernel _ZN7rocprim17ROCPRIM_400000_NS6detail17trampoline_kernelINS0_14default_configENS1_22reduce_config_selectorIlEEZNS1_11reduce_implILb1ES3_PlS7_lN6hipcub16HIPCUB_304000_NS6detail34convert_binary_result_type_wrapperINS9_3SumENS9_22TransformInputIteratorIb7NonZeroIfEPflEElEEEE10hipError_tPvRmT1_T2_T3_mT4_P12ihipStream_tbEUlT_E0_NS1_11comp_targetILNS1_3genE2ELNS1_11target_archE906ELNS1_3gpuE6ELNS1_3repE0EEENS1_30default_config_static_selectorELNS0_4arch9wavefront6targetE1EEEvSM_
		.amdhsa_group_segment_fixed_size 0
		.amdhsa_private_segment_fixed_size 0
		.amdhsa_kernarg_size 64
		.amdhsa_user_sgpr_count 2
		.amdhsa_user_sgpr_dispatch_ptr 0
		.amdhsa_user_sgpr_queue_ptr 0
		.amdhsa_user_sgpr_kernarg_segment_ptr 1
		.amdhsa_user_sgpr_dispatch_id 0
		.amdhsa_user_sgpr_kernarg_preload_length 0
		.amdhsa_user_sgpr_kernarg_preload_offset 0
		.amdhsa_user_sgpr_private_segment_size 0
		.amdhsa_uses_dynamic_stack 0
		.amdhsa_enable_private_segment 0
		.amdhsa_system_sgpr_workgroup_id_x 1
		.amdhsa_system_sgpr_workgroup_id_y 0
		.amdhsa_system_sgpr_workgroup_id_z 0
		.amdhsa_system_sgpr_workgroup_info 0
		.amdhsa_system_vgpr_workitem_id 0
		.amdhsa_next_free_vgpr 1
		.amdhsa_next_free_sgpr 0
		.amdhsa_accum_offset 4
		.amdhsa_reserve_vcc 0
		.amdhsa_float_round_mode_32 0
		.amdhsa_float_round_mode_16_64 0
		.amdhsa_float_denorm_mode_32 3
		.amdhsa_float_denorm_mode_16_64 3
		.amdhsa_dx10_clamp 1
		.amdhsa_ieee_mode 1
		.amdhsa_fp16_overflow 0
		.amdhsa_tg_split 0
		.amdhsa_exception_fp_ieee_invalid_op 0
		.amdhsa_exception_fp_denorm_src 0
		.amdhsa_exception_fp_ieee_div_zero 0
		.amdhsa_exception_fp_ieee_overflow 0
		.amdhsa_exception_fp_ieee_underflow 0
		.amdhsa_exception_fp_ieee_inexact 0
		.amdhsa_exception_int_div_zero 0
	.end_amdhsa_kernel
	.section	.text._ZN7rocprim17ROCPRIM_400000_NS6detail17trampoline_kernelINS0_14default_configENS1_22reduce_config_selectorIlEEZNS1_11reduce_implILb1ES3_PlS7_lN6hipcub16HIPCUB_304000_NS6detail34convert_binary_result_type_wrapperINS9_3SumENS9_22TransformInputIteratorIb7NonZeroIfEPflEElEEEE10hipError_tPvRmT1_T2_T3_mT4_P12ihipStream_tbEUlT_E0_NS1_11comp_targetILNS1_3genE2ELNS1_11target_archE906ELNS1_3gpuE6ELNS1_3repE0EEENS1_30default_config_static_selectorELNS0_4arch9wavefront6targetE1EEEvSM_,"axG",@progbits,_ZN7rocprim17ROCPRIM_400000_NS6detail17trampoline_kernelINS0_14default_configENS1_22reduce_config_selectorIlEEZNS1_11reduce_implILb1ES3_PlS7_lN6hipcub16HIPCUB_304000_NS6detail34convert_binary_result_type_wrapperINS9_3SumENS9_22TransformInputIteratorIb7NonZeroIfEPflEElEEEE10hipError_tPvRmT1_T2_T3_mT4_P12ihipStream_tbEUlT_E0_NS1_11comp_targetILNS1_3genE2ELNS1_11target_archE906ELNS1_3gpuE6ELNS1_3repE0EEENS1_30default_config_static_selectorELNS0_4arch9wavefront6targetE1EEEvSM_,comdat
.Lfunc_end221:
	.size	_ZN7rocprim17ROCPRIM_400000_NS6detail17trampoline_kernelINS0_14default_configENS1_22reduce_config_selectorIlEEZNS1_11reduce_implILb1ES3_PlS7_lN6hipcub16HIPCUB_304000_NS6detail34convert_binary_result_type_wrapperINS9_3SumENS9_22TransformInputIteratorIb7NonZeroIfEPflEElEEEE10hipError_tPvRmT1_T2_T3_mT4_P12ihipStream_tbEUlT_E0_NS1_11comp_targetILNS1_3genE2ELNS1_11target_archE906ELNS1_3gpuE6ELNS1_3repE0EEENS1_30default_config_static_selectorELNS0_4arch9wavefront6targetE1EEEvSM_, .Lfunc_end221-_ZN7rocprim17ROCPRIM_400000_NS6detail17trampoline_kernelINS0_14default_configENS1_22reduce_config_selectorIlEEZNS1_11reduce_implILb1ES3_PlS7_lN6hipcub16HIPCUB_304000_NS6detail34convert_binary_result_type_wrapperINS9_3SumENS9_22TransformInputIteratorIb7NonZeroIfEPflEElEEEE10hipError_tPvRmT1_T2_T3_mT4_P12ihipStream_tbEUlT_E0_NS1_11comp_targetILNS1_3genE2ELNS1_11target_archE906ELNS1_3gpuE6ELNS1_3repE0EEENS1_30default_config_static_selectorELNS0_4arch9wavefront6targetE1EEEvSM_
                                        ; -- End function
	.set _ZN7rocprim17ROCPRIM_400000_NS6detail17trampoline_kernelINS0_14default_configENS1_22reduce_config_selectorIlEEZNS1_11reduce_implILb1ES3_PlS7_lN6hipcub16HIPCUB_304000_NS6detail34convert_binary_result_type_wrapperINS9_3SumENS9_22TransformInputIteratorIb7NonZeroIfEPflEElEEEE10hipError_tPvRmT1_T2_T3_mT4_P12ihipStream_tbEUlT_E0_NS1_11comp_targetILNS1_3genE2ELNS1_11target_archE906ELNS1_3gpuE6ELNS1_3repE0EEENS1_30default_config_static_selectorELNS0_4arch9wavefront6targetE1EEEvSM_.num_vgpr, 0
	.set _ZN7rocprim17ROCPRIM_400000_NS6detail17trampoline_kernelINS0_14default_configENS1_22reduce_config_selectorIlEEZNS1_11reduce_implILb1ES3_PlS7_lN6hipcub16HIPCUB_304000_NS6detail34convert_binary_result_type_wrapperINS9_3SumENS9_22TransformInputIteratorIb7NonZeroIfEPflEElEEEE10hipError_tPvRmT1_T2_T3_mT4_P12ihipStream_tbEUlT_E0_NS1_11comp_targetILNS1_3genE2ELNS1_11target_archE906ELNS1_3gpuE6ELNS1_3repE0EEENS1_30default_config_static_selectorELNS0_4arch9wavefront6targetE1EEEvSM_.num_agpr, 0
	.set _ZN7rocprim17ROCPRIM_400000_NS6detail17trampoline_kernelINS0_14default_configENS1_22reduce_config_selectorIlEEZNS1_11reduce_implILb1ES3_PlS7_lN6hipcub16HIPCUB_304000_NS6detail34convert_binary_result_type_wrapperINS9_3SumENS9_22TransformInputIteratorIb7NonZeroIfEPflEElEEEE10hipError_tPvRmT1_T2_T3_mT4_P12ihipStream_tbEUlT_E0_NS1_11comp_targetILNS1_3genE2ELNS1_11target_archE906ELNS1_3gpuE6ELNS1_3repE0EEENS1_30default_config_static_selectorELNS0_4arch9wavefront6targetE1EEEvSM_.numbered_sgpr, 0
	.set _ZN7rocprim17ROCPRIM_400000_NS6detail17trampoline_kernelINS0_14default_configENS1_22reduce_config_selectorIlEEZNS1_11reduce_implILb1ES3_PlS7_lN6hipcub16HIPCUB_304000_NS6detail34convert_binary_result_type_wrapperINS9_3SumENS9_22TransformInputIteratorIb7NonZeroIfEPflEElEEEE10hipError_tPvRmT1_T2_T3_mT4_P12ihipStream_tbEUlT_E0_NS1_11comp_targetILNS1_3genE2ELNS1_11target_archE906ELNS1_3gpuE6ELNS1_3repE0EEENS1_30default_config_static_selectorELNS0_4arch9wavefront6targetE1EEEvSM_.num_named_barrier, 0
	.set _ZN7rocprim17ROCPRIM_400000_NS6detail17trampoline_kernelINS0_14default_configENS1_22reduce_config_selectorIlEEZNS1_11reduce_implILb1ES3_PlS7_lN6hipcub16HIPCUB_304000_NS6detail34convert_binary_result_type_wrapperINS9_3SumENS9_22TransformInputIteratorIb7NonZeroIfEPflEElEEEE10hipError_tPvRmT1_T2_T3_mT4_P12ihipStream_tbEUlT_E0_NS1_11comp_targetILNS1_3genE2ELNS1_11target_archE906ELNS1_3gpuE6ELNS1_3repE0EEENS1_30default_config_static_selectorELNS0_4arch9wavefront6targetE1EEEvSM_.private_seg_size, 0
	.set _ZN7rocprim17ROCPRIM_400000_NS6detail17trampoline_kernelINS0_14default_configENS1_22reduce_config_selectorIlEEZNS1_11reduce_implILb1ES3_PlS7_lN6hipcub16HIPCUB_304000_NS6detail34convert_binary_result_type_wrapperINS9_3SumENS9_22TransformInputIteratorIb7NonZeroIfEPflEElEEEE10hipError_tPvRmT1_T2_T3_mT4_P12ihipStream_tbEUlT_E0_NS1_11comp_targetILNS1_3genE2ELNS1_11target_archE906ELNS1_3gpuE6ELNS1_3repE0EEENS1_30default_config_static_selectorELNS0_4arch9wavefront6targetE1EEEvSM_.uses_vcc, 0
	.set _ZN7rocprim17ROCPRIM_400000_NS6detail17trampoline_kernelINS0_14default_configENS1_22reduce_config_selectorIlEEZNS1_11reduce_implILb1ES3_PlS7_lN6hipcub16HIPCUB_304000_NS6detail34convert_binary_result_type_wrapperINS9_3SumENS9_22TransformInputIteratorIb7NonZeroIfEPflEElEEEE10hipError_tPvRmT1_T2_T3_mT4_P12ihipStream_tbEUlT_E0_NS1_11comp_targetILNS1_3genE2ELNS1_11target_archE906ELNS1_3gpuE6ELNS1_3repE0EEENS1_30default_config_static_selectorELNS0_4arch9wavefront6targetE1EEEvSM_.uses_flat_scratch, 0
	.set _ZN7rocprim17ROCPRIM_400000_NS6detail17trampoline_kernelINS0_14default_configENS1_22reduce_config_selectorIlEEZNS1_11reduce_implILb1ES3_PlS7_lN6hipcub16HIPCUB_304000_NS6detail34convert_binary_result_type_wrapperINS9_3SumENS9_22TransformInputIteratorIb7NonZeroIfEPflEElEEEE10hipError_tPvRmT1_T2_T3_mT4_P12ihipStream_tbEUlT_E0_NS1_11comp_targetILNS1_3genE2ELNS1_11target_archE906ELNS1_3gpuE6ELNS1_3repE0EEENS1_30default_config_static_selectorELNS0_4arch9wavefront6targetE1EEEvSM_.has_dyn_sized_stack, 0
	.set _ZN7rocprim17ROCPRIM_400000_NS6detail17trampoline_kernelINS0_14default_configENS1_22reduce_config_selectorIlEEZNS1_11reduce_implILb1ES3_PlS7_lN6hipcub16HIPCUB_304000_NS6detail34convert_binary_result_type_wrapperINS9_3SumENS9_22TransformInputIteratorIb7NonZeroIfEPflEElEEEE10hipError_tPvRmT1_T2_T3_mT4_P12ihipStream_tbEUlT_E0_NS1_11comp_targetILNS1_3genE2ELNS1_11target_archE906ELNS1_3gpuE6ELNS1_3repE0EEENS1_30default_config_static_selectorELNS0_4arch9wavefront6targetE1EEEvSM_.has_recursion, 0
	.set _ZN7rocprim17ROCPRIM_400000_NS6detail17trampoline_kernelINS0_14default_configENS1_22reduce_config_selectorIlEEZNS1_11reduce_implILb1ES3_PlS7_lN6hipcub16HIPCUB_304000_NS6detail34convert_binary_result_type_wrapperINS9_3SumENS9_22TransformInputIteratorIb7NonZeroIfEPflEElEEEE10hipError_tPvRmT1_T2_T3_mT4_P12ihipStream_tbEUlT_E0_NS1_11comp_targetILNS1_3genE2ELNS1_11target_archE906ELNS1_3gpuE6ELNS1_3repE0EEENS1_30default_config_static_selectorELNS0_4arch9wavefront6targetE1EEEvSM_.has_indirect_call, 0
	.section	.AMDGPU.csdata,"",@progbits
; Kernel info:
; codeLenInByte = 0
; TotalNumSgprs: 6
; NumVgprs: 0
; NumAgprs: 0
; TotalNumVgprs: 0
; ScratchSize: 0
; MemoryBound: 0
; FloatMode: 240
; IeeeMode: 1
; LDSByteSize: 0 bytes/workgroup (compile time only)
; SGPRBlocks: 0
; VGPRBlocks: 0
; NumSGPRsForWavesPerEU: 6
; NumVGPRsForWavesPerEU: 1
; AccumOffset: 4
; Occupancy: 8
; WaveLimiterHint : 0
; COMPUTE_PGM_RSRC2:SCRATCH_EN: 0
; COMPUTE_PGM_RSRC2:USER_SGPR: 2
; COMPUTE_PGM_RSRC2:TRAP_HANDLER: 0
; COMPUTE_PGM_RSRC2:TGID_X_EN: 1
; COMPUTE_PGM_RSRC2:TGID_Y_EN: 0
; COMPUTE_PGM_RSRC2:TGID_Z_EN: 0
; COMPUTE_PGM_RSRC2:TIDIG_COMP_CNT: 0
; COMPUTE_PGM_RSRC3_GFX90A:ACCUM_OFFSET: 0
; COMPUTE_PGM_RSRC3_GFX90A:TG_SPLIT: 0
	.section	.text._ZN7rocprim17ROCPRIM_400000_NS6detail17trampoline_kernelINS0_14default_configENS1_22reduce_config_selectorIlEEZNS1_11reduce_implILb1ES3_PlS7_lN6hipcub16HIPCUB_304000_NS6detail34convert_binary_result_type_wrapperINS9_3SumENS9_22TransformInputIteratorIb7NonZeroIfEPflEElEEEE10hipError_tPvRmT1_T2_T3_mT4_P12ihipStream_tbEUlT_E0_NS1_11comp_targetILNS1_3genE10ELNS1_11target_archE1201ELNS1_3gpuE5ELNS1_3repE0EEENS1_30default_config_static_selectorELNS0_4arch9wavefront6targetE1EEEvSM_,"axG",@progbits,_ZN7rocprim17ROCPRIM_400000_NS6detail17trampoline_kernelINS0_14default_configENS1_22reduce_config_selectorIlEEZNS1_11reduce_implILb1ES3_PlS7_lN6hipcub16HIPCUB_304000_NS6detail34convert_binary_result_type_wrapperINS9_3SumENS9_22TransformInputIteratorIb7NonZeroIfEPflEElEEEE10hipError_tPvRmT1_T2_T3_mT4_P12ihipStream_tbEUlT_E0_NS1_11comp_targetILNS1_3genE10ELNS1_11target_archE1201ELNS1_3gpuE5ELNS1_3repE0EEENS1_30default_config_static_selectorELNS0_4arch9wavefront6targetE1EEEvSM_,comdat
	.protected	_ZN7rocprim17ROCPRIM_400000_NS6detail17trampoline_kernelINS0_14default_configENS1_22reduce_config_selectorIlEEZNS1_11reduce_implILb1ES3_PlS7_lN6hipcub16HIPCUB_304000_NS6detail34convert_binary_result_type_wrapperINS9_3SumENS9_22TransformInputIteratorIb7NonZeroIfEPflEElEEEE10hipError_tPvRmT1_T2_T3_mT4_P12ihipStream_tbEUlT_E0_NS1_11comp_targetILNS1_3genE10ELNS1_11target_archE1201ELNS1_3gpuE5ELNS1_3repE0EEENS1_30default_config_static_selectorELNS0_4arch9wavefront6targetE1EEEvSM_ ; -- Begin function _ZN7rocprim17ROCPRIM_400000_NS6detail17trampoline_kernelINS0_14default_configENS1_22reduce_config_selectorIlEEZNS1_11reduce_implILb1ES3_PlS7_lN6hipcub16HIPCUB_304000_NS6detail34convert_binary_result_type_wrapperINS9_3SumENS9_22TransformInputIteratorIb7NonZeroIfEPflEElEEEE10hipError_tPvRmT1_T2_T3_mT4_P12ihipStream_tbEUlT_E0_NS1_11comp_targetILNS1_3genE10ELNS1_11target_archE1201ELNS1_3gpuE5ELNS1_3repE0EEENS1_30default_config_static_selectorELNS0_4arch9wavefront6targetE1EEEvSM_
	.globl	_ZN7rocprim17ROCPRIM_400000_NS6detail17trampoline_kernelINS0_14default_configENS1_22reduce_config_selectorIlEEZNS1_11reduce_implILb1ES3_PlS7_lN6hipcub16HIPCUB_304000_NS6detail34convert_binary_result_type_wrapperINS9_3SumENS9_22TransformInputIteratorIb7NonZeroIfEPflEElEEEE10hipError_tPvRmT1_T2_T3_mT4_P12ihipStream_tbEUlT_E0_NS1_11comp_targetILNS1_3genE10ELNS1_11target_archE1201ELNS1_3gpuE5ELNS1_3repE0EEENS1_30default_config_static_selectorELNS0_4arch9wavefront6targetE1EEEvSM_
	.p2align	8
	.type	_ZN7rocprim17ROCPRIM_400000_NS6detail17trampoline_kernelINS0_14default_configENS1_22reduce_config_selectorIlEEZNS1_11reduce_implILb1ES3_PlS7_lN6hipcub16HIPCUB_304000_NS6detail34convert_binary_result_type_wrapperINS9_3SumENS9_22TransformInputIteratorIb7NonZeroIfEPflEElEEEE10hipError_tPvRmT1_T2_T3_mT4_P12ihipStream_tbEUlT_E0_NS1_11comp_targetILNS1_3genE10ELNS1_11target_archE1201ELNS1_3gpuE5ELNS1_3repE0EEENS1_30default_config_static_selectorELNS0_4arch9wavefront6targetE1EEEvSM_,@function
_ZN7rocprim17ROCPRIM_400000_NS6detail17trampoline_kernelINS0_14default_configENS1_22reduce_config_selectorIlEEZNS1_11reduce_implILb1ES3_PlS7_lN6hipcub16HIPCUB_304000_NS6detail34convert_binary_result_type_wrapperINS9_3SumENS9_22TransformInputIteratorIb7NonZeroIfEPflEElEEEE10hipError_tPvRmT1_T2_T3_mT4_P12ihipStream_tbEUlT_E0_NS1_11comp_targetILNS1_3genE10ELNS1_11target_archE1201ELNS1_3gpuE5ELNS1_3repE0EEENS1_30default_config_static_selectorELNS0_4arch9wavefront6targetE1EEEvSM_: ; @_ZN7rocprim17ROCPRIM_400000_NS6detail17trampoline_kernelINS0_14default_configENS1_22reduce_config_selectorIlEEZNS1_11reduce_implILb1ES3_PlS7_lN6hipcub16HIPCUB_304000_NS6detail34convert_binary_result_type_wrapperINS9_3SumENS9_22TransformInputIteratorIb7NonZeroIfEPflEElEEEE10hipError_tPvRmT1_T2_T3_mT4_P12ihipStream_tbEUlT_E0_NS1_11comp_targetILNS1_3genE10ELNS1_11target_archE1201ELNS1_3gpuE5ELNS1_3repE0EEENS1_30default_config_static_selectorELNS0_4arch9wavefront6targetE1EEEvSM_
; %bb.0:
	.section	.rodata,"a",@progbits
	.p2align	6, 0x0
	.amdhsa_kernel _ZN7rocprim17ROCPRIM_400000_NS6detail17trampoline_kernelINS0_14default_configENS1_22reduce_config_selectorIlEEZNS1_11reduce_implILb1ES3_PlS7_lN6hipcub16HIPCUB_304000_NS6detail34convert_binary_result_type_wrapperINS9_3SumENS9_22TransformInputIteratorIb7NonZeroIfEPflEElEEEE10hipError_tPvRmT1_T2_T3_mT4_P12ihipStream_tbEUlT_E0_NS1_11comp_targetILNS1_3genE10ELNS1_11target_archE1201ELNS1_3gpuE5ELNS1_3repE0EEENS1_30default_config_static_selectorELNS0_4arch9wavefront6targetE1EEEvSM_
		.amdhsa_group_segment_fixed_size 0
		.amdhsa_private_segment_fixed_size 0
		.amdhsa_kernarg_size 64
		.amdhsa_user_sgpr_count 2
		.amdhsa_user_sgpr_dispatch_ptr 0
		.amdhsa_user_sgpr_queue_ptr 0
		.amdhsa_user_sgpr_kernarg_segment_ptr 1
		.amdhsa_user_sgpr_dispatch_id 0
		.amdhsa_user_sgpr_kernarg_preload_length 0
		.amdhsa_user_sgpr_kernarg_preload_offset 0
		.amdhsa_user_sgpr_private_segment_size 0
		.amdhsa_uses_dynamic_stack 0
		.amdhsa_enable_private_segment 0
		.amdhsa_system_sgpr_workgroup_id_x 1
		.amdhsa_system_sgpr_workgroup_id_y 0
		.amdhsa_system_sgpr_workgroup_id_z 0
		.amdhsa_system_sgpr_workgroup_info 0
		.amdhsa_system_vgpr_workitem_id 0
		.amdhsa_next_free_vgpr 1
		.amdhsa_next_free_sgpr 0
		.amdhsa_accum_offset 4
		.amdhsa_reserve_vcc 0
		.amdhsa_float_round_mode_32 0
		.amdhsa_float_round_mode_16_64 0
		.amdhsa_float_denorm_mode_32 3
		.amdhsa_float_denorm_mode_16_64 3
		.amdhsa_dx10_clamp 1
		.amdhsa_ieee_mode 1
		.amdhsa_fp16_overflow 0
		.amdhsa_tg_split 0
		.amdhsa_exception_fp_ieee_invalid_op 0
		.amdhsa_exception_fp_denorm_src 0
		.amdhsa_exception_fp_ieee_div_zero 0
		.amdhsa_exception_fp_ieee_overflow 0
		.amdhsa_exception_fp_ieee_underflow 0
		.amdhsa_exception_fp_ieee_inexact 0
		.amdhsa_exception_int_div_zero 0
	.end_amdhsa_kernel
	.section	.text._ZN7rocprim17ROCPRIM_400000_NS6detail17trampoline_kernelINS0_14default_configENS1_22reduce_config_selectorIlEEZNS1_11reduce_implILb1ES3_PlS7_lN6hipcub16HIPCUB_304000_NS6detail34convert_binary_result_type_wrapperINS9_3SumENS9_22TransformInputIteratorIb7NonZeroIfEPflEElEEEE10hipError_tPvRmT1_T2_T3_mT4_P12ihipStream_tbEUlT_E0_NS1_11comp_targetILNS1_3genE10ELNS1_11target_archE1201ELNS1_3gpuE5ELNS1_3repE0EEENS1_30default_config_static_selectorELNS0_4arch9wavefront6targetE1EEEvSM_,"axG",@progbits,_ZN7rocprim17ROCPRIM_400000_NS6detail17trampoline_kernelINS0_14default_configENS1_22reduce_config_selectorIlEEZNS1_11reduce_implILb1ES3_PlS7_lN6hipcub16HIPCUB_304000_NS6detail34convert_binary_result_type_wrapperINS9_3SumENS9_22TransformInputIteratorIb7NonZeroIfEPflEElEEEE10hipError_tPvRmT1_T2_T3_mT4_P12ihipStream_tbEUlT_E0_NS1_11comp_targetILNS1_3genE10ELNS1_11target_archE1201ELNS1_3gpuE5ELNS1_3repE0EEENS1_30default_config_static_selectorELNS0_4arch9wavefront6targetE1EEEvSM_,comdat
.Lfunc_end222:
	.size	_ZN7rocprim17ROCPRIM_400000_NS6detail17trampoline_kernelINS0_14default_configENS1_22reduce_config_selectorIlEEZNS1_11reduce_implILb1ES3_PlS7_lN6hipcub16HIPCUB_304000_NS6detail34convert_binary_result_type_wrapperINS9_3SumENS9_22TransformInputIteratorIb7NonZeroIfEPflEElEEEE10hipError_tPvRmT1_T2_T3_mT4_P12ihipStream_tbEUlT_E0_NS1_11comp_targetILNS1_3genE10ELNS1_11target_archE1201ELNS1_3gpuE5ELNS1_3repE0EEENS1_30default_config_static_selectorELNS0_4arch9wavefront6targetE1EEEvSM_, .Lfunc_end222-_ZN7rocprim17ROCPRIM_400000_NS6detail17trampoline_kernelINS0_14default_configENS1_22reduce_config_selectorIlEEZNS1_11reduce_implILb1ES3_PlS7_lN6hipcub16HIPCUB_304000_NS6detail34convert_binary_result_type_wrapperINS9_3SumENS9_22TransformInputIteratorIb7NonZeroIfEPflEElEEEE10hipError_tPvRmT1_T2_T3_mT4_P12ihipStream_tbEUlT_E0_NS1_11comp_targetILNS1_3genE10ELNS1_11target_archE1201ELNS1_3gpuE5ELNS1_3repE0EEENS1_30default_config_static_selectorELNS0_4arch9wavefront6targetE1EEEvSM_
                                        ; -- End function
	.set _ZN7rocprim17ROCPRIM_400000_NS6detail17trampoline_kernelINS0_14default_configENS1_22reduce_config_selectorIlEEZNS1_11reduce_implILb1ES3_PlS7_lN6hipcub16HIPCUB_304000_NS6detail34convert_binary_result_type_wrapperINS9_3SumENS9_22TransformInputIteratorIb7NonZeroIfEPflEElEEEE10hipError_tPvRmT1_T2_T3_mT4_P12ihipStream_tbEUlT_E0_NS1_11comp_targetILNS1_3genE10ELNS1_11target_archE1201ELNS1_3gpuE5ELNS1_3repE0EEENS1_30default_config_static_selectorELNS0_4arch9wavefront6targetE1EEEvSM_.num_vgpr, 0
	.set _ZN7rocprim17ROCPRIM_400000_NS6detail17trampoline_kernelINS0_14default_configENS1_22reduce_config_selectorIlEEZNS1_11reduce_implILb1ES3_PlS7_lN6hipcub16HIPCUB_304000_NS6detail34convert_binary_result_type_wrapperINS9_3SumENS9_22TransformInputIteratorIb7NonZeroIfEPflEElEEEE10hipError_tPvRmT1_T2_T3_mT4_P12ihipStream_tbEUlT_E0_NS1_11comp_targetILNS1_3genE10ELNS1_11target_archE1201ELNS1_3gpuE5ELNS1_3repE0EEENS1_30default_config_static_selectorELNS0_4arch9wavefront6targetE1EEEvSM_.num_agpr, 0
	.set _ZN7rocprim17ROCPRIM_400000_NS6detail17trampoline_kernelINS0_14default_configENS1_22reduce_config_selectorIlEEZNS1_11reduce_implILb1ES3_PlS7_lN6hipcub16HIPCUB_304000_NS6detail34convert_binary_result_type_wrapperINS9_3SumENS9_22TransformInputIteratorIb7NonZeroIfEPflEElEEEE10hipError_tPvRmT1_T2_T3_mT4_P12ihipStream_tbEUlT_E0_NS1_11comp_targetILNS1_3genE10ELNS1_11target_archE1201ELNS1_3gpuE5ELNS1_3repE0EEENS1_30default_config_static_selectorELNS0_4arch9wavefront6targetE1EEEvSM_.numbered_sgpr, 0
	.set _ZN7rocprim17ROCPRIM_400000_NS6detail17trampoline_kernelINS0_14default_configENS1_22reduce_config_selectorIlEEZNS1_11reduce_implILb1ES3_PlS7_lN6hipcub16HIPCUB_304000_NS6detail34convert_binary_result_type_wrapperINS9_3SumENS9_22TransformInputIteratorIb7NonZeroIfEPflEElEEEE10hipError_tPvRmT1_T2_T3_mT4_P12ihipStream_tbEUlT_E0_NS1_11comp_targetILNS1_3genE10ELNS1_11target_archE1201ELNS1_3gpuE5ELNS1_3repE0EEENS1_30default_config_static_selectorELNS0_4arch9wavefront6targetE1EEEvSM_.num_named_barrier, 0
	.set _ZN7rocprim17ROCPRIM_400000_NS6detail17trampoline_kernelINS0_14default_configENS1_22reduce_config_selectorIlEEZNS1_11reduce_implILb1ES3_PlS7_lN6hipcub16HIPCUB_304000_NS6detail34convert_binary_result_type_wrapperINS9_3SumENS9_22TransformInputIteratorIb7NonZeroIfEPflEElEEEE10hipError_tPvRmT1_T2_T3_mT4_P12ihipStream_tbEUlT_E0_NS1_11comp_targetILNS1_3genE10ELNS1_11target_archE1201ELNS1_3gpuE5ELNS1_3repE0EEENS1_30default_config_static_selectorELNS0_4arch9wavefront6targetE1EEEvSM_.private_seg_size, 0
	.set _ZN7rocprim17ROCPRIM_400000_NS6detail17trampoline_kernelINS0_14default_configENS1_22reduce_config_selectorIlEEZNS1_11reduce_implILb1ES3_PlS7_lN6hipcub16HIPCUB_304000_NS6detail34convert_binary_result_type_wrapperINS9_3SumENS9_22TransformInputIteratorIb7NonZeroIfEPflEElEEEE10hipError_tPvRmT1_T2_T3_mT4_P12ihipStream_tbEUlT_E0_NS1_11comp_targetILNS1_3genE10ELNS1_11target_archE1201ELNS1_3gpuE5ELNS1_3repE0EEENS1_30default_config_static_selectorELNS0_4arch9wavefront6targetE1EEEvSM_.uses_vcc, 0
	.set _ZN7rocprim17ROCPRIM_400000_NS6detail17trampoline_kernelINS0_14default_configENS1_22reduce_config_selectorIlEEZNS1_11reduce_implILb1ES3_PlS7_lN6hipcub16HIPCUB_304000_NS6detail34convert_binary_result_type_wrapperINS9_3SumENS9_22TransformInputIteratorIb7NonZeroIfEPflEElEEEE10hipError_tPvRmT1_T2_T3_mT4_P12ihipStream_tbEUlT_E0_NS1_11comp_targetILNS1_3genE10ELNS1_11target_archE1201ELNS1_3gpuE5ELNS1_3repE0EEENS1_30default_config_static_selectorELNS0_4arch9wavefront6targetE1EEEvSM_.uses_flat_scratch, 0
	.set _ZN7rocprim17ROCPRIM_400000_NS6detail17trampoline_kernelINS0_14default_configENS1_22reduce_config_selectorIlEEZNS1_11reduce_implILb1ES3_PlS7_lN6hipcub16HIPCUB_304000_NS6detail34convert_binary_result_type_wrapperINS9_3SumENS9_22TransformInputIteratorIb7NonZeroIfEPflEElEEEE10hipError_tPvRmT1_T2_T3_mT4_P12ihipStream_tbEUlT_E0_NS1_11comp_targetILNS1_3genE10ELNS1_11target_archE1201ELNS1_3gpuE5ELNS1_3repE0EEENS1_30default_config_static_selectorELNS0_4arch9wavefront6targetE1EEEvSM_.has_dyn_sized_stack, 0
	.set _ZN7rocprim17ROCPRIM_400000_NS6detail17trampoline_kernelINS0_14default_configENS1_22reduce_config_selectorIlEEZNS1_11reduce_implILb1ES3_PlS7_lN6hipcub16HIPCUB_304000_NS6detail34convert_binary_result_type_wrapperINS9_3SumENS9_22TransformInputIteratorIb7NonZeroIfEPflEElEEEE10hipError_tPvRmT1_T2_T3_mT4_P12ihipStream_tbEUlT_E0_NS1_11comp_targetILNS1_3genE10ELNS1_11target_archE1201ELNS1_3gpuE5ELNS1_3repE0EEENS1_30default_config_static_selectorELNS0_4arch9wavefront6targetE1EEEvSM_.has_recursion, 0
	.set _ZN7rocprim17ROCPRIM_400000_NS6detail17trampoline_kernelINS0_14default_configENS1_22reduce_config_selectorIlEEZNS1_11reduce_implILb1ES3_PlS7_lN6hipcub16HIPCUB_304000_NS6detail34convert_binary_result_type_wrapperINS9_3SumENS9_22TransformInputIteratorIb7NonZeroIfEPflEElEEEE10hipError_tPvRmT1_T2_T3_mT4_P12ihipStream_tbEUlT_E0_NS1_11comp_targetILNS1_3genE10ELNS1_11target_archE1201ELNS1_3gpuE5ELNS1_3repE0EEENS1_30default_config_static_selectorELNS0_4arch9wavefront6targetE1EEEvSM_.has_indirect_call, 0
	.section	.AMDGPU.csdata,"",@progbits
; Kernel info:
; codeLenInByte = 0
; TotalNumSgprs: 6
; NumVgprs: 0
; NumAgprs: 0
; TotalNumVgprs: 0
; ScratchSize: 0
; MemoryBound: 0
; FloatMode: 240
; IeeeMode: 1
; LDSByteSize: 0 bytes/workgroup (compile time only)
; SGPRBlocks: 0
; VGPRBlocks: 0
; NumSGPRsForWavesPerEU: 6
; NumVGPRsForWavesPerEU: 1
; AccumOffset: 4
; Occupancy: 8
; WaveLimiterHint : 0
; COMPUTE_PGM_RSRC2:SCRATCH_EN: 0
; COMPUTE_PGM_RSRC2:USER_SGPR: 2
; COMPUTE_PGM_RSRC2:TRAP_HANDLER: 0
; COMPUTE_PGM_RSRC2:TGID_X_EN: 1
; COMPUTE_PGM_RSRC2:TGID_Y_EN: 0
; COMPUTE_PGM_RSRC2:TGID_Z_EN: 0
; COMPUTE_PGM_RSRC2:TIDIG_COMP_CNT: 0
; COMPUTE_PGM_RSRC3_GFX90A:ACCUM_OFFSET: 0
; COMPUTE_PGM_RSRC3_GFX90A:TG_SPLIT: 0
	.section	.text._ZN7rocprim17ROCPRIM_400000_NS6detail17trampoline_kernelINS0_14default_configENS1_22reduce_config_selectorIlEEZNS1_11reduce_implILb1ES3_PlS7_lN6hipcub16HIPCUB_304000_NS6detail34convert_binary_result_type_wrapperINS9_3SumENS9_22TransformInputIteratorIb7NonZeroIfEPflEElEEEE10hipError_tPvRmT1_T2_T3_mT4_P12ihipStream_tbEUlT_E0_NS1_11comp_targetILNS1_3genE10ELNS1_11target_archE1200ELNS1_3gpuE4ELNS1_3repE0EEENS1_30default_config_static_selectorELNS0_4arch9wavefront6targetE1EEEvSM_,"axG",@progbits,_ZN7rocprim17ROCPRIM_400000_NS6detail17trampoline_kernelINS0_14default_configENS1_22reduce_config_selectorIlEEZNS1_11reduce_implILb1ES3_PlS7_lN6hipcub16HIPCUB_304000_NS6detail34convert_binary_result_type_wrapperINS9_3SumENS9_22TransformInputIteratorIb7NonZeroIfEPflEElEEEE10hipError_tPvRmT1_T2_T3_mT4_P12ihipStream_tbEUlT_E0_NS1_11comp_targetILNS1_3genE10ELNS1_11target_archE1200ELNS1_3gpuE4ELNS1_3repE0EEENS1_30default_config_static_selectorELNS0_4arch9wavefront6targetE1EEEvSM_,comdat
	.protected	_ZN7rocprim17ROCPRIM_400000_NS6detail17trampoline_kernelINS0_14default_configENS1_22reduce_config_selectorIlEEZNS1_11reduce_implILb1ES3_PlS7_lN6hipcub16HIPCUB_304000_NS6detail34convert_binary_result_type_wrapperINS9_3SumENS9_22TransformInputIteratorIb7NonZeroIfEPflEElEEEE10hipError_tPvRmT1_T2_T3_mT4_P12ihipStream_tbEUlT_E0_NS1_11comp_targetILNS1_3genE10ELNS1_11target_archE1200ELNS1_3gpuE4ELNS1_3repE0EEENS1_30default_config_static_selectorELNS0_4arch9wavefront6targetE1EEEvSM_ ; -- Begin function _ZN7rocprim17ROCPRIM_400000_NS6detail17trampoline_kernelINS0_14default_configENS1_22reduce_config_selectorIlEEZNS1_11reduce_implILb1ES3_PlS7_lN6hipcub16HIPCUB_304000_NS6detail34convert_binary_result_type_wrapperINS9_3SumENS9_22TransformInputIteratorIb7NonZeroIfEPflEElEEEE10hipError_tPvRmT1_T2_T3_mT4_P12ihipStream_tbEUlT_E0_NS1_11comp_targetILNS1_3genE10ELNS1_11target_archE1200ELNS1_3gpuE4ELNS1_3repE0EEENS1_30default_config_static_selectorELNS0_4arch9wavefront6targetE1EEEvSM_
	.globl	_ZN7rocprim17ROCPRIM_400000_NS6detail17trampoline_kernelINS0_14default_configENS1_22reduce_config_selectorIlEEZNS1_11reduce_implILb1ES3_PlS7_lN6hipcub16HIPCUB_304000_NS6detail34convert_binary_result_type_wrapperINS9_3SumENS9_22TransformInputIteratorIb7NonZeroIfEPflEElEEEE10hipError_tPvRmT1_T2_T3_mT4_P12ihipStream_tbEUlT_E0_NS1_11comp_targetILNS1_3genE10ELNS1_11target_archE1200ELNS1_3gpuE4ELNS1_3repE0EEENS1_30default_config_static_selectorELNS0_4arch9wavefront6targetE1EEEvSM_
	.p2align	8
	.type	_ZN7rocprim17ROCPRIM_400000_NS6detail17trampoline_kernelINS0_14default_configENS1_22reduce_config_selectorIlEEZNS1_11reduce_implILb1ES3_PlS7_lN6hipcub16HIPCUB_304000_NS6detail34convert_binary_result_type_wrapperINS9_3SumENS9_22TransformInputIteratorIb7NonZeroIfEPflEElEEEE10hipError_tPvRmT1_T2_T3_mT4_P12ihipStream_tbEUlT_E0_NS1_11comp_targetILNS1_3genE10ELNS1_11target_archE1200ELNS1_3gpuE4ELNS1_3repE0EEENS1_30default_config_static_selectorELNS0_4arch9wavefront6targetE1EEEvSM_,@function
_ZN7rocprim17ROCPRIM_400000_NS6detail17trampoline_kernelINS0_14default_configENS1_22reduce_config_selectorIlEEZNS1_11reduce_implILb1ES3_PlS7_lN6hipcub16HIPCUB_304000_NS6detail34convert_binary_result_type_wrapperINS9_3SumENS9_22TransformInputIteratorIb7NonZeroIfEPflEElEEEE10hipError_tPvRmT1_T2_T3_mT4_P12ihipStream_tbEUlT_E0_NS1_11comp_targetILNS1_3genE10ELNS1_11target_archE1200ELNS1_3gpuE4ELNS1_3repE0EEENS1_30default_config_static_selectorELNS0_4arch9wavefront6targetE1EEEvSM_: ; @_ZN7rocprim17ROCPRIM_400000_NS6detail17trampoline_kernelINS0_14default_configENS1_22reduce_config_selectorIlEEZNS1_11reduce_implILb1ES3_PlS7_lN6hipcub16HIPCUB_304000_NS6detail34convert_binary_result_type_wrapperINS9_3SumENS9_22TransformInputIteratorIb7NonZeroIfEPflEElEEEE10hipError_tPvRmT1_T2_T3_mT4_P12ihipStream_tbEUlT_E0_NS1_11comp_targetILNS1_3genE10ELNS1_11target_archE1200ELNS1_3gpuE4ELNS1_3repE0EEENS1_30default_config_static_selectorELNS0_4arch9wavefront6targetE1EEEvSM_
; %bb.0:
	.section	.rodata,"a",@progbits
	.p2align	6, 0x0
	.amdhsa_kernel _ZN7rocprim17ROCPRIM_400000_NS6detail17trampoline_kernelINS0_14default_configENS1_22reduce_config_selectorIlEEZNS1_11reduce_implILb1ES3_PlS7_lN6hipcub16HIPCUB_304000_NS6detail34convert_binary_result_type_wrapperINS9_3SumENS9_22TransformInputIteratorIb7NonZeroIfEPflEElEEEE10hipError_tPvRmT1_T2_T3_mT4_P12ihipStream_tbEUlT_E0_NS1_11comp_targetILNS1_3genE10ELNS1_11target_archE1200ELNS1_3gpuE4ELNS1_3repE0EEENS1_30default_config_static_selectorELNS0_4arch9wavefront6targetE1EEEvSM_
		.amdhsa_group_segment_fixed_size 0
		.amdhsa_private_segment_fixed_size 0
		.amdhsa_kernarg_size 64
		.amdhsa_user_sgpr_count 2
		.amdhsa_user_sgpr_dispatch_ptr 0
		.amdhsa_user_sgpr_queue_ptr 0
		.amdhsa_user_sgpr_kernarg_segment_ptr 1
		.amdhsa_user_sgpr_dispatch_id 0
		.amdhsa_user_sgpr_kernarg_preload_length 0
		.amdhsa_user_sgpr_kernarg_preload_offset 0
		.amdhsa_user_sgpr_private_segment_size 0
		.amdhsa_uses_dynamic_stack 0
		.amdhsa_enable_private_segment 0
		.amdhsa_system_sgpr_workgroup_id_x 1
		.amdhsa_system_sgpr_workgroup_id_y 0
		.amdhsa_system_sgpr_workgroup_id_z 0
		.amdhsa_system_sgpr_workgroup_info 0
		.amdhsa_system_vgpr_workitem_id 0
		.amdhsa_next_free_vgpr 1
		.amdhsa_next_free_sgpr 0
		.amdhsa_accum_offset 4
		.amdhsa_reserve_vcc 0
		.amdhsa_float_round_mode_32 0
		.amdhsa_float_round_mode_16_64 0
		.amdhsa_float_denorm_mode_32 3
		.amdhsa_float_denorm_mode_16_64 3
		.amdhsa_dx10_clamp 1
		.amdhsa_ieee_mode 1
		.amdhsa_fp16_overflow 0
		.amdhsa_tg_split 0
		.amdhsa_exception_fp_ieee_invalid_op 0
		.amdhsa_exception_fp_denorm_src 0
		.amdhsa_exception_fp_ieee_div_zero 0
		.amdhsa_exception_fp_ieee_overflow 0
		.amdhsa_exception_fp_ieee_underflow 0
		.amdhsa_exception_fp_ieee_inexact 0
		.amdhsa_exception_int_div_zero 0
	.end_amdhsa_kernel
	.section	.text._ZN7rocprim17ROCPRIM_400000_NS6detail17trampoline_kernelINS0_14default_configENS1_22reduce_config_selectorIlEEZNS1_11reduce_implILb1ES3_PlS7_lN6hipcub16HIPCUB_304000_NS6detail34convert_binary_result_type_wrapperINS9_3SumENS9_22TransformInputIteratorIb7NonZeroIfEPflEElEEEE10hipError_tPvRmT1_T2_T3_mT4_P12ihipStream_tbEUlT_E0_NS1_11comp_targetILNS1_3genE10ELNS1_11target_archE1200ELNS1_3gpuE4ELNS1_3repE0EEENS1_30default_config_static_selectorELNS0_4arch9wavefront6targetE1EEEvSM_,"axG",@progbits,_ZN7rocprim17ROCPRIM_400000_NS6detail17trampoline_kernelINS0_14default_configENS1_22reduce_config_selectorIlEEZNS1_11reduce_implILb1ES3_PlS7_lN6hipcub16HIPCUB_304000_NS6detail34convert_binary_result_type_wrapperINS9_3SumENS9_22TransformInputIteratorIb7NonZeroIfEPflEElEEEE10hipError_tPvRmT1_T2_T3_mT4_P12ihipStream_tbEUlT_E0_NS1_11comp_targetILNS1_3genE10ELNS1_11target_archE1200ELNS1_3gpuE4ELNS1_3repE0EEENS1_30default_config_static_selectorELNS0_4arch9wavefront6targetE1EEEvSM_,comdat
.Lfunc_end223:
	.size	_ZN7rocprim17ROCPRIM_400000_NS6detail17trampoline_kernelINS0_14default_configENS1_22reduce_config_selectorIlEEZNS1_11reduce_implILb1ES3_PlS7_lN6hipcub16HIPCUB_304000_NS6detail34convert_binary_result_type_wrapperINS9_3SumENS9_22TransformInputIteratorIb7NonZeroIfEPflEElEEEE10hipError_tPvRmT1_T2_T3_mT4_P12ihipStream_tbEUlT_E0_NS1_11comp_targetILNS1_3genE10ELNS1_11target_archE1200ELNS1_3gpuE4ELNS1_3repE0EEENS1_30default_config_static_selectorELNS0_4arch9wavefront6targetE1EEEvSM_, .Lfunc_end223-_ZN7rocprim17ROCPRIM_400000_NS6detail17trampoline_kernelINS0_14default_configENS1_22reduce_config_selectorIlEEZNS1_11reduce_implILb1ES3_PlS7_lN6hipcub16HIPCUB_304000_NS6detail34convert_binary_result_type_wrapperINS9_3SumENS9_22TransformInputIteratorIb7NonZeroIfEPflEElEEEE10hipError_tPvRmT1_T2_T3_mT4_P12ihipStream_tbEUlT_E0_NS1_11comp_targetILNS1_3genE10ELNS1_11target_archE1200ELNS1_3gpuE4ELNS1_3repE0EEENS1_30default_config_static_selectorELNS0_4arch9wavefront6targetE1EEEvSM_
                                        ; -- End function
	.set _ZN7rocprim17ROCPRIM_400000_NS6detail17trampoline_kernelINS0_14default_configENS1_22reduce_config_selectorIlEEZNS1_11reduce_implILb1ES3_PlS7_lN6hipcub16HIPCUB_304000_NS6detail34convert_binary_result_type_wrapperINS9_3SumENS9_22TransformInputIteratorIb7NonZeroIfEPflEElEEEE10hipError_tPvRmT1_T2_T3_mT4_P12ihipStream_tbEUlT_E0_NS1_11comp_targetILNS1_3genE10ELNS1_11target_archE1200ELNS1_3gpuE4ELNS1_3repE0EEENS1_30default_config_static_selectorELNS0_4arch9wavefront6targetE1EEEvSM_.num_vgpr, 0
	.set _ZN7rocprim17ROCPRIM_400000_NS6detail17trampoline_kernelINS0_14default_configENS1_22reduce_config_selectorIlEEZNS1_11reduce_implILb1ES3_PlS7_lN6hipcub16HIPCUB_304000_NS6detail34convert_binary_result_type_wrapperINS9_3SumENS9_22TransformInputIteratorIb7NonZeroIfEPflEElEEEE10hipError_tPvRmT1_T2_T3_mT4_P12ihipStream_tbEUlT_E0_NS1_11comp_targetILNS1_3genE10ELNS1_11target_archE1200ELNS1_3gpuE4ELNS1_3repE0EEENS1_30default_config_static_selectorELNS0_4arch9wavefront6targetE1EEEvSM_.num_agpr, 0
	.set _ZN7rocprim17ROCPRIM_400000_NS6detail17trampoline_kernelINS0_14default_configENS1_22reduce_config_selectorIlEEZNS1_11reduce_implILb1ES3_PlS7_lN6hipcub16HIPCUB_304000_NS6detail34convert_binary_result_type_wrapperINS9_3SumENS9_22TransformInputIteratorIb7NonZeroIfEPflEElEEEE10hipError_tPvRmT1_T2_T3_mT4_P12ihipStream_tbEUlT_E0_NS1_11comp_targetILNS1_3genE10ELNS1_11target_archE1200ELNS1_3gpuE4ELNS1_3repE0EEENS1_30default_config_static_selectorELNS0_4arch9wavefront6targetE1EEEvSM_.numbered_sgpr, 0
	.set _ZN7rocprim17ROCPRIM_400000_NS6detail17trampoline_kernelINS0_14default_configENS1_22reduce_config_selectorIlEEZNS1_11reduce_implILb1ES3_PlS7_lN6hipcub16HIPCUB_304000_NS6detail34convert_binary_result_type_wrapperINS9_3SumENS9_22TransformInputIteratorIb7NonZeroIfEPflEElEEEE10hipError_tPvRmT1_T2_T3_mT4_P12ihipStream_tbEUlT_E0_NS1_11comp_targetILNS1_3genE10ELNS1_11target_archE1200ELNS1_3gpuE4ELNS1_3repE0EEENS1_30default_config_static_selectorELNS0_4arch9wavefront6targetE1EEEvSM_.num_named_barrier, 0
	.set _ZN7rocprim17ROCPRIM_400000_NS6detail17trampoline_kernelINS0_14default_configENS1_22reduce_config_selectorIlEEZNS1_11reduce_implILb1ES3_PlS7_lN6hipcub16HIPCUB_304000_NS6detail34convert_binary_result_type_wrapperINS9_3SumENS9_22TransformInputIteratorIb7NonZeroIfEPflEElEEEE10hipError_tPvRmT1_T2_T3_mT4_P12ihipStream_tbEUlT_E0_NS1_11comp_targetILNS1_3genE10ELNS1_11target_archE1200ELNS1_3gpuE4ELNS1_3repE0EEENS1_30default_config_static_selectorELNS0_4arch9wavefront6targetE1EEEvSM_.private_seg_size, 0
	.set _ZN7rocprim17ROCPRIM_400000_NS6detail17trampoline_kernelINS0_14default_configENS1_22reduce_config_selectorIlEEZNS1_11reduce_implILb1ES3_PlS7_lN6hipcub16HIPCUB_304000_NS6detail34convert_binary_result_type_wrapperINS9_3SumENS9_22TransformInputIteratorIb7NonZeroIfEPflEElEEEE10hipError_tPvRmT1_T2_T3_mT4_P12ihipStream_tbEUlT_E0_NS1_11comp_targetILNS1_3genE10ELNS1_11target_archE1200ELNS1_3gpuE4ELNS1_3repE0EEENS1_30default_config_static_selectorELNS0_4arch9wavefront6targetE1EEEvSM_.uses_vcc, 0
	.set _ZN7rocprim17ROCPRIM_400000_NS6detail17trampoline_kernelINS0_14default_configENS1_22reduce_config_selectorIlEEZNS1_11reduce_implILb1ES3_PlS7_lN6hipcub16HIPCUB_304000_NS6detail34convert_binary_result_type_wrapperINS9_3SumENS9_22TransformInputIteratorIb7NonZeroIfEPflEElEEEE10hipError_tPvRmT1_T2_T3_mT4_P12ihipStream_tbEUlT_E0_NS1_11comp_targetILNS1_3genE10ELNS1_11target_archE1200ELNS1_3gpuE4ELNS1_3repE0EEENS1_30default_config_static_selectorELNS0_4arch9wavefront6targetE1EEEvSM_.uses_flat_scratch, 0
	.set _ZN7rocprim17ROCPRIM_400000_NS6detail17trampoline_kernelINS0_14default_configENS1_22reduce_config_selectorIlEEZNS1_11reduce_implILb1ES3_PlS7_lN6hipcub16HIPCUB_304000_NS6detail34convert_binary_result_type_wrapperINS9_3SumENS9_22TransformInputIteratorIb7NonZeroIfEPflEElEEEE10hipError_tPvRmT1_T2_T3_mT4_P12ihipStream_tbEUlT_E0_NS1_11comp_targetILNS1_3genE10ELNS1_11target_archE1200ELNS1_3gpuE4ELNS1_3repE0EEENS1_30default_config_static_selectorELNS0_4arch9wavefront6targetE1EEEvSM_.has_dyn_sized_stack, 0
	.set _ZN7rocprim17ROCPRIM_400000_NS6detail17trampoline_kernelINS0_14default_configENS1_22reduce_config_selectorIlEEZNS1_11reduce_implILb1ES3_PlS7_lN6hipcub16HIPCUB_304000_NS6detail34convert_binary_result_type_wrapperINS9_3SumENS9_22TransformInputIteratorIb7NonZeroIfEPflEElEEEE10hipError_tPvRmT1_T2_T3_mT4_P12ihipStream_tbEUlT_E0_NS1_11comp_targetILNS1_3genE10ELNS1_11target_archE1200ELNS1_3gpuE4ELNS1_3repE0EEENS1_30default_config_static_selectorELNS0_4arch9wavefront6targetE1EEEvSM_.has_recursion, 0
	.set _ZN7rocprim17ROCPRIM_400000_NS6detail17trampoline_kernelINS0_14default_configENS1_22reduce_config_selectorIlEEZNS1_11reduce_implILb1ES3_PlS7_lN6hipcub16HIPCUB_304000_NS6detail34convert_binary_result_type_wrapperINS9_3SumENS9_22TransformInputIteratorIb7NonZeroIfEPflEElEEEE10hipError_tPvRmT1_T2_T3_mT4_P12ihipStream_tbEUlT_E0_NS1_11comp_targetILNS1_3genE10ELNS1_11target_archE1200ELNS1_3gpuE4ELNS1_3repE0EEENS1_30default_config_static_selectorELNS0_4arch9wavefront6targetE1EEEvSM_.has_indirect_call, 0
	.section	.AMDGPU.csdata,"",@progbits
; Kernel info:
; codeLenInByte = 0
; TotalNumSgprs: 6
; NumVgprs: 0
; NumAgprs: 0
; TotalNumVgprs: 0
; ScratchSize: 0
; MemoryBound: 0
; FloatMode: 240
; IeeeMode: 1
; LDSByteSize: 0 bytes/workgroup (compile time only)
; SGPRBlocks: 0
; VGPRBlocks: 0
; NumSGPRsForWavesPerEU: 6
; NumVGPRsForWavesPerEU: 1
; AccumOffset: 4
; Occupancy: 8
; WaveLimiterHint : 0
; COMPUTE_PGM_RSRC2:SCRATCH_EN: 0
; COMPUTE_PGM_RSRC2:USER_SGPR: 2
; COMPUTE_PGM_RSRC2:TRAP_HANDLER: 0
; COMPUTE_PGM_RSRC2:TGID_X_EN: 1
; COMPUTE_PGM_RSRC2:TGID_Y_EN: 0
; COMPUTE_PGM_RSRC2:TGID_Z_EN: 0
; COMPUTE_PGM_RSRC2:TIDIG_COMP_CNT: 0
; COMPUTE_PGM_RSRC3_GFX90A:ACCUM_OFFSET: 0
; COMPUTE_PGM_RSRC3_GFX90A:TG_SPLIT: 0
	.section	.text._ZN7rocprim17ROCPRIM_400000_NS6detail17trampoline_kernelINS0_14default_configENS1_22reduce_config_selectorIlEEZNS1_11reduce_implILb1ES3_PlS7_lN6hipcub16HIPCUB_304000_NS6detail34convert_binary_result_type_wrapperINS9_3SumENS9_22TransformInputIteratorIb7NonZeroIfEPflEElEEEE10hipError_tPvRmT1_T2_T3_mT4_P12ihipStream_tbEUlT_E0_NS1_11comp_targetILNS1_3genE9ELNS1_11target_archE1100ELNS1_3gpuE3ELNS1_3repE0EEENS1_30default_config_static_selectorELNS0_4arch9wavefront6targetE1EEEvSM_,"axG",@progbits,_ZN7rocprim17ROCPRIM_400000_NS6detail17trampoline_kernelINS0_14default_configENS1_22reduce_config_selectorIlEEZNS1_11reduce_implILb1ES3_PlS7_lN6hipcub16HIPCUB_304000_NS6detail34convert_binary_result_type_wrapperINS9_3SumENS9_22TransformInputIteratorIb7NonZeroIfEPflEElEEEE10hipError_tPvRmT1_T2_T3_mT4_P12ihipStream_tbEUlT_E0_NS1_11comp_targetILNS1_3genE9ELNS1_11target_archE1100ELNS1_3gpuE3ELNS1_3repE0EEENS1_30default_config_static_selectorELNS0_4arch9wavefront6targetE1EEEvSM_,comdat
	.protected	_ZN7rocprim17ROCPRIM_400000_NS6detail17trampoline_kernelINS0_14default_configENS1_22reduce_config_selectorIlEEZNS1_11reduce_implILb1ES3_PlS7_lN6hipcub16HIPCUB_304000_NS6detail34convert_binary_result_type_wrapperINS9_3SumENS9_22TransformInputIteratorIb7NonZeroIfEPflEElEEEE10hipError_tPvRmT1_T2_T3_mT4_P12ihipStream_tbEUlT_E0_NS1_11comp_targetILNS1_3genE9ELNS1_11target_archE1100ELNS1_3gpuE3ELNS1_3repE0EEENS1_30default_config_static_selectorELNS0_4arch9wavefront6targetE1EEEvSM_ ; -- Begin function _ZN7rocprim17ROCPRIM_400000_NS6detail17trampoline_kernelINS0_14default_configENS1_22reduce_config_selectorIlEEZNS1_11reduce_implILb1ES3_PlS7_lN6hipcub16HIPCUB_304000_NS6detail34convert_binary_result_type_wrapperINS9_3SumENS9_22TransformInputIteratorIb7NonZeroIfEPflEElEEEE10hipError_tPvRmT1_T2_T3_mT4_P12ihipStream_tbEUlT_E0_NS1_11comp_targetILNS1_3genE9ELNS1_11target_archE1100ELNS1_3gpuE3ELNS1_3repE0EEENS1_30default_config_static_selectorELNS0_4arch9wavefront6targetE1EEEvSM_
	.globl	_ZN7rocprim17ROCPRIM_400000_NS6detail17trampoline_kernelINS0_14default_configENS1_22reduce_config_selectorIlEEZNS1_11reduce_implILb1ES3_PlS7_lN6hipcub16HIPCUB_304000_NS6detail34convert_binary_result_type_wrapperINS9_3SumENS9_22TransformInputIteratorIb7NonZeroIfEPflEElEEEE10hipError_tPvRmT1_T2_T3_mT4_P12ihipStream_tbEUlT_E0_NS1_11comp_targetILNS1_3genE9ELNS1_11target_archE1100ELNS1_3gpuE3ELNS1_3repE0EEENS1_30default_config_static_selectorELNS0_4arch9wavefront6targetE1EEEvSM_
	.p2align	8
	.type	_ZN7rocprim17ROCPRIM_400000_NS6detail17trampoline_kernelINS0_14default_configENS1_22reduce_config_selectorIlEEZNS1_11reduce_implILb1ES3_PlS7_lN6hipcub16HIPCUB_304000_NS6detail34convert_binary_result_type_wrapperINS9_3SumENS9_22TransformInputIteratorIb7NonZeroIfEPflEElEEEE10hipError_tPvRmT1_T2_T3_mT4_P12ihipStream_tbEUlT_E0_NS1_11comp_targetILNS1_3genE9ELNS1_11target_archE1100ELNS1_3gpuE3ELNS1_3repE0EEENS1_30default_config_static_selectorELNS0_4arch9wavefront6targetE1EEEvSM_,@function
_ZN7rocprim17ROCPRIM_400000_NS6detail17trampoline_kernelINS0_14default_configENS1_22reduce_config_selectorIlEEZNS1_11reduce_implILb1ES3_PlS7_lN6hipcub16HIPCUB_304000_NS6detail34convert_binary_result_type_wrapperINS9_3SumENS9_22TransformInputIteratorIb7NonZeroIfEPflEElEEEE10hipError_tPvRmT1_T2_T3_mT4_P12ihipStream_tbEUlT_E0_NS1_11comp_targetILNS1_3genE9ELNS1_11target_archE1100ELNS1_3gpuE3ELNS1_3repE0EEENS1_30default_config_static_selectorELNS0_4arch9wavefront6targetE1EEEvSM_: ; @_ZN7rocprim17ROCPRIM_400000_NS6detail17trampoline_kernelINS0_14default_configENS1_22reduce_config_selectorIlEEZNS1_11reduce_implILb1ES3_PlS7_lN6hipcub16HIPCUB_304000_NS6detail34convert_binary_result_type_wrapperINS9_3SumENS9_22TransformInputIteratorIb7NonZeroIfEPflEElEEEE10hipError_tPvRmT1_T2_T3_mT4_P12ihipStream_tbEUlT_E0_NS1_11comp_targetILNS1_3genE9ELNS1_11target_archE1100ELNS1_3gpuE3ELNS1_3repE0EEENS1_30default_config_static_selectorELNS0_4arch9wavefront6targetE1EEEvSM_
; %bb.0:
	.section	.rodata,"a",@progbits
	.p2align	6, 0x0
	.amdhsa_kernel _ZN7rocprim17ROCPRIM_400000_NS6detail17trampoline_kernelINS0_14default_configENS1_22reduce_config_selectorIlEEZNS1_11reduce_implILb1ES3_PlS7_lN6hipcub16HIPCUB_304000_NS6detail34convert_binary_result_type_wrapperINS9_3SumENS9_22TransformInputIteratorIb7NonZeroIfEPflEElEEEE10hipError_tPvRmT1_T2_T3_mT4_P12ihipStream_tbEUlT_E0_NS1_11comp_targetILNS1_3genE9ELNS1_11target_archE1100ELNS1_3gpuE3ELNS1_3repE0EEENS1_30default_config_static_selectorELNS0_4arch9wavefront6targetE1EEEvSM_
		.amdhsa_group_segment_fixed_size 0
		.amdhsa_private_segment_fixed_size 0
		.amdhsa_kernarg_size 64
		.amdhsa_user_sgpr_count 2
		.amdhsa_user_sgpr_dispatch_ptr 0
		.amdhsa_user_sgpr_queue_ptr 0
		.amdhsa_user_sgpr_kernarg_segment_ptr 1
		.amdhsa_user_sgpr_dispatch_id 0
		.amdhsa_user_sgpr_kernarg_preload_length 0
		.amdhsa_user_sgpr_kernarg_preload_offset 0
		.amdhsa_user_sgpr_private_segment_size 0
		.amdhsa_uses_dynamic_stack 0
		.amdhsa_enable_private_segment 0
		.amdhsa_system_sgpr_workgroup_id_x 1
		.amdhsa_system_sgpr_workgroup_id_y 0
		.amdhsa_system_sgpr_workgroup_id_z 0
		.amdhsa_system_sgpr_workgroup_info 0
		.amdhsa_system_vgpr_workitem_id 0
		.amdhsa_next_free_vgpr 1
		.amdhsa_next_free_sgpr 0
		.amdhsa_accum_offset 4
		.amdhsa_reserve_vcc 0
		.amdhsa_float_round_mode_32 0
		.amdhsa_float_round_mode_16_64 0
		.amdhsa_float_denorm_mode_32 3
		.amdhsa_float_denorm_mode_16_64 3
		.amdhsa_dx10_clamp 1
		.amdhsa_ieee_mode 1
		.amdhsa_fp16_overflow 0
		.amdhsa_tg_split 0
		.amdhsa_exception_fp_ieee_invalid_op 0
		.amdhsa_exception_fp_denorm_src 0
		.amdhsa_exception_fp_ieee_div_zero 0
		.amdhsa_exception_fp_ieee_overflow 0
		.amdhsa_exception_fp_ieee_underflow 0
		.amdhsa_exception_fp_ieee_inexact 0
		.amdhsa_exception_int_div_zero 0
	.end_amdhsa_kernel
	.section	.text._ZN7rocprim17ROCPRIM_400000_NS6detail17trampoline_kernelINS0_14default_configENS1_22reduce_config_selectorIlEEZNS1_11reduce_implILb1ES3_PlS7_lN6hipcub16HIPCUB_304000_NS6detail34convert_binary_result_type_wrapperINS9_3SumENS9_22TransformInputIteratorIb7NonZeroIfEPflEElEEEE10hipError_tPvRmT1_T2_T3_mT4_P12ihipStream_tbEUlT_E0_NS1_11comp_targetILNS1_3genE9ELNS1_11target_archE1100ELNS1_3gpuE3ELNS1_3repE0EEENS1_30default_config_static_selectorELNS0_4arch9wavefront6targetE1EEEvSM_,"axG",@progbits,_ZN7rocprim17ROCPRIM_400000_NS6detail17trampoline_kernelINS0_14default_configENS1_22reduce_config_selectorIlEEZNS1_11reduce_implILb1ES3_PlS7_lN6hipcub16HIPCUB_304000_NS6detail34convert_binary_result_type_wrapperINS9_3SumENS9_22TransformInputIteratorIb7NonZeroIfEPflEElEEEE10hipError_tPvRmT1_T2_T3_mT4_P12ihipStream_tbEUlT_E0_NS1_11comp_targetILNS1_3genE9ELNS1_11target_archE1100ELNS1_3gpuE3ELNS1_3repE0EEENS1_30default_config_static_selectorELNS0_4arch9wavefront6targetE1EEEvSM_,comdat
.Lfunc_end224:
	.size	_ZN7rocprim17ROCPRIM_400000_NS6detail17trampoline_kernelINS0_14default_configENS1_22reduce_config_selectorIlEEZNS1_11reduce_implILb1ES3_PlS7_lN6hipcub16HIPCUB_304000_NS6detail34convert_binary_result_type_wrapperINS9_3SumENS9_22TransformInputIteratorIb7NonZeroIfEPflEElEEEE10hipError_tPvRmT1_T2_T3_mT4_P12ihipStream_tbEUlT_E0_NS1_11comp_targetILNS1_3genE9ELNS1_11target_archE1100ELNS1_3gpuE3ELNS1_3repE0EEENS1_30default_config_static_selectorELNS0_4arch9wavefront6targetE1EEEvSM_, .Lfunc_end224-_ZN7rocprim17ROCPRIM_400000_NS6detail17trampoline_kernelINS0_14default_configENS1_22reduce_config_selectorIlEEZNS1_11reduce_implILb1ES3_PlS7_lN6hipcub16HIPCUB_304000_NS6detail34convert_binary_result_type_wrapperINS9_3SumENS9_22TransformInputIteratorIb7NonZeroIfEPflEElEEEE10hipError_tPvRmT1_T2_T3_mT4_P12ihipStream_tbEUlT_E0_NS1_11comp_targetILNS1_3genE9ELNS1_11target_archE1100ELNS1_3gpuE3ELNS1_3repE0EEENS1_30default_config_static_selectorELNS0_4arch9wavefront6targetE1EEEvSM_
                                        ; -- End function
	.set _ZN7rocprim17ROCPRIM_400000_NS6detail17trampoline_kernelINS0_14default_configENS1_22reduce_config_selectorIlEEZNS1_11reduce_implILb1ES3_PlS7_lN6hipcub16HIPCUB_304000_NS6detail34convert_binary_result_type_wrapperINS9_3SumENS9_22TransformInputIteratorIb7NonZeroIfEPflEElEEEE10hipError_tPvRmT1_T2_T3_mT4_P12ihipStream_tbEUlT_E0_NS1_11comp_targetILNS1_3genE9ELNS1_11target_archE1100ELNS1_3gpuE3ELNS1_3repE0EEENS1_30default_config_static_selectorELNS0_4arch9wavefront6targetE1EEEvSM_.num_vgpr, 0
	.set _ZN7rocprim17ROCPRIM_400000_NS6detail17trampoline_kernelINS0_14default_configENS1_22reduce_config_selectorIlEEZNS1_11reduce_implILb1ES3_PlS7_lN6hipcub16HIPCUB_304000_NS6detail34convert_binary_result_type_wrapperINS9_3SumENS9_22TransformInputIteratorIb7NonZeroIfEPflEElEEEE10hipError_tPvRmT1_T2_T3_mT4_P12ihipStream_tbEUlT_E0_NS1_11comp_targetILNS1_3genE9ELNS1_11target_archE1100ELNS1_3gpuE3ELNS1_3repE0EEENS1_30default_config_static_selectorELNS0_4arch9wavefront6targetE1EEEvSM_.num_agpr, 0
	.set _ZN7rocprim17ROCPRIM_400000_NS6detail17trampoline_kernelINS0_14default_configENS1_22reduce_config_selectorIlEEZNS1_11reduce_implILb1ES3_PlS7_lN6hipcub16HIPCUB_304000_NS6detail34convert_binary_result_type_wrapperINS9_3SumENS9_22TransformInputIteratorIb7NonZeroIfEPflEElEEEE10hipError_tPvRmT1_T2_T3_mT4_P12ihipStream_tbEUlT_E0_NS1_11comp_targetILNS1_3genE9ELNS1_11target_archE1100ELNS1_3gpuE3ELNS1_3repE0EEENS1_30default_config_static_selectorELNS0_4arch9wavefront6targetE1EEEvSM_.numbered_sgpr, 0
	.set _ZN7rocprim17ROCPRIM_400000_NS6detail17trampoline_kernelINS0_14default_configENS1_22reduce_config_selectorIlEEZNS1_11reduce_implILb1ES3_PlS7_lN6hipcub16HIPCUB_304000_NS6detail34convert_binary_result_type_wrapperINS9_3SumENS9_22TransformInputIteratorIb7NonZeroIfEPflEElEEEE10hipError_tPvRmT1_T2_T3_mT4_P12ihipStream_tbEUlT_E0_NS1_11comp_targetILNS1_3genE9ELNS1_11target_archE1100ELNS1_3gpuE3ELNS1_3repE0EEENS1_30default_config_static_selectorELNS0_4arch9wavefront6targetE1EEEvSM_.num_named_barrier, 0
	.set _ZN7rocprim17ROCPRIM_400000_NS6detail17trampoline_kernelINS0_14default_configENS1_22reduce_config_selectorIlEEZNS1_11reduce_implILb1ES3_PlS7_lN6hipcub16HIPCUB_304000_NS6detail34convert_binary_result_type_wrapperINS9_3SumENS9_22TransformInputIteratorIb7NonZeroIfEPflEElEEEE10hipError_tPvRmT1_T2_T3_mT4_P12ihipStream_tbEUlT_E0_NS1_11comp_targetILNS1_3genE9ELNS1_11target_archE1100ELNS1_3gpuE3ELNS1_3repE0EEENS1_30default_config_static_selectorELNS0_4arch9wavefront6targetE1EEEvSM_.private_seg_size, 0
	.set _ZN7rocprim17ROCPRIM_400000_NS6detail17trampoline_kernelINS0_14default_configENS1_22reduce_config_selectorIlEEZNS1_11reduce_implILb1ES3_PlS7_lN6hipcub16HIPCUB_304000_NS6detail34convert_binary_result_type_wrapperINS9_3SumENS9_22TransformInputIteratorIb7NonZeroIfEPflEElEEEE10hipError_tPvRmT1_T2_T3_mT4_P12ihipStream_tbEUlT_E0_NS1_11comp_targetILNS1_3genE9ELNS1_11target_archE1100ELNS1_3gpuE3ELNS1_3repE0EEENS1_30default_config_static_selectorELNS0_4arch9wavefront6targetE1EEEvSM_.uses_vcc, 0
	.set _ZN7rocprim17ROCPRIM_400000_NS6detail17trampoline_kernelINS0_14default_configENS1_22reduce_config_selectorIlEEZNS1_11reduce_implILb1ES3_PlS7_lN6hipcub16HIPCUB_304000_NS6detail34convert_binary_result_type_wrapperINS9_3SumENS9_22TransformInputIteratorIb7NonZeroIfEPflEElEEEE10hipError_tPvRmT1_T2_T3_mT4_P12ihipStream_tbEUlT_E0_NS1_11comp_targetILNS1_3genE9ELNS1_11target_archE1100ELNS1_3gpuE3ELNS1_3repE0EEENS1_30default_config_static_selectorELNS0_4arch9wavefront6targetE1EEEvSM_.uses_flat_scratch, 0
	.set _ZN7rocprim17ROCPRIM_400000_NS6detail17trampoline_kernelINS0_14default_configENS1_22reduce_config_selectorIlEEZNS1_11reduce_implILb1ES3_PlS7_lN6hipcub16HIPCUB_304000_NS6detail34convert_binary_result_type_wrapperINS9_3SumENS9_22TransformInputIteratorIb7NonZeroIfEPflEElEEEE10hipError_tPvRmT1_T2_T3_mT4_P12ihipStream_tbEUlT_E0_NS1_11comp_targetILNS1_3genE9ELNS1_11target_archE1100ELNS1_3gpuE3ELNS1_3repE0EEENS1_30default_config_static_selectorELNS0_4arch9wavefront6targetE1EEEvSM_.has_dyn_sized_stack, 0
	.set _ZN7rocprim17ROCPRIM_400000_NS6detail17trampoline_kernelINS0_14default_configENS1_22reduce_config_selectorIlEEZNS1_11reduce_implILb1ES3_PlS7_lN6hipcub16HIPCUB_304000_NS6detail34convert_binary_result_type_wrapperINS9_3SumENS9_22TransformInputIteratorIb7NonZeroIfEPflEElEEEE10hipError_tPvRmT1_T2_T3_mT4_P12ihipStream_tbEUlT_E0_NS1_11comp_targetILNS1_3genE9ELNS1_11target_archE1100ELNS1_3gpuE3ELNS1_3repE0EEENS1_30default_config_static_selectorELNS0_4arch9wavefront6targetE1EEEvSM_.has_recursion, 0
	.set _ZN7rocprim17ROCPRIM_400000_NS6detail17trampoline_kernelINS0_14default_configENS1_22reduce_config_selectorIlEEZNS1_11reduce_implILb1ES3_PlS7_lN6hipcub16HIPCUB_304000_NS6detail34convert_binary_result_type_wrapperINS9_3SumENS9_22TransformInputIteratorIb7NonZeroIfEPflEElEEEE10hipError_tPvRmT1_T2_T3_mT4_P12ihipStream_tbEUlT_E0_NS1_11comp_targetILNS1_3genE9ELNS1_11target_archE1100ELNS1_3gpuE3ELNS1_3repE0EEENS1_30default_config_static_selectorELNS0_4arch9wavefront6targetE1EEEvSM_.has_indirect_call, 0
	.section	.AMDGPU.csdata,"",@progbits
; Kernel info:
; codeLenInByte = 0
; TotalNumSgprs: 6
; NumVgprs: 0
; NumAgprs: 0
; TotalNumVgprs: 0
; ScratchSize: 0
; MemoryBound: 0
; FloatMode: 240
; IeeeMode: 1
; LDSByteSize: 0 bytes/workgroup (compile time only)
; SGPRBlocks: 0
; VGPRBlocks: 0
; NumSGPRsForWavesPerEU: 6
; NumVGPRsForWavesPerEU: 1
; AccumOffset: 4
; Occupancy: 8
; WaveLimiterHint : 0
; COMPUTE_PGM_RSRC2:SCRATCH_EN: 0
; COMPUTE_PGM_RSRC2:USER_SGPR: 2
; COMPUTE_PGM_RSRC2:TRAP_HANDLER: 0
; COMPUTE_PGM_RSRC2:TGID_X_EN: 1
; COMPUTE_PGM_RSRC2:TGID_Y_EN: 0
; COMPUTE_PGM_RSRC2:TGID_Z_EN: 0
; COMPUTE_PGM_RSRC2:TIDIG_COMP_CNT: 0
; COMPUTE_PGM_RSRC3_GFX90A:ACCUM_OFFSET: 0
; COMPUTE_PGM_RSRC3_GFX90A:TG_SPLIT: 0
	.section	.text._ZN7rocprim17ROCPRIM_400000_NS6detail17trampoline_kernelINS0_14default_configENS1_22reduce_config_selectorIlEEZNS1_11reduce_implILb1ES3_PlS7_lN6hipcub16HIPCUB_304000_NS6detail34convert_binary_result_type_wrapperINS9_3SumENS9_22TransformInputIteratorIb7NonZeroIfEPflEElEEEE10hipError_tPvRmT1_T2_T3_mT4_P12ihipStream_tbEUlT_E0_NS1_11comp_targetILNS1_3genE8ELNS1_11target_archE1030ELNS1_3gpuE2ELNS1_3repE0EEENS1_30default_config_static_selectorELNS0_4arch9wavefront6targetE1EEEvSM_,"axG",@progbits,_ZN7rocprim17ROCPRIM_400000_NS6detail17trampoline_kernelINS0_14default_configENS1_22reduce_config_selectorIlEEZNS1_11reduce_implILb1ES3_PlS7_lN6hipcub16HIPCUB_304000_NS6detail34convert_binary_result_type_wrapperINS9_3SumENS9_22TransformInputIteratorIb7NonZeroIfEPflEElEEEE10hipError_tPvRmT1_T2_T3_mT4_P12ihipStream_tbEUlT_E0_NS1_11comp_targetILNS1_3genE8ELNS1_11target_archE1030ELNS1_3gpuE2ELNS1_3repE0EEENS1_30default_config_static_selectorELNS0_4arch9wavefront6targetE1EEEvSM_,comdat
	.protected	_ZN7rocprim17ROCPRIM_400000_NS6detail17trampoline_kernelINS0_14default_configENS1_22reduce_config_selectorIlEEZNS1_11reduce_implILb1ES3_PlS7_lN6hipcub16HIPCUB_304000_NS6detail34convert_binary_result_type_wrapperINS9_3SumENS9_22TransformInputIteratorIb7NonZeroIfEPflEElEEEE10hipError_tPvRmT1_T2_T3_mT4_P12ihipStream_tbEUlT_E0_NS1_11comp_targetILNS1_3genE8ELNS1_11target_archE1030ELNS1_3gpuE2ELNS1_3repE0EEENS1_30default_config_static_selectorELNS0_4arch9wavefront6targetE1EEEvSM_ ; -- Begin function _ZN7rocprim17ROCPRIM_400000_NS6detail17trampoline_kernelINS0_14default_configENS1_22reduce_config_selectorIlEEZNS1_11reduce_implILb1ES3_PlS7_lN6hipcub16HIPCUB_304000_NS6detail34convert_binary_result_type_wrapperINS9_3SumENS9_22TransformInputIteratorIb7NonZeroIfEPflEElEEEE10hipError_tPvRmT1_T2_T3_mT4_P12ihipStream_tbEUlT_E0_NS1_11comp_targetILNS1_3genE8ELNS1_11target_archE1030ELNS1_3gpuE2ELNS1_3repE0EEENS1_30default_config_static_selectorELNS0_4arch9wavefront6targetE1EEEvSM_
	.globl	_ZN7rocprim17ROCPRIM_400000_NS6detail17trampoline_kernelINS0_14default_configENS1_22reduce_config_selectorIlEEZNS1_11reduce_implILb1ES3_PlS7_lN6hipcub16HIPCUB_304000_NS6detail34convert_binary_result_type_wrapperINS9_3SumENS9_22TransformInputIteratorIb7NonZeroIfEPflEElEEEE10hipError_tPvRmT1_T2_T3_mT4_P12ihipStream_tbEUlT_E0_NS1_11comp_targetILNS1_3genE8ELNS1_11target_archE1030ELNS1_3gpuE2ELNS1_3repE0EEENS1_30default_config_static_selectorELNS0_4arch9wavefront6targetE1EEEvSM_
	.p2align	8
	.type	_ZN7rocprim17ROCPRIM_400000_NS6detail17trampoline_kernelINS0_14default_configENS1_22reduce_config_selectorIlEEZNS1_11reduce_implILb1ES3_PlS7_lN6hipcub16HIPCUB_304000_NS6detail34convert_binary_result_type_wrapperINS9_3SumENS9_22TransformInputIteratorIb7NonZeroIfEPflEElEEEE10hipError_tPvRmT1_T2_T3_mT4_P12ihipStream_tbEUlT_E0_NS1_11comp_targetILNS1_3genE8ELNS1_11target_archE1030ELNS1_3gpuE2ELNS1_3repE0EEENS1_30default_config_static_selectorELNS0_4arch9wavefront6targetE1EEEvSM_,@function
_ZN7rocprim17ROCPRIM_400000_NS6detail17trampoline_kernelINS0_14default_configENS1_22reduce_config_selectorIlEEZNS1_11reduce_implILb1ES3_PlS7_lN6hipcub16HIPCUB_304000_NS6detail34convert_binary_result_type_wrapperINS9_3SumENS9_22TransformInputIteratorIb7NonZeroIfEPflEElEEEE10hipError_tPvRmT1_T2_T3_mT4_P12ihipStream_tbEUlT_E0_NS1_11comp_targetILNS1_3genE8ELNS1_11target_archE1030ELNS1_3gpuE2ELNS1_3repE0EEENS1_30default_config_static_selectorELNS0_4arch9wavefront6targetE1EEEvSM_: ; @_ZN7rocprim17ROCPRIM_400000_NS6detail17trampoline_kernelINS0_14default_configENS1_22reduce_config_selectorIlEEZNS1_11reduce_implILb1ES3_PlS7_lN6hipcub16HIPCUB_304000_NS6detail34convert_binary_result_type_wrapperINS9_3SumENS9_22TransformInputIteratorIb7NonZeroIfEPflEElEEEE10hipError_tPvRmT1_T2_T3_mT4_P12ihipStream_tbEUlT_E0_NS1_11comp_targetILNS1_3genE8ELNS1_11target_archE1030ELNS1_3gpuE2ELNS1_3repE0EEENS1_30default_config_static_selectorELNS0_4arch9wavefront6targetE1EEEvSM_
; %bb.0:
	.section	.rodata,"a",@progbits
	.p2align	6, 0x0
	.amdhsa_kernel _ZN7rocprim17ROCPRIM_400000_NS6detail17trampoline_kernelINS0_14default_configENS1_22reduce_config_selectorIlEEZNS1_11reduce_implILb1ES3_PlS7_lN6hipcub16HIPCUB_304000_NS6detail34convert_binary_result_type_wrapperINS9_3SumENS9_22TransformInputIteratorIb7NonZeroIfEPflEElEEEE10hipError_tPvRmT1_T2_T3_mT4_P12ihipStream_tbEUlT_E0_NS1_11comp_targetILNS1_3genE8ELNS1_11target_archE1030ELNS1_3gpuE2ELNS1_3repE0EEENS1_30default_config_static_selectorELNS0_4arch9wavefront6targetE1EEEvSM_
		.amdhsa_group_segment_fixed_size 0
		.amdhsa_private_segment_fixed_size 0
		.amdhsa_kernarg_size 64
		.amdhsa_user_sgpr_count 2
		.amdhsa_user_sgpr_dispatch_ptr 0
		.amdhsa_user_sgpr_queue_ptr 0
		.amdhsa_user_sgpr_kernarg_segment_ptr 1
		.amdhsa_user_sgpr_dispatch_id 0
		.amdhsa_user_sgpr_kernarg_preload_length 0
		.amdhsa_user_sgpr_kernarg_preload_offset 0
		.amdhsa_user_sgpr_private_segment_size 0
		.amdhsa_uses_dynamic_stack 0
		.amdhsa_enable_private_segment 0
		.amdhsa_system_sgpr_workgroup_id_x 1
		.amdhsa_system_sgpr_workgroup_id_y 0
		.amdhsa_system_sgpr_workgroup_id_z 0
		.amdhsa_system_sgpr_workgroup_info 0
		.amdhsa_system_vgpr_workitem_id 0
		.amdhsa_next_free_vgpr 1
		.amdhsa_next_free_sgpr 0
		.amdhsa_accum_offset 4
		.amdhsa_reserve_vcc 0
		.amdhsa_float_round_mode_32 0
		.amdhsa_float_round_mode_16_64 0
		.amdhsa_float_denorm_mode_32 3
		.amdhsa_float_denorm_mode_16_64 3
		.amdhsa_dx10_clamp 1
		.amdhsa_ieee_mode 1
		.amdhsa_fp16_overflow 0
		.amdhsa_tg_split 0
		.amdhsa_exception_fp_ieee_invalid_op 0
		.amdhsa_exception_fp_denorm_src 0
		.amdhsa_exception_fp_ieee_div_zero 0
		.amdhsa_exception_fp_ieee_overflow 0
		.amdhsa_exception_fp_ieee_underflow 0
		.amdhsa_exception_fp_ieee_inexact 0
		.amdhsa_exception_int_div_zero 0
	.end_amdhsa_kernel
	.section	.text._ZN7rocprim17ROCPRIM_400000_NS6detail17trampoline_kernelINS0_14default_configENS1_22reduce_config_selectorIlEEZNS1_11reduce_implILb1ES3_PlS7_lN6hipcub16HIPCUB_304000_NS6detail34convert_binary_result_type_wrapperINS9_3SumENS9_22TransformInputIteratorIb7NonZeroIfEPflEElEEEE10hipError_tPvRmT1_T2_T3_mT4_P12ihipStream_tbEUlT_E0_NS1_11comp_targetILNS1_3genE8ELNS1_11target_archE1030ELNS1_3gpuE2ELNS1_3repE0EEENS1_30default_config_static_selectorELNS0_4arch9wavefront6targetE1EEEvSM_,"axG",@progbits,_ZN7rocprim17ROCPRIM_400000_NS6detail17trampoline_kernelINS0_14default_configENS1_22reduce_config_selectorIlEEZNS1_11reduce_implILb1ES3_PlS7_lN6hipcub16HIPCUB_304000_NS6detail34convert_binary_result_type_wrapperINS9_3SumENS9_22TransformInputIteratorIb7NonZeroIfEPflEElEEEE10hipError_tPvRmT1_T2_T3_mT4_P12ihipStream_tbEUlT_E0_NS1_11comp_targetILNS1_3genE8ELNS1_11target_archE1030ELNS1_3gpuE2ELNS1_3repE0EEENS1_30default_config_static_selectorELNS0_4arch9wavefront6targetE1EEEvSM_,comdat
.Lfunc_end225:
	.size	_ZN7rocprim17ROCPRIM_400000_NS6detail17trampoline_kernelINS0_14default_configENS1_22reduce_config_selectorIlEEZNS1_11reduce_implILb1ES3_PlS7_lN6hipcub16HIPCUB_304000_NS6detail34convert_binary_result_type_wrapperINS9_3SumENS9_22TransformInputIteratorIb7NonZeroIfEPflEElEEEE10hipError_tPvRmT1_T2_T3_mT4_P12ihipStream_tbEUlT_E0_NS1_11comp_targetILNS1_3genE8ELNS1_11target_archE1030ELNS1_3gpuE2ELNS1_3repE0EEENS1_30default_config_static_selectorELNS0_4arch9wavefront6targetE1EEEvSM_, .Lfunc_end225-_ZN7rocprim17ROCPRIM_400000_NS6detail17trampoline_kernelINS0_14default_configENS1_22reduce_config_selectorIlEEZNS1_11reduce_implILb1ES3_PlS7_lN6hipcub16HIPCUB_304000_NS6detail34convert_binary_result_type_wrapperINS9_3SumENS9_22TransformInputIteratorIb7NonZeroIfEPflEElEEEE10hipError_tPvRmT1_T2_T3_mT4_P12ihipStream_tbEUlT_E0_NS1_11comp_targetILNS1_3genE8ELNS1_11target_archE1030ELNS1_3gpuE2ELNS1_3repE0EEENS1_30default_config_static_selectorELNS0_4arch9wavefront6targetE1EEEvSM_
                                        ; -- End function
	.set _ZN7rocprim17ROCPRIM_400000_NS6detail17trampoline_kernelINS0_14default_configENS1_22reduce_config_selectorIlEEZNS1_11reduce_implILb1ES3_PlS7_lN6hipcub16HIPCUB_304000_NS6detail34convert_binary_result_type_wrapperINS9_3SumENS9_22TransformInputIteratorIb7NonZeroIfEPflEElEEEE10hipError_tPvRmT1_T2_T3_mT4_P12ihipStream_tbEUlT_E0_NS1_11comp_targetILNS1_3genE8ELNS1_11target_archE1030ELNS1_3gpuE2ELNS1_3repE0EEENS1_30default_config_static_selectorELNS0_4arch9wavefront6targetE1EEEvSM_.num_vgpr, 0
	.set _ZN7rocprim17ROCPRIM_400000_NS6detail17trampoline_kernelINS0_14default_configENS1_22reduce_config_selectorIlEEZNS1_11reduce_implILb1ES3_PlS7_lN6hipcub16HIPCUB_304000_NS6detail34convert_binary_result_type_wrapperINS9_3SumENS9_22TransformInputIteratorIb7NonZeroIfEPflEElEEEE10hipError_tPvRmT1_T2_T3_mT4_P12ihipStream_tbEUlT_E0_NS1_11comp_targetILNS1_3genE8ELNS1_11target_archE1030ELNS1_3gpuE2ELNS1_3repE0EEENS1_30default_config_static_selectorELNS0_4arch9wavefront6targetE1EEEvSM_.num_agpr, 0
	.set _ZN7rocprim17ROCPRIM_400000_NS6detail17trampoline_kernelINS0_14default_configENS1_22reduce_config_selectorIlEEZNS1_11reduce_implILb1ES3_PlS7_lN6hipcub16HIPCUB_304000_NS6detail34convert_binary_result_type_wrapperINS9_3SumENS9_22TransformInputIteratorIb7NonZeroIfEPflEElEEEE10hipError_tPvRmT1_T2_T3_mT4_P12ihipStream_tbEUlT_E0_NS1_11comp_targetILNS1_3genE8ELNS1_11target_archE1030ELNS1_3gpuE2ELNS1_3repE0EEENS1_30default_config_static_selectorELNS0_4arch9wavefront6targetE1EEEvSM_.numbered_sgpr, 0
	.set _ZN7rocprim17ROCPRIM_400000_NS6detail17trampoline_kernelINS0_14default_configENS1_22reduce_config_selectorIlEEZNS1_11reduce_implILb1ES3_PlS7_lN6hipcub16HIPCUB_304000_NS6detail34convert_binary_result_type_wrapperINS9_3SumENS9_22TransformInputIteratorIb7NonZeroIfEPflEElEEEE10hipError_tPvRmT1_T2_T3_mT4_P12ihipStream_tbEUlT_E0_NS1_11comp_targetILNS1_3genE8ELNS1_11target_archE1030ELNS1_3gpuE2ELNS1_3repE0EEENS1_30default_config_static_selectorELNS0_4arch9wavefront6targetE1EEEvSM_.num_named_barrier, 0
	.set _ZN7rocprim17ROCPRIM_400000_NS6detail17trampoline_kernelINS0_14default_configENS1_22reduce_config_selectorIlEEZNS1_11reduce_implILb1ES3_PlS7_lN6hipcub16HIPCUB_304000_NS6detail34convert_binary_result_type_wrapperINS9_3SumENS9_22TransformInputIteratorIb7NonZeroIfEPflEElEEEE10hipError_tPvRmT1_T2_T3_mT4_P12ihipStream_tbEUlT_E0_NS1_11comp_targetILNS1_3genE8ELNS1_11target_archE1030ELNS1_3gpuE2ELNS1_3repE0EEENS1_30default_config_static_selectorELNS0_4arch9wavefront6targetE1EEEvSM_.private_seg_size, 0
	.set _ZN7rocprim17ROCPRIM_400000_NS6detail17trampoline_kernelINS0_14default_configENS1_22reduce_config_selectorIlEEZNS1_11reduce_implILb1ES3_PlS7_lN6hipcub16HIPCUB_304000_NS6detail34convert_binary_result_type_wrapperINS9_3SumENS9_22TransformInputIteratorIb7NonZeroIfEPflEElEEEE10hipError_tPvRmT1_T2_T3_mT4_P12ihipStream_tbEUlT_E0_NS1_11comp_targetILNS1_3genE8ELNS1_11target_archE1030ELNS1_3gpuE2ELNS1_3repE0EEENS1_30default_config_static_selectorELNS0_4arch9wavefront6targetE1EEEvSM_.uses_vcc, 0
	.set _ZN7rocprim17ROCPRIM_400000_NS6detail17trampoline_kernelINS0_14default_configENS1_22reduce_config_selectorIlEEZNS1_11reduce_implILb1ES3_PlS7_lN6hipcub16HIPCUB_304000_NS6detail34convert_binary_result_type_wrapperINS9_3SumENS9_22TransformInputIteratorIb7NonZeroIfEPflEElEEEE10hipError_tPvRmT1_T2_T3_mT4_P12ihipStream_tbEUlT_E0_NS1_11comp_targetILNS1_3genE8ELNS1_11target_archE1030ELNS1_3gpuE2ELNS1_3repE0EEENS1_30default_config_static_selectorELNS0_4arch9wavefront6targetE1EEEvSM_.uses_flat_scratch, 0
	.set _ZN7rocprim17ROCPRIM_400000_NS6detail17trampoline_kernelINS0_14default_configENS1_22reduce_config_selectorIlEEZNS1_11reduce_implILb1ES3_PlS7_lN6hipcub16HIPCUB_304000_NS6detail34convert_binary_result_type_wrapperINS9_3SumENS9_22TransformInputIteratorIb7NonZeroIfEPflEElEEEE10hipError_tPvRmT1_T2_T3_mT4_P12ihipStream_tbEUlT_E0_NS1_11comp_targetILNS1_3genE8ELNS1_11target_archE1030ELNS1_3gpuE2ELNS1_3repE0EEENS1_30default_config_static_selectorELNS0_4arch9wavefront6targetE1EEEvSM_.has_dyn_sized_stack, 0
	.set _ZN7rocprim17ROCPRIM_400000_NS6detail17trampoline_kernelINS0_14default_configENS1_22reduce_config_selectorIlEEZNS1_11reduce_implILb1ES3_PlS7_lN6hipcub16HIPCUB_304000_NS6detail34convert_binary_result_type_wrapperINS9_3SumENS9_22TransformInputIteratorIb7NonZeroIfEPflEElEEEE10hipError_tPvRmT1_T2_T3_mT4_P12ihipStream_tbEUlT_E0_NS1_11comp_targetILNS1_3genE8ELNS1_11target_archE1030ELNS1_3gpuE2ELNS1_3repE0EEENS1_30default_config_static_selectorELNS0_4arch9wavefront6targetE1EEEvSM_.has_recursion, 0
	.set _ZN7rocprim17ROCPRIM_400000_NS6detail17trampoline_kernelINS0_14default_configENS1_22reduce_config_selectorIlEEZNS1_11reduce_implILb1ES3_PlS7_lN6hipcub16HIPCUB_304000_NS6detail34convert_binary_result_type_wrapperINS9_3SumENS9_22TransformInputIteratorIb7NonZeroIfEPflEElEEEE10hipError_tPvRmT1_T2_T3_mT4_P12ihipStream_tbEUlT_E0_NS1_11comp_targetILNS1_3genE8ELNS1_11target_archE1030ELNS1_3gpuE2ELNS1_3repE0EEENS1_30default_config_static_selectorELNS0_4arch9wavefront6targetE1EEEvSM_.has_indirect_call, 0
	.section	.AMDGPU.csdata,"",@progbits
; Kernel info:
; codeLenInByte = 0
; TotalNumSgprs: 6
; NumVgprs: 0
; NumAgprs: 0
; TotalNumVgprs: 0
; ScratchSize: 0
; MemoryBound: 0
; FloatMode: 240
; IeeeMode: 1
; LDSByteSize: 0 bytes/workgroup (compile time only)
; SGPRBlocks: 0
; VGPRBlocks: 0
; NumSGPRsForWavesPerEU: 6
; NumVGPRsForWavesPerEU: 1
; AccumOffset: 4
; Occupancy: 8
; WaveLimiterHint : 0
; COMPUTE_PGM_RSRC2:SCRATCH_EN: 0
; COMPUTE_PGM_RSRC2:USER_SGPR: 2
; COMPUTE_PGM_RSRC2:TRAP_HANDLER: 0
; COMPUTE_PGM_RSRC2:TGID_X_EN: 1
; COMPUTE_PGM_RSRC2:TGID_Y_EN: 0
; COMPUTE_PGM_RSRC2:TGID_Z_EN: 0
; COMPUTE_PGM_RSRC2:TIDIG_COMP_CNT: 0
; COMPUTE_PGM_RSRC3_GFX90A:ACCUM_OFFSET: 0
; COMPUTE_PGM_RSRC3_GFX90A:TG_SPLIT: 0
	.section	.text._ZN7rocprim17ROCPRIM_400000_NS6detail17trampoline_kernelINS0_14default_configENS1_22reduce_config_selectorIlEEZNS1_11reduce_implILb1ES3_PlS7_lN6hipcub16HIPCUB_304000_NS6detail34convert_binary_result_type_wrapperINS9_3SumENS9_22TransformInputIteratorIb7NonZeroIfEPflEElEEEE10hipError_tPvRmT1_T2_T3_mT4_P12ihipStream_tbEUlT_E1_NS1_11comp_targetILNS1_3genE0ELNS1_11target_archE4294967295ELNS1_3gpuE0ELNS1_3repE0EEENS1_30default_config_static_selectorELNS0_4arch9wavefront6targetE1EEEvSM_,"axG",@progbits,_ZN7rocprim17ROCPRIM_400000_NS6detail17trampoline_kernelINS0_14default_configENS1_22reduce_config_selectorIlEEZNS1_11reduce_implILb1ES3_PlS7_lN6hipcub16HIPCUB_304000_NS6detail34convert_binary_result_type_wrapperINS9_3SumENS9_22TransformInputIteratorIb7NonZeroIfEPflEElEEEE10hipError_tPvRmT1_T2_T3_mT4_P12ihipStream_tbEUlT_E1_NS1_11comp_targetILNS1_3genE0ELNS1_11target_archE4294967295ELNS1_3gpuE0ELNS1_3repE0EEENS1_30default_config_static_selectorELNS0_4arch9wavefront6targetE1EEEvSM_,comdat
	.protected	_ZN7rocprim17ROCPRIM_400000_NS6detail17trampoline_kernelINS0_14default_configENS1_22reduce_config_selectorIlEEZNS1_11reduce_implILb1ES3_PlS7_lN6hipcub16HIPCUB_304000_NS6detail34convert_binary_result_type_wrapperINS9_3SumENS9_22TransformInputIteratorIb7NonZeroIfEPflEElEEEE10hipError_tPvRmT1_T2_T3_mT4_P12ihipStream_tbEUlT_E1_NS1_11comp_targetILNS1_3genE0ELNS1_11target_archE4294967295ELNS1_3gpuE0ELNS1_3repE0EEENS1_30default_config_static_selectorELNS0_4arch9wavefront6targetE1EEEvSM_ ; -- Begin function _ZN7rocprim17ROCPRIM_400000_NS6detail17trampoline_kernelINS0_14default_configENS1_22reduce_config_selectorIlEEZNS1_11reduce_implILb1ES3_PlS7_lN6hipcub16HIPCUB_304000_NS6detail34convert_binary_result_type_wrapperINS9_3SumENS9_22TransformInputIteratorIb7NonZeroIfEPflEElEEEE10hipError_tPvRmT1_T2_T3_mT4_P12ihipStream_tbEUlT_E1_NS1_11comp_targetILNS1_3genE0ELNS1_11target_archE4294967295ELNS1_3gpuE0ELNS1_3repE0EEENS1_30default_config_static_selectorELNS0_4arch9wavefront6targetE1EEEvSM_
	.globl	_ZN7rocprim17ROCPRIM_400000_NS6detail17trampoline_kernelINS0_14default_configENS1_22reduce_config_selectorIlEEZNS1_11reduce_implILb1ES3_PlS7_lN6hipcub16HIPCUB_304000_NS6detail34convert_binary_result_type_wrapperINS9_3SumENS9_22TransformInputIteratorIb7NonZeroIfEPflEElEEEE10hipError_tPvRmT1_T2_T3_mT4_P12ihipStream_tbEUlT_E1_NS1_11comp_targetILNS1_3genE0ELNS1_11target_archE4294967295ELNS1_3gpuE0ELNS1_3repE0EEENS1_30default_config_static_selectorELNS0_4arch9wavefront6targetE1EEEvSM_
	.p2align	8
	.type	_ZN7rocprim17ROCPRIM_400000_NS6detail17trampoline_kernelINS0_14default_configENS1_22reduce_config_selectorIlEEZNS1_11reduce_implILb1ES3_PlS7_lN6hipcub16HIPCUB_304000_NS6detail34convert_binary_result_type_wrapperINS9_3SumENS9_22TransformInputIteratorIb7NonZeroIfEPflEElEEEE10hipError_tPvRmT1_T2_T3_mT4_P12ihipStream_tbEUlT_E1_NS1_11comp_targetILNS1_3genE0ELNS1_11target_archE4294967295ELNS1_3gpuE0ELNS1_3repE0EEENS1_30default_config_static_selectorELNS0_4arch9wavefront6targetE1EEEvSM_,@function
_ZN7rocprim17ROCPRIM_400000_NS6detail17trampoline_kernelINS0_14default_configENS1_22reduce_config_selectorIlEEZNS1_11reduce_implILb1ES3_PlS7_lN6hipcub16HIPCUB_304000_NS6detail34convert_binary_result_type_wrapperINS9_3SumENS9_22TransformInputIteratorIb7NonZeroIfEPflEElEEEE10hipError_tPvRmT1_T2_T3_mT4_P12ihipStream_tbEUlT_E1_NS1_11comp_targetILNS1_3genE0ELNS1_11target_archE4294967295ELNS1_3gpuE0ELNS1_3repE0EEENS1_30default_config_static_selectorELNS0_4arch9wavefront6targetE1EEEvSM_: ; @_ZN7rocprim17ROCPRIM_400000_NS6detail17trampoline_kernelINS0_14default_configENS1_22reduce_config_selectorIlEEZNS1_11reduce_implILb1ES3_PlS7_lN6hipcub16HIPCUB_304000_NS6detail34convert_binary_result_type_wrapperINS9_3SumENS9_22TransformInputIteratorIb7NonZeroIfEPflEElEEEE10hipError_tPvRmT1_T2_T3_mT4_P12ihipStream_tbEUlT_E1_NS1_11comp_targetILNS1_3genE0ELNS1_11target_archE4294967295ELNS1_3gpuE0ELNS1_3repE0EEENS1_30default_config_static_selectorELNS0_4arch9wavefront6targetE1EEEvSM_
; %bb.0:
	s_load_dword s33, s[0:1], 0x4
	s_load_dwordx8 s[36:43], s[0:1], 0x8
	s_waitcnt lgkmcnt(0)
	s_cmp_lt_i32 s33, 4
	s_cbranch_scc1 .LBB226_10
; %bb.1:
	s_cmp_gt_i32 s33, 7
	s_cbranch_scc0 .LBB226_11
; %bb.2:
	s_cmp_gt_i32 s33, 15
	s_cbranch_scc0 .LBB226_12
; %bb.3:
	s_mov_b64 s[30:31], 0
	s_cmp_eq_u32 s33, 16
	s_mov_b64 s[0:1], 0
                                        ; implicit-def: $vgpr2_vgpr3
                                        ; implicit-def: $vgpr4_vgpr5
	s_cbranch_scc0 .LBB226_13
; %bb.4:
	s_mov_b32 s3, 0
	s_lshl_b32 s0, s2, 12
	s_mov_b32 s1, s3
	s_lshr_b64 s[4:5], s[38:39], 12
	s_lshl_b64 s[6:7], s[0:1], 3
	s_add_u32 s34, s36, s6
	s_addc_u32 s35, s37, s7
	s_cmp_lg_u64 s[4:5], s[2:3]
	s_cbranch_scc0 .LBB226_21
; %bb.5:
	v_lshlrev_b32_e32 v2, 3, v0
	v_mov_b32_e32 v3, 0
	v_lshl_add_u64 v[4:5], s[34:35], 0, v[2:3]
	global_load_dwordx2 v[6:7], v2, s[34:35]
	global_load_dwordx2 v[8:9], v2, s[34:35] offset:2048
	v_add_co_u32_e32 v10, vcc, 0x1000, v4
	v_mov_b32_e32 v38, v3
	s_nop 0
	v_addc_co_u32_e32 v11, vcc, 0, v5, vcc
	v_add_co_u32_e32 v12, vcc, 0x2000, v4
	v_mov_b32_e32 v40, v3
	s_nop 0
	v_addc_co_u32_e32 v13, vcc, 0, v5, vcc
	global_load_dwordx2 v[14:15], v[10:11], off
	global_load_dwordx2 v[16:17], v[10:11], off offset:2048
	global_load_dwordx2 v[18:19], v[12:13], off
	global_load_dwordx2 v[20:21], v[12:13], off offset:2048
	v_add_co_u32_e32 v10, vcc, 0x3000, v4
	v_mov_b32_e32 v42, v3
	s_nop 0
	v_addc_co_u32_e32 v11, vcc, 0, v5, vcc
	v_add_co_u32_e32 v12, vcc, 0x4000, v4
	v_mov_b32_e32 v44, v3
	s_nop 0
	v_addc_co_u32_e32 v13, vcc, 0, v5, vcc
	global_load_dwordx2 v[22:23], v[10:11], off
	global_load_dwordx2 v[24:25], v[10:11], off offset:2048
	global_load_dwordx2 v[26:27], v[12:13], off
	global_load_dwordx2 v[28:29], v[12:13], off offset:2048
	v_add_co_u32_e32 v10, vcc, 0x5000, v4
	v_mbcnt_lo_u32_b32 v1, -1, 0
	s_nop 0
	v_addc_co_u32_e32 v11, vcc, 0, v5, vcc
	v_add_co_u32_e32 v12, vcc, 0x6000, v4
	v_mov_b32_e32 v46, v3
	s_nop 0
	v_addc_co_u32_e32 v13, vcc, 0, v5, vcc
	global_load_dwordx2 v[30:31], v[10:11], off
	global_load_dwordx2 v[32:33], v[10:11], off offset:2048
	global_load_dwordx2 v[34:35], v[12:13], off
	global_load_dwordx2 v[36:37], v[12:13], off offset:2048
	v_add_co_u32_e32 v4, vcc, 0x7000, v4
	v_mbcnt_hi_u32_b32 v1, -1, v1
	s_nop 0
	v_addc_co_u32_e32 v5, vcc, 0, v5, vcc
	global_load_dwordx2 v[10:11], v[4:5], off
	global_load_dwordx2 v[12:13], v[4:5], off offset:2048
	v_lshlrev_b32_e32 v4, 2, v1
	v_or_b32_e32 v5, 0xfc, v4
	v_cmp_eq_u32_e32 vcc, 0, v1
	s_waitcnt vmcnt(14)
	v_lshl_add_u64 v[6:7], v[8:9], 0, v[6:7]
	s_waitcnt vmcnt(13)
	v_lshl_add_u64 v[6:7], v[6:7], 0, v[14:15]
	;; [unrolled: 2-line block ×15, first 2 shown]
	s_nop 1
	v_mov_b32_dpp v2, v6 quad_perm:[1,0,3,2] row_mask:0xf bank_mask:0xf bound_ctrl:1
	v_mov_b32_dpp v39, v7 quad_perm:[1,0,3,2] row_mask:0xf bank_mask:0xf bound_ctrl:1
	v_lshl_add_u64 v[6:7], v[6:7], 0, v[2:3]
	v_lshl_add_u64 v[8:9], v[38:39], 0, v[6:7]
	s_nop 0
	v_mov_b32_dpp v2, v6 quad_perm:[2,3,0,1] row_mask:0xf bank_mask:0xf bound_ctrl:1
	v_mov_b32_dpp v41, v9 quad_perm:[2,3,0,1] row_mask:0xf bank_mask:0xf bound_ctrl:1
	v_lshl_add_u64 v[6:7], v[8:9], 0, v[2:3]
	v_lshl_add_u64 v[8:9], v[6:7], 0, v[40:41]
	s_nop 0
	v_mov_b32_dpp v2, v6 row_ror:4 row_mask:0xf bank_mask:0xf bound_ctrl:1
	v_mov_b32_dpp v43, v9 row_ror:4 row_mask:0xf bank_mask:0xf bound_ctrl:1
	v_lshl_add_u64 v[6:7], v[8:9], 0, v[2:3]
	v_lshl_add_u64 v[8:9], v[6:7], 0, v[42:43]
	s_nop 0
	v_mov_b32_dpp v2, v6 row_ror:8 row_mask:0xf bank_mask:0xf bound_ctrl:1
	v_mov_b32_dpp v45, v9 row_ror:8 row_mask:0xf bank_mask:0xf bound_ctrl:1
	v_lshl_add_u64 v[6:7], v[8:9], 0, v[2:3]
	v_lshl_add_u64 v[8:9], v[6:7], 0, v[44:45]
	s_nop 0
	v_mov_b32_dpp v2, v6 row_bcast:15 row_mask:0xf bank_mask:0xf bound_ctrl:1
	v_mov_b32_dpp v47, v9 row_bcast:15 row_mask:0xf bank_mask:0xf bound_ctrl:1
	v_lshl_add_u64 v[6:7], v[8:9], 0, v[2:3]
	v_lshl_add_u64 v[8:9], v[6:7], 0, v[46:47]
	s_nop 0
	v_mov_b32_dpp v2, v6 row_bcast:31 row_mask:0xf bank_mask:0xf bound_ctrl:1
	v_lshl_add_u64 v[2:3], v[8:9], 0, v[2:3]
	ds_bpermute_b32 v2, v5, v2
	s_nop 0
	v_add_u32_dpp v3, v9, v3 row_bcast:31 row_mask:0xf bank_mask:0xf bound_ctrl:1
	ds_bpermute_b32 v3, v5, v3
	s_and_saveexec_b64 s[4:5], vcc
	s_cbranch_execz .LBB226_7
; %bb.6:
	v_lshrrev_b32_e32 v5, 3, v0
	v_and_b32_e32 v5, 24, v5
	s_waitcnt lgkmcnt(0)
	ds_write_b64 v5, v[2:3]
.LBB226_7:
	s_or_b64 exec, exec, s[4:5]
	v_cmp_gt_u32_e32 vcc, 64, v0
	s_waitcnt lgkmcnt(0)
	s_barrier
	s_and_saveexec_b64 s[4:5], vcc
	s_cbranch_execz .LBB226_9
; %bb.8:
	v_and_b32_e32 v5, 3, v1
	v_lshlrev_b32_e32 v2, 3, v5
	ds_read_b64 v[2:3], v2
	v_cmp_ne_u32_e32 vcc, 3, v5
	v_mov_b32_e32 v8, 0
	v_mov_b32_e32 v7, v8
	v_addc_co_u32_e32 v1, vcc, 0, v1, vcc
	v_lshlrev_b32_e32 v1, 2, v1
	s_waitcnt lgkmcnt(0)
	ds_bpermute_b32 v6, v1, v2
	ds_bpermute_b32 v9, v1, v3
	v_or_b32_e32 v1, 8, v4
	s_waitcnt lgkmcnt(1)
	v_lshl_add_u64 v[2:3], v[2:3], 0, v[6:7]
	s_waitcnt lgkmcnt(0)
	v_lshl_add_u64 v[4:5], v[8:9], 0, v[2:3]
	ds_bpermute_b32 v2, v1, v2
	ds_bpermute_b32 v9, v1, v5
	v_mov_b32_e32 v3, v8
	s_waitcnt lgkmcnt(1)
	v_lshl_add_u64 v[2:3], v[4:5], 0, v[2:3]
	s_waitcnt lgkmcnt(0)
	v_lshl_add_u64 v[2:3], v[2:3], 0, v[8:9]
.LBB226_9:
	s_or_b64 exec, exec, s[4:5]
	s_mov_b64 s[4:5], 0
	s_branch .LBB226_22
.LBB226_10:
	s_mov_b64 s[0:1], 0
                                        ; implicit-def: $vgpr2_vgpr3
                                        ; implicit-def: $vgpr4_vgpr5
	s_cbranch_execnz .LBB226_121
	s_branch .LBB226_166
.LBB226_11:
	s_mov_b64 s[0:1], 0
                                        ; implicit-def: $vgpr2_vgpr3
                                        ; implicit-def: $vgpr4_vgpr5
	s_cbranch_execnz .LBB226_94
	s_branch .LBB226_120
.LBB226_12:
	s_mov_b64 s[30:31], -1
	s_mov_b64 s[0:1], 0
                                        ; implicit-def: $vgpr2_vgpr3
                                        ; implicit-def: $vgpr4_vgpr5
.LBB226_13:
	s_and_b64 vcc, exec, s[30:31]
	s_cbranch_vccz .LBB226_93
.LBB226_14:
	s_cmp_eq_u32 s33, 8
                                        ; implicit-def: $vgpr2_vgpr3
                                        ; implicit-def: $vgpr4_vgpr5
	s_cbranch_scc0 .LBB226_93
; %bb.15:
	s_mov_b32 s3, 0
	s_lshl_b32 s0, s2, 11
	s_mov_b32 s1, s3
	s_lshr_b64 s[4:5], s[38:39], 11
	s_lshl_b64 s[6:7], s[0:1], 3
	s_add_u32 s14, s36, s6
	s_addc_u32 s15, s37, s7
	s_cmp_lg_u64 s[4:5], s[2:3]
	s_cbranch_scc0 .LBB226_65
; %bb.16:
	v_lshlrev_b32_e32 v2, 3, v0
	v_mov_b32_e32 v3, 0
	v_lshl_add_u64 v[4:5], s[14:15], 0, v[2:3]
	s_waitcnt lgkmcnt(0)
	global_load_dwordx2 v[6:7], v2, s[14:15]
	global_load_dwordx2 v[8:9], v2, s[14:15] offset:2048
	v_add_co_u32_e32 v10, vcc, 0x1000, v4
	v_mov_b32_e32 v22, v3
	s_nop 0
	v_addc_co_u32_e32 v11, vcc, 0, v5, vcc
	v_add_co_u32_e32 v12, vcc, 0x2000, v4
	v_mov_b32_e32 v24, v3
	s_nop 0
	v_addc_co_u32_e32 v13, vcc, 0, v5, vcc
	global_load_dwordx2 v[14:15], v[10:11], off
	global_load_dwordx2 v[16:17], v[10:11], off offset:2048
	global_load_dwordx2 v[18:19], v[12:13], off
	global_load_dwordx2 v[20:21], v[12:13], off offset:2048
	v_add_co_u32_e32 v4, vcc, 0x3000, v4
	v_mov_b32_e32 v26, v3
	s_nop 0
	v_addc_co_u32_e32 v5, vcc, 0, v5, vcc
	global_load_dwordx2 v[10:11], v[4:5], off
	global_load_dwordx2 v[12:13], v[4:5], off offset:2048
	v_mov_b32_e32 v28, v3
	v_mbcnt_lo_u32_b32 v1, -1, 0
	v_mov_b32_e32 v30, v3
	v_mbcnt_hi_u32_b32 v1, -1, v1
	v_lshlrev_b32_e32 v4, 2, v1
	v_or_b32_e32 v5, 0xfc, v4
	v_cmp_eq_u32_e32 vcc, 0, v1
	s_waitcnt vmcnt(6)
	v_lshl_add_u64 v[6:7], v[8:9], 0, v[6:7]
	s_waitcnt vmcnt(5)
	v_lshl_add_u64 v[6:7], v[6:7], 0, v[14:15]
	;; [unrolled: 2-line block ×7, first 2 shown]
	s_nop 1
	v_mov_b32_dpp v2, v6 quad_perm:[1,0,3,2] row_mask:0xf bank_mask:0xf bound_ctrl:1
	v_mov_b32_dpp v23, v7 quad_perm:[1,0,3,2] row_mask:0xf bank_mask:0xf bound_ctrl:1
	v_lshl_add_u64 v[6:7], v[6:7], 0, v[2:3]
	v_lshl_add_u64 v[8:9], v[22:23], 0, v[6:7]
	s_nop 0
	v_mov_b32_dpp v2, v6 quad_perm:[2,3,0,1] row_mask:0xf bank_mask:0xf bound_ctrl:1
	v_mov_b32_dpp v25, v9 quad_perm:[2,3,0,1] row_mask:0xf bank_mask:0xf bound_ctrl:1
	v_lshl_add_u64 v[6:7], v[8:9], 0, v[2:3]
	v_lshl_add_u64 v[8:9], v[6:7], 0, v[24:25]
	s_nop 0
	v_mov_b32_dpp v2, v6 row_ror:4 row_mask:0xf bank_mask:0xf bound_ctrl:1
	v_mov_b32_dpp v27, v9 row_ror:4 row_mask:0xf bank_mask:0xf bound_ctrl:1
	v_lshl_add_u64 v[6:7], v[8:9], 0, v[2:3]
	v_lshl_add_u64 v[8:9], v[6:7], 0, v[26:27]
	s_nop 0
	v_mov_b32_dpp v2, v6 row_ror:8 row_mask:0xf bank_mask:0xf bound_ctrl:1
	v_mov_b32_dpp v29, v9 row_ror:8 row_mask:0xf bank_mask:0xf bound_ctrl:1
	v_lshl_add_u64 v[6:7], v[8:9], 0, v[2:3]
	v_lshl_add_u64 v[8:9], v[6:7], 0, v[28:29]
	s_nop 0
	v_mov_b32_dpp v2, v6 row_bcast:15 row_mask:0xf bank_mask:0xf bound_ctrl:1
	v_mov_b32_dpp v31, v9 row_bcast:15 row_mask:0xf bank_mask:0xf bound_ctrl:1
	v_lshl_add_u64 v[6:7], v[8:9], 0, v[2:3]
	v_lshl_add_u64 v[8:9], v[6:7], 0, v[30:31]
	s_nop 0
	v_mov_b32_dpp v2, v6 row_bcast:31 row_mask:0xf bank_mask:0xf bound_ctrl:1
	v_lshl_add_u64 v[2:3], v[8:9], 0, v[2:3]
	ds_bpermute_b32 v2, v5, v2
	s_nop 0
	v_add_u32_dpp v3, v9, v3 row_bcast:31 row_mask:0xf bank_mask:0xf bound_ctrl:1
	ds_bpermute_b32 v3, v5, v3
	s_and_saveexec_b64 s[4:5], vcc
	s_cbranch_execz .LBB226_18
; %bb.17:
	v_lshrrev_b32_e32 v5, 3, v0
	v_and_b32_e32 v5, 24, v5
	s_waitcnt lgkmcnt(0)
	ds_write_b64 v5, v[2:3] offset:128
.LBB226_18:
	s_or_b64 exec, exec, s[4:5]
	v_cmp_gt_u32_e32 vcc, 64, v0
	s_waitcnt lgkmcnt(0)
	s_barrier
	s_and_saveexec_b64 s[4:5], vcc
	s_cbranch_execz .LBB226_20
; %bb.19:
	v_and_b32_e32 v5, 3, v1
	v_lshlrev_b32_e32 v2, 3, v5
	ds_read_b64 v[2:3], v2 offset:128
	v_cmp_ne_u32_e32 vcc, 3, v5
	v_mov_b32_e32 v8, 0
	v_mov_b32_e32 v7, v8
	v_addc_co_u32_e32 v1, vcc, 0, v1, vcc
	v_lshlrev_b32_e32 v1, 2, v1
	s_waitcnt lgkmcnt(0)
	ds_bpermute_b32 v6, v1, v2
	ds_bpermute_b32 v9, v1, v3
	v_or_b32_e32 v1, 8, v4
	s_waitcnt lgkmcnt(1)
	v_lshl_add_u64 v[2:3], v[2:3], 0, v[6:7]
	s_waitcnt lgkmcnt(0)
	v_lshl_add_u64 v[4:5], v[8:9], 0, v[2:3]
	ds_bpermute_b32 v2, v1, v2
	ds_bpermute_b32 v9, v1, v5
	v_mov_b32_e32 v3, v8
	s_waitcnt lgkmcnt(1)
	v_lshl_add_u64 v[2:3], v[4:5], 0, v[2:3]
	s_waitcnt lgkmcnt(0)
	v_lshl_add_u64 v[2:3], v[2:3], 0, v[8:9]
.LBB226_20:
	s_or_b64 exec, exec, s[4:5]
	s_mov_b64 s[4:5], 0
	s_branch .LBB226_66
.LBB226_21:
	s_mov_b64 s[4:5], -1
                                        ; implicit-def: $vgpr2_vgpr3
.LBB226_22:
	s_and_b64 vcc, exec, s[4:5]
	s_cbranch_vccz .LBB226_64
; %bb.23:
	s_sub_i32 s46, s38, s0
	v_mov_b32_e32 v2, 0
	v_cmp_gt_u32_e32 vcc, s46, v0
	v_mov_b32_e32 v3, v2
	v_mov_b32_e32 v4, v2
	;; [unrolled: 1-line block ×31, first 2 shown]
	s_and_saveexec_b64 s[0:1], vcc
	s_cbranch_execz .LBB226_25
; %bb.24:
	v_lshlrev_b32_e32 v1, 3, v0
	global_load_dwordx2 v[4:5], v1, s[34:35]
	v_mov_b32_e32 v6, v2
	v_mov_b32_e32 v7, v2
	;; [unrolled: 1-line block ×30, first 2 shown]
	s_waitcnt vmcnt(0)
	v_mov_b64_e32 v[2:3], v[4:5]
	v_mov_b64_e32 v[4:5], v[6:7]
	;; [unrolled: 1-line block ×16, first 2 shown]
.LBB226_25:
	s_or_b64 exec, exec, s[0:1]
	v_or_b32_e32 v1, 0x100, v0
	v_cmp_gt_u32_e32 vcc, s46, v1
	s_and_saveexec_b64 s[0:1], vcc
	s_cbranch_execz .LBB226_27
; %bb.26:
	v_lshlrev_b32_e32 v1, 3, v0
	global_load_dwordx2 v[4:5], v1, s[34:35] offset:2048
.LBB226_27:
	s_or_b64 exec, exec, s[0:1]
	v_or_b32_e32 v1, 0x200, v0
	v_cmp_gt_u32_e64 s[0:1], s46, v1
	s_and_saveexec_b64 s[4:5], s[0:1]
	s_cbranch_execz .LBB226_29
; %bb.28:
	v_lshlrev_b32_e32 v1, 3, v1
	global_load_dwordx2 v[6:7], v1, s[34:35]
.LBB226_29:
	s_or_b64 exec, exec, s[4:5]
	v_or_b32_e32 v1, 0x300, v0
	v_cmp_gt_u32_e64 s[4:5], s46, v1
	s_and_saveexec_b64 s[6:7], s[4:5]
	s_cbranch_execz .LBB226_31
; %bb.30:
	v_lshlrev_b32_e32 v1, 3, v1
	global_load_dwordx2 v[8:9], v1, s[34:35]
.LBB226_31:
	;; [unrolled: 9-line block ×14, first 2 shown]
	s_or_b64 exec, exec, s[44:45]
	s_waitcnt vmcnt(0)
	v_cndmask_b32_e32 v5, 0, v5, vcc
	v_cndmask_b32_e32 v4, 0, v4, vcc
	v_lshl_add_u64 v[2:3], v[4:5], 0, v[2:3]
	v_cndmask_b32_e64 v5, 0, v7, s[0:1]
	v_cndmask_b32_e64 v4, 0, v6, s[0:1]
	v_lshl_add_u64 v[2:3], v[2:3], 0, v[4:5]
	v_cndmask_b32_e64 v5, 0, v9, s[4:5]
	v_cndmask_b32_e64 v4, 0, v8, s[4:5]
	;; [unrolled: 3-line block ×12, first 2 shown]
	v_mbcnt_lo_u32_b32 v1, -1, 0
	v_lshl_add_u64 v[2:3], v[2:3], 0, v[4:5]
	v_cndmask_b32_e64 v5, 0, v31, s[26:27]
	v_cndmask_b32_e64 v4, 0, v30, s[26:27]
	v_mbcnt_hi_u32_b32 v1, -1, v1
	v_lshl_add_u64 v[2:3], v[2:3], 0, v[4:5]
	v_cndmask_b32_e64 v5, 0, v33, s[28:29]
	v_cndmask_b32_e64 v4, 0, v32, s[28:29]
	v_and_b32_e32 v9, 63, v1
	v_lshl_add_u64 v[2:3], v[2:3], 0, v[4:5]
	s_min_u32 s6, s46, 0x100
	v_and_b32_e32 v4, 0xc0, v0
	v_cmp_ne_u32_e32 vcc, 63, v9
	v_sub_u32_e64 v8, s6, v4 clamp
	v_mov_b32_e32 v6, 0
	v_addc_co_u32_e32 v4, vcc, 0, v1, vcc
	v_lshlrev_b32_e32 v5, 2, v4
	ds_bpermute_b32 v4, v5, v2
	ds_bpermute_b32 v7, v5, v3
	v_add_u32_e32 v10, 1, v9
	v_mov_b32_e32 v5, v6
	v_cmp_lt_u32_e64 s[0:1], v10, v8
	s_waitcnt lgkmcnt(1)
	v_lshl_add_u64 v[4:5], v[2:3], 0, v[4:5]
	v_cmp_gt_u32_e32 vcc, 62, v9
	s_waitcnt lgkmcnt(0)
	v_lshl_add_u64 v[6:7], v[4:5], 0, v[6:7]
	v_cndmask_b32_e64 v12, v2, v4, s[0:1]
	v_cndmask_b32_e64 v4, 0, 2, vcc
	v_cndmask_b32_e64 v5, v3, v7, s[0:1]
	v_add_lshl_u32 v4, v4, v1, 2
	ds_bpermute_b32 v10, v4, v12
	ds_bpermute_b32 v11, v4, v5
	v_cndmask_b32_e64 v4, v2, v6, s[0:1]
	v_add_u32_e32 v13, 2, v9
	v_cmp_lt_u32_e32 vcc, v13, v8
	v_cmp_gt_u32_e64 s[4:5], 60, v9
	s_waitcnt lgkmcnt(0)
	v_lshl_add_u64 v[6:7], v[10:11], 0, v[4:5]
	v_cndmask_b32_e32 v5, v5, v7, vcc
	v_cndmask_b32_e64 v7, 0, 4, s[4:5]
	v_cndmask_b32_e32 v12, v12, v6, vcc
	v_add_lshl_u32 v7, v7, v1, 2
	ds_bpermute_b32 v10, v7, v12
	ds_bpermute_b32 v11, v7, v5
	v_cndmask_b32_e32 v4, v4, v6, vcc
	v_add_u32_e32 v13, 4, v9
	v_cmp_lt_u32_e32 vcc, v13, v8
	v_cmp_gt_u32_e64 s[4:5], 56, v9
	s_waitcnt lgkmcnt(0)
	v_lshl_add_u64 v[6:7], v[10:11], 0, v[4:5]
	v_cndmask_b32_e32 v5, v5, v7, vcc
	v_cndmask_b32_e64 v7, 0, 8, s[4:5]
	v_cndmask_b32_e32 v12, v12, v6, vcc
	v_add_lshl_u32 v7, v7, v1, 2
	ds_bpermute_b32 v10, v7, v12
	ds_bpermute_b32 v11, v7, v5
	v_cndmask_b32_e32 v4, v4, v6, vcc
	v_add_u32_e32 v13, 8, v9
	v_cmp_lt_u32_e32 vcc, v13, v8
	v_cmp_gt_u32_e64 s[4:5], 48, v9
	s_waitcnt lgkmcnt(0)
	v_lshl_add_u64 v[6:7], v[10:11], 0, v[4:5]
	v_cndmask_b32_e32 v5, v5, v7, vcc
	v_cndmask_b32_e64 v7, 0, 16, s[4:5]
	v_cndmask_b32_e32 v12, v12, v6, vcc
	v_add_lshl_u32 v7, v7, v1, 2
	ds_bpermute_b32 v10, v7, v12
	ds_bpermute_b32 v11, v7, v5
	v_cndmask_b32_e32 v4, v4, v6, vcc
	v_add_u32_e32 v13, 16, v9
	v_cmp_lt_u32_e32 vcc, v13, v8
	s_waitcnt lgkmcnt(0)
	v_lshl_add_u64 v[6:7], v[10:11], 0, v[4:5]
	v_lshlrev_b32_e32 v10, 2, v1
	v_cndmask_b32_e32 v13, v5, v7, vcc
	v_cndmask_b32_e32 v11, v12, v6, vcc
	v_or_b32_e32 v12, 0x80, v10
	ds_bpermute_b32 v11, v12, v11
	ds_bpermute_b32 v12, v12, v13
	s_and_saveexec_b64 s[4:5], s[0:1]
	s_cbranch_execz .LBB226_57
; %bb.56:
	v_add_u32_e32 v9, 32, v9
	v_cndmask_b32_e32 v3, v5, v7, vcc
	v_cndmask_b32_e32 v2, v4, v6, vcc
	v_cmp_lt_u32_e32 vcc, v9, v8
	s_waitcnt lgkmcnt(0)
	s_nop 0
	v_cndmask_b32_e32 v5, 0, v12, vcc
	v_cndmask_b32_e32 v4, 0, v11, vcc
	v_lshl_add_u64 v[2:3], v[2:3], 0, v[4:5]
.LBB226_57:
	s_or_b64 exec, exec, s[4:5]
	v_cmp_eq_u32_e32 vcc, 0, v1
	s_and_saveexec_b64 s[0:1], vcc
; %bb.58:
	v_lshrrev_b32_e32 v4, 3, v0
	v_and_b32_e32 v4, 24, v4
	ds_write_b64 v4, v[2:3] offset:160
; %bb.59:
	s_or_b64 exec, exec, s[0:1]
	v_cmp_gt_u32_e32 vcc, 4, v0
	s_waitcnt lgkmcnt(0)
	s_barrier
	s_and_saveexec_b64 s[0:1], vcc
	s_cbranch_execz .LBB226_63
; %bb.60:
	v_lshlrev_b32_e32 v2, 3, v1
	ds_read_b64 v[2:3], v2 offset:160
	v_and_b32_e32 v6, 3, v1
	v_cmp_ne_u32_e32 vcc, 3, v6
	v_mov_b32_e32 v8, 0
	s_add_i32 s6, s6, 63
	v_addc_co_u32_e32 v1, vcc, 0, v1, vcc
	v_lshlrev_b32_e32 v1, 2, v1
	s_waitcnt lgkmcnt(0)
	ds_bpermute_b32 v4, v1, v2
	ds_bpermute_b32 v9, v1, v3
	v_mov_b32_e32 v5, v8
	s_lshr_b32 s6, s6, 6
	v_add_u32_e32 v1, 1, v6
	s_waitcnt lgkmcnt(1)
	v_lshl_add_u64 v[12:13], v[2:3], 0, v[4:5]
	s_waitcnt lgkmcnt(0)
	v_lshl_add_u64 v[4:5], v[8:9], 0, v[12:13]
	v_cmp_gt_u32_e32 vcc, s6, v1
	v_or_b32_e32 v8, 8, v10
	s_nop 0
	v_cndmask_b32_e32 v7, v3, v5, vcc
	v_cndmask_b32_e32 v1, v2, v12, vcc
	ds_bpermute_b32 v1, v8, v1
	ds_bpermute_b32 v7, v8, v7
	s_and_saveexec_b64 s[4:5], vcc
	s_cbranch_execz .LBB226_62
; %bb.61:
	v_add_u32_e32 v2, 2, v6
	v_cmp_gt_u32_e32 vcc, s6, v2
	s_waitcnt lgkmcnt(0)
	s_nop 0
	v_cndmask_b32_e32 v3, 0, v7, vcc
	v_cndmask_b32_e32 v2, 0, v1, vcc
	v_lshl_add_u64 v[2:3], v[2:3], 0, v[4:5]
.LBB226_62:
	s_or_b64 exec, exec, s[4:5]
.LBB226_63:
	s_or_b64 exec, exec, s[0:1]
.LBB226_64:
	v_cmp_eq_u32_e64 s[0:1], 0, v0
	v_mov_b64_e32 v[4:5], s[2:3]
	s_and_b64 vcc, exec, s[30:31]
	s_cbranch_vccnz .LBB226_14
	s_branch .LBB226_93
.LBB226_65:
	s_mov_b64 s[4:5], -1
                                        ; implicit-def: $vgpr2_vgpr3
.LBB226_66:
	s_and_b64 vcc, exec, s[4:5]
	s_cbranch_vccz .LBB226_92
; %bb.67:
	s_sub_i32 s18, s38, s0
	v_mov_b32_e32 v2, 0
	v_cmp_gt_u32_e32 vcc, s18, v0
	v_mov_b32_e32 v3, v2
	v_mov_b32_e32 v4, v2
	;; [unrolled: 1-line block ×4, first 2 shown]
	s_waitcnt lgkmcnt(0)
	v_mov_b32_e32 v7, v2
	v_mov_b32_e32 v8, v2
	;; [unrolled: 1-line block ×11, first 2 shown]
	s_and_saveexec_b64 s[0:1], vcc
	s_cbranch_execz .LBB226_69
; %bb.68:
	v_lshlrev_b32_e32 v1, 3, v0
	global_load_dwordx2 v[4:5], v1, s[14:15]
	v_mov_b32_e32 v6, v2
	v_mov_b32_e32 v7, v2
	;; [unrolled: 1-line block ×14, first 2 shown]
	s_waitcnt vmcnt(0)
	v_mov_b64_e32 v[2:3], v[4:5]
	v_mov_b64_e32 v[4:5], v[6:7]
	v_mov_b64_e32 v[6:7], v[8:9]
	v_mov_b64_e32 v[8:9], v[10:11]
	v_mov_b64_e32 v[10:11], v[12:13]
	v_mov_b64_e32 v[12:13], v[14:15]
	v_mov_b64_e32 v[14:15], v[16:17]
	v_mov_b64_e32 v[16:17], v[18:19]
.LBB226_69:
	s_or_b64 exec, exec, s[0:1]
	v_or_b32_e32 v1, 0x100, v0
	v_cmp_gt_u32_e32 vcc, s18, v1
	s_and_saveexec_b64 s[0:1], vcc
	s_cbranch_execz .LBB226_71
; %bb.70:
	v_lshlrev_b32_e32 v1, 3, v0
	global_load_dwordx2 v[4:5], v1, s[14:15] offset:2048
.LBB226_71:
	s_or_b64 exec, exec, s[0:1]
	v_or_b32_e32 v1, 0x200, v0
	v_cmp_gt_u32_e64 s[0:1], s18, v1
	s_and_saveexec_b64 s[4:5], s[0:1]
	s_cbranch_execz .LBB226_73
; %bb.72:
	v_lshlrev_b32_e32 v1, 3, v1
	global_load_dwordx2 v[6:7], v1, s[14:15]
.LBB226_73:
	s_or_b64 exec, exec, s[4:5]
	v_or_b32_e32 v1, 0x300, v0
	v_cmp_gt_u32_e64 s[4:5], s18, v1
	s_and_saveexec_b64 s[6:7], s[4:5]
	s_cbranch_execz .LBB226_75
; %bb.74:
	v_lshlrev_b32_e32 v1, 3, v1
	global_load_dwordx2 v[8:9], v1, s[14:15]
.LBB226_75:
	;; [unrolled: 9-line block ×6, first 2 shown]
	s_or_b64 exec, exec, s[16:17]
	s_waitcnt vmcnt(0)
	v_cndmask_b32_e32 v5, 0, v5, vcc
	v_cndmask_b32_e32 v4, 0, v4, vcc
	v_lshl_add_u64 v[2:3], v[4:5], 0, v[2:3]
	v_cndmask_b32_e64 v5, 0, v7, s[0:1]
	v_cndmask_b32_e64 v4, 0, v6, s[0:1]
	v_lshl_add_u64 v[2:3], v[2:3], 0, v[4:5]
	v_cndmask_b32_e64 v5, 0, v9, s[4:5]
	v_cndmask_b32_e64 v4, 0, v8, s[4:5]
	;; [unrolled: 3-line block ×4, first 2 shown]
	v_mbcnt_lo_u32_b32 v1, -1, 0
	v_lshl_add_u64 v[2:3], v[2:3], 0, v[4:5]
	v_cndmask_b32_e64 v5, 0, v15, s[10:11]
	v_cndmask_b32_e64 v4, 0, v14, s[10:11]
	v_mbcnt_hi_u32_b32 v1, -1, v1
	v_lshl_add_u64 v[2:3], v[2:3], 0, v[4:5]
	v_cndmask_b32_e64 v5, 0, v17, s[12:13]
	v_cndmask_b32_e64 v4, 0, v16, s[12:13]
	v_and_b32_e32 v9, 63, v1
	v_lshl_add_u64 v[2:3], v[2:3], 0, v[4:5]
	s_min_u32 s6, s18, 0x100
	v_and_b32_e32 v4, 0xc0, v0
	v_cmp_ne_u32_e32 vcc, 63, v9
	v_sub_u32_e64 v8, s6, v4 clamp
	v_mov_b32_e32 v6, 0
	v_addc_co_u32_e32 v4, vcc, 0, v1, vcc
	v_lshlrev_b32_e32 v5, 2, v4
	ds_bpermute_b32 v4, v5, v2
	ds_bpermute_b32 v7, v5, v3
	v_add_u32_e32 v10, 1, v9
	v_mov_b32_e32 v5, v6
	v_cmp_lt_u32_e64 s[0:1], v10, v8
	s_waitcnt lgkmcnt(1)
	v_lshl_add_u64 v[4:5], v[2:3], 0, v[4:5]
	v_cmp_gt_u32_e32 vcc, 62, v9
	s_waitcnt lgkmcnt(0)
	v_lshl_add_u64 v[6:7], v[4:5], 0, v[6:7]
	v_cndmask_b32_e64 v12, v2, v4, s[0:1]
	v_cndmask_b32_e64 v4, 0, 2, vcc
	v_cndmask_b32_e64 v5, v3, v7, s[0:1]
	v_add_lshl_u32 v4, v4, v1, 2
	ds_bpermute_b32 v10, v4, v12
	ds_bpermute_b32 v11, v4, v5
	v_cndmask_b32_e64 v4, v2, v6, s[0:1]
	v_add_u32_e32 v13, 2, v9
	v_cmp_lt_u32_e32 vcc, v13, v8
	v_cmp_gt_u32_e64 s[4:5], 60, v9
	s_waitcnt lgkmcnt(0)
	v_lshl_add_u64 v[6:7], v[10:11], 0, v[4:5]
	v_cndmask_b32_e32 v5, v5, v7, vcc
	v_cndmask_b32_e64 v7, 0, 4, s[4:5]
	v_cndmask_b32_e32 v12, v12, v6, vcc
	v_add_lshl_u32 v7, v7, v1, 2
	ds_bpermute_b32 v10, v7, v12
	ds_bpermute_b32 v11, v7, v5
	v_cndmask_b32_e32 v4, v4, v6, vcc
	v_add_u32_e32 v13, 4, v9
	v_cmp_lt_u32_e32 vcc, v13, v8
	v_cmp_gt_u32_e64 s[4:5], 56, v9
	s_waitcnt lgkmcnt(0)
	v_lshl_add_u64 v[6:7], v[10:11], 0, v[4:5]
	v_cndmask_b32_e32 v5, v5, v7, vcc
	v_cndmask_b32_e64 v7, 0, 8, s[4:5]
	v_cndmask_b32_e32 v12, v12, v6, vcc
	v_add_lshl_u32 v7, v7, v1, 2
	ds_bpermute_b32 v10, v7, v12
	ds_bpermute_b32 v11, v7, v5
	v_cndmask_b32_e32 v4, v4, v6, vcc
	;; [unrolled: 12-line block ×3, first 2 shown]
	v_add_u32_e32 v13, 16, v9
	v_cmp_lt_u32_e32 vcc, v13, v8
	s_waitcnt lgkmcnt(0)
	v_lshl_add_u64 v[6:7], v[10:11], 0, v[4:5]
	v_lshlrev_b32_e32 v10, 2, v1
	v_cndmask_b32_e32 v13, v5, v7, vcc
	v_cndmask_b32_e32 v11, v12, v6, vcc
	v_or_b32_e32 v12, 0x80, v10
	ds_bpermute_b32 v11, v12, v11
	ds_bpermute_b32 v12, v12, v13
	s_and_saveexec_b64 s[4:5], s[0:1]
	s_cbranch_execz .LBB226_85
; %bb.84:
	v_add_u32_e32 v9, 32, v9
	v_cndmask_b32_e32 v3, v5, v7, vcc
	v_cndmask_b32_e32 v2, v4, v6, vcc
	v_cmp_lt_u32_e32 vcc, v9, v8
	s_waitcnt lgkmcnt(0)
	s_nop 0
	v_cndmask_b32_e32 v5, 0, v12, vcc
	v_cndmask_b32_e32 v4, 0, v11, vcc
	v_lshl_add_u64 v[2:3], v[2:3], 0, v[4:5]
.LBB226_85:
	s_or_b64 exec, exec, s[4:5]
	v_cmp_eq_u32_e32 vcc, 0, v1
	s_and_saveexec_b64 s[0:1], vcc
; %bb.86:
	v_lshrrev_b32_e32 v4, 3, v0
	v_and_b32_e32 v4, 24, v4
	ds_write_b64 v4, v[2:3] offset:160
; %bb.87:
	s_or_b64 exec, exec, s[0:1]
	v_cmp_gt_u32_e32 vcc, 4, v0
	s_waitcnt lgkmcnt(0)
	s_barrier
	s_and_saveexec_b64 s[0:1], vcc
	s_cbranch_execz .LBB226_91
; %bb.88:
	v_lshlrev_b32_e32 v2, 3, v1
	ds_read_b64 v[2:3], v2 offset:160
	v_and_b32_e32 v6, 3, v1
	v_cmp_ne_u32_e32 vcc, 3, v6
	v_mov_b32_e32 v8, 0
	s_add_i32 s6, s6, 63
	v_addc_co_u32_e32 v1, vcc, 0, v1, vcc
	v_lshlrev_b32_e32 v1, 2, v1
	s_waitcnt lgkmcnt(0)
	ds_bpermute_b32 v4, v1, v2
	ds_bpermute_b32 v9, v1, v3
	v_mov_b32_e32 v5, v8
	s_lshr_b32 s6, s6, 6
	v_add_u32_e32 v1, 1, v6
	s_waitcnt lgkmcnt(1)
	v_lshl_add_u64 v[12:13], v[2:3], 0, v[4:5]
	s_waitcnt lgkmcnt(0)
	v_lshl_add_u64 v[4:5], v[8:9], 0, v[12:13]
	v_cmp_gt_u32_e32 vcc, s6, v1
	v_or_b32_e32 v8, 8, v10
	s_nop 0
	v_cndmask_b32_e32 v7, v3, v5, vcc
	v_cndmask_b32_e32 v1, v2, v12, vcc
	ds_bpermute_b32 v1, v8, v1
	ds_bpermute_b32 v7, v8, v7
	s_and_saveexec_b64 s[4:5], vcc
	s_cbranch_execz .LBB226_90
; %bb.89:
	v_add_u32_e32 v2, 2, v6
	v_cmp_gt_u32_e32 vcc, s6, v2
	s_waitcnt lgkmcnt(0)
	s_nop 0
	v_cndmask_b32_e32 v3, 0, v7, vcc
	v_cndmask_b32_e32 v2, 0, v1, vcc
	v_lshl_add_u64 v[2:3], v[2:3], 0, v[4:5]
.LBB226_90:
	s_or_b64 exec, exec, s[4:5]
.LBB226_91:
	s_or_b64 exec, exec, s[0:1]
.LBB226_92:
	v_cmp_eq_u32_e64 s[0:1], 0, v0
	v_mov_b64_e32 v[4:5], s[2:3]
.LBB226_93:
	s_branch .LBB226_120
.LBB226_94:
	s_cmp_eq_u32 s33, 4
                                        ; implicit-def: $vgpr2_vgpr3
                                        ; implicit-def: $vgpr4_vgpr5
	s_cbranch_scc0 .LBB226_120
; %bb.95:
	s_mov_b32 s3, 0
	s_lshl_b32 s0, s2, 10
	s_mov_b32 s1, s3
	s_lshr_b64 s[4:5], s[38:39], 10
	s_lshl_b64 s[6:7], s[0:1], 3
	s_add_u32 s6, s36, s6
	s_addc_u32 s7, s37, s7
	s_cmp_lg_u64 s[4:5], s[2:3]
	s_cbranch_scc0 .LBB226_101
; %bb.96:
	v_lshlrev_b32_e32 v2, 3, v0
	v_mov_b32_e32 v3, 0
	v_lshl_add_u64 v[4:5], s[6:7], 0, v[2:3]
	v_add_co_u32_e32 v4, vcc, 0x1000, v4
	v_mov_b32_e32 v14, v3
	s_nop 0
	v_addc_co_u32_e32 v5, vcc, 0, v5, vcc
	s_waitcnt lgkmcnt(0)
	global_load_dwordx2 v[6:7], v2, s[6:7]
	global_load_dwordx2 v[8:9], v2, s[6:7] offset:2048
	global_load_dwordx2 v[10:11], v[4:5], off
	global_load_dwordx2 v[12:13], v[4:5], off offset:2048
	v_mov_b32_e32 v16, v3
	v_mov_b32_e32 v18, v3
	;; [unrolled: 1-line block ×3, first 2 shown]
	v_mbcnt_lo_u32_b32 v1, -1, 0
	v_mov_b32_e32 v22, v3
	v_mbcnt_hi_u32_b32 v1, -1, v1
	v_lshlrev_b32_e32 v4, 2, v1
	v_or_b32_e32 v5, 0xfc, v4
	v_cmp_eq_u32_e32 vcc, 0, v1
	s_waitcnt vmcnt(2)
	v_lshl_add_u64 v[6:7], v[8:9], 0, v[6:7]
	s_waitcnt vmcnt(1)
	v_lshl_add_u64 v[6:7], v[6:7], 0, v[10:11]
	;; [unrolled: 2-line block ×3, first 2 shown]
	s_nop 1
	v_mov_b32_dpp v2, v6 quad_perm:[1,0,3,2] row_mask:0xf bank_mask:0xf bound_ctrl:1
	v_mov_b32_dpp v15, v7 quad_perm:[1,0,3,2] row_mask:0xf bank_mask:0xf bound_ctrl:1
	v_lshl_add_u64 v[6:7], v[6:7], 0, v[2:3]
	v_lshl_add_u64 v[8:9], v[14:15], 0, v[6:7]
	s_nop 0
	v_mov_b32_dpp v2, v6 quad_perm:[2,3,0,1] row_mask:0xf bank_mask:0xf bound_ctrl:1
	v_mov_b32_dpp v17, v9 quad_perm:[2,3,0,1] row_mask:0xf bank_mask:0xf bound_ctrl:1
	v_lshl_add_u64 v[6:7], v[8:9], 0, v[2:3]
	v_lshl_add_u64 v[8:9], v[6:7], 0, v[16:17]
	s_nop 0
	v_mov_b32_dpp v2, v6 row_ror:4 row_mask:0xf bank_mask:0xf bound_ctrl:1
	v_mov_b32_dpp v19, v9 row_ror:4 row_mask:0xf bank_mask:0xf bound_ctrl:1
	v_lshl_add_u64 v[6:7], v[8:9], 0, v[2:3]
	v_lshl_add_u64 v[8:9], v[6:7], 0, v[18:19]
	s_nop 0
	v_mov_b32_dpp v2, v6 row_ror:8 row_mask:0xf bank_mask:0xf bound_ctrl:1
	v_mov_b32_dpp v21, v9 row_ror:8 row_mask:0xf bank_mask:0xf bound_ctrl:1
	v_lshl_add_u64 v[6:7], v[8:9], 0, v[2:3]
	v_lshl_add_u64 v[8:9], v[6:7], 0, v[20:21]
	s_nop 0
	v_mov_b32_dpp v2, v6 row_bcast:15 row_mask:0xf bank_mask:0xf bound_ctrl:1
	v_mov_b32_dpp v23, v9 row_bcast:15 row_mask:0xf bank_mask:0xf bound_ctrl:1
	v_lshl_add_u64 v[6:7], v[8:9], 0, v[2:3]
	v_lshl_add_u64 v[8:9], v[6:7], 0, v[22:23]
	s_nop 0
	v_mov_b32_dpp v2, v6 row_bcast:31 row_mask:0xf bank_mask:0xf bound_ctrl:1
	v_lshl_add_u64 v[2:3], v[8:9], 0, v[2:3]
	ds_bpermute_b32 v2, v5, v2
	s_nop 0
	v_add_u32_dpp v3, v9, v3 row_bcast:31 row_mask:0xf bank_mask:0xf bound_ctrl:1
	ds_bpermute_b32 v3, v5, v3
	s_and_saveexec_b64 s[4:5], vcc
	s_cbranch_execz .LBB226_98
; %bb.97:
	v_lshrrev_b32_e32 v5, 3, v0
	v_and_b32_e32 v5, 24, v5
	s_waitcnt lgkmcnt(0)
	ds_write_b64 v5, v[2:3] offset:96
.LBB226_98:
	s_or_b64 exec, exec, s[4:5]
	v_cmp_gt_u32_e32 vcc, 64, v0
	s_waitcnt lgkmcnt(0)
	s_barrier
	s_and_saveexec_b64 s[4:5], vcc
	s_cbranch_execz .LBB226_100
; %bb.99:
	v_and_b32_e32 v5, 3, v1
	v_lshlrev_b32_e32 v2, 3, v5
	ds_read_b64 v[2:3], v2 offset:96
	v_cmp_ne_u32_e32 vcc, 3, v5
	v_mov_b32_e32 v8, 0
	v_mov_b32_e32 v7, v8
	v_addc_co_u32_e32 v1, vcc, 0, v1, vcc
	v_lshlrev_b32_e32 v1, 2, v1
	s_waitcnt lgkmcnt(0)
	ds_bpermute_b32 v6, v1, v2
	ds_bpermute_b32 v9, v1, v3
	v_or_b32_e32 v1, 8, v4
	s_waitcnt lgkmcnt(1)
	v_lshl_add_u64 v[2:3], v[2:3], 0, v[6:7]
	s_waitcnt lgkmcnt(0)
	v_lshl_add_u64 v[4:5], v[8:9], 0, v[2:3]
	ds_bpermute_b32 v2, v1, v2
	ds_bpermute_b32 v9, v1, v5
	v_mov_b32_e32 v3, v8
	s_waitcnt lgkmcnt(1)
	v_lshl_add_u64 v[2:3], v[4:5], 0, v[2:3]
	s_waitcnt lgkmcnt(0)
	v_lshl_add_u64 v[2:3], v[2:3], 0, v[8:9]
.LBB226_100:
	s_or_b64 exec, exec, s[4:5]
	s_branch .LBB226_119
.LBB226_101:
                                        ; implicit-def: $vgpr2_vgpr3
	s_cbranch_execz .LBB226_119
; %bb.102:
	s_sub_i32 s10, s38, s0
	v_mov_b32_e32 v2, 0
	v_cmp_gt_u32_e32 vcc, s10, v0
	v_mov_b32_e32 v3, v2
	v_mov_b32_e32 v4, v2
	v_mov_b32_e32 v5, v2
	v_mov_b32_e32 v6, v2
	s_waitcnt lgkmcnt(0)
	v_mov_b32_e32 v7, v2
	v_mov_b32_e32 v8, v2
	;; [unrolled: 1-line block ×3, first 2 shown]
	s_and_saveexec_b64 s[0:1], vcc
	s_cbranch_execz .LBB226_104
; %bb.103:
	v_lshlrev_b32_e32 v1, 3, v0
	global_load_dwordx2 v[4:5], v1, s[6:7]
	v_mov_b32_e32 v6, v2
	v_mov_b32_e32 v7, v2
	;; [unrolled: 1-line block ×6, first 2 shown]
	s_waitcnt vmcnt(0)
	v_mov_b64_e32 v[2:3], v[4:5]
	v_mov_b64_e32 v[4:5], v[6:7]
	;; [unrolled: 1-line block ×4, first 2 shown]
.LBB226_104:
	s_or_b64 exec, exec, s[0:1]
	v_or_b32_e32 v1, 0x100, v0
	v_cmp_gt_u32_e32 vcc, s10, v1
	s_and_saveexec_b64 s[0:1], vcc
	s_cbranch_execz .LBB226_106
; %bb.105:
	v_lshlrev_b32_e32 v1, 3, v0
	global_load_dwordx2 v[4:5], v1, s[6:7] offset:2048
.LBB226_106:
	s_or_b64 exec, exec, s[0:1]
	v_or_b32_e32 v1, 0x200, v0
	v_cmp_gt_u32_e64 s[0:1], s10, v1
	s_and_saveexec_b64 s[4:5], s[0:1]
	s_cbranch_execz .LBB226_108
; %bb.107:
	v_lshlrev_b32_e32 v1, 3, v1
	global_load_dwordx2 v[6:7], v1, s[6:7]
.LBB226_108:
	s_or_b64 exec, exec, s[4:5]
	v_or_b32_e32 v1, 0x300, v0
	v_cmp_gt_u32_e64 s[4:5], s10, v1
	s_and_saveexec_b64 s[8:9], s[4:5]
	s_cbranch_execz .LBB226_110
; %bb.109:
	v_lshlrev_b32_e32 v1, 3, v1
	global_load_dwordx2 v[8:9], v1, s[6:7]
.LBB226_110:
	s_or_b64 exec, exec, s[8:9]
	s_waitcnt vmcnt(0)
	v_cndmask_b32_e32 v5, 0, v5, vcc
	v_cndmask_b32_e32 v4, 0, v4, vcc
	v_mbcnt_lo_u32_b32 v1, -1, 0
	v_lshl_add_u64 v[2:3], v[4:5], 0, v[2:3]
	v_cndmask_b32_e64 v5, 0, v7, s[0:1]
	v_cndmask_b32_e64 v4, 0, v6, s[0:1]
	v_mbcnt_hi_u32_b32 v1, -1, v1
	v_lshl_add_u64 v[2:3], v[2:3], 0, v[4:5]
	v_cndmask_b32_e64 v5, 0, v9, s[4:5]
	v_cndmask_b32_e64 v4, 0, v8, s[4:5]
	v_and_b32_e32 v9, 63, v1
	v_lshl_add_u64 v[2:3], v[2:3], 0, v[4:5]
	s_min_u32 s6, s10, 0x100
	v_and_b32_e32 v4, 0xc0, v0
	v_cmp_ne_u32_e32 vcc, 63, v9
	v_sub_u32_e64 v8, s6, v4 clamp
	v_mov_b32_e32 v6, 0
	v_addc_co_u32_e32 v4, vcc, 0, v1, vcc
	v_lshlrev_b32_e32 v5, 2, v4
	ds_bpermute_b32 v4, v5, v2
	ds_bpermute_b32 v7, v5, v3
	v_add_u32_e32 v10, 1, v9
	v_mov_b32_e32 v5, v6
	v_cmp_lt_u32_e64 s[0:1], v10, v8
	s_waitcnt lgkmcnt(1)
	v_lshl_add_u64 v[4:5], v[2:3], 0, v[4:5]
	v_cmp_gt_u32_e32 vcc, 62, v9
	s_waitcnt lgkmcnt(0)
	v_lshl_add_u64 v[6:7], v[6:7], 0, v[4:5]
	v_cndmask_b32_e64 v12, v2, v4, s[0:1]
	v_cndmask_b32_e64 v4, 0, 2, vcc
	v_cndmask_b32_e64 v5, v3, v7, s[0:1]
	v_add_lshl_u32 v4, v4, v1, 2
	ds_bpermute_b32 v10, v4, v12
	ds_bpermute_b32 v11, v4, v5
	v_cndmask_b32_e64 v4, v2, v6, s[0:1]
	v_add_u32_e32 v13, 2, v9
	v_cmp_lt_u32_e32 vcc, v13, v8
	v_cmp_gt_u32_e64 s[4:5], 60, v9
	s_waitcnt lgkmcnt(0)
	v_lshl_add_u64 v[6:7], v[10:11], 0, v[4:5]
	v_cndmask_b32_e32 v5, v5, v7, vcc
	v_cndmask_b32_e64 v7, 0, 4, s[4:5]
	v_cndmask_b32_e32 v12, v12, v6, vcc
	v_add_lshl_u32 v7, v7, v1, 2
	ds_bpermute_b32 v10, v7, v12
	ds_bpermute_b32 v11, v7, v5
	v_cndmask_b32_e32 v4, v4, v6, vcc
	v_add_u32_e32 v13, 4, v9
	v_cmp_lt_u32_e32 vcc, v13, v8
	v_cmp_gt_u32_e64 s[4:5], 56, v9
	s_waitcnt lgkmcnt(0)
	v_lshl_add_u64 v[6:7], v[10:11], 0, v[4:5]
	v_cndmask_b32_e32 v5, v5, v7, vcc
	v_cndmask_b32_e64 v7, 0, 8, s[4:5]
	v_cndmask_b32_e32 v12, v12, v6, vcc
	v_add_lshl_u32 v7, v7, v1, 2
	ds_bpermute_b32 v10, v7, v12
	ds_bpermute_b32 v11, v7, v5
	v_cndmask_b32_e32 v4, v4, v6, vcc
	;; [unrolled: 12-line block ×3, first 2 shown]
	v_add_u32_e32 v13, 16, v9
	v_cmp_lt_u32_e32 vcc, v13, v8
	s_waitcnt lgkmcnt(0)
	v_lshl_add_u64 v[6:7], v[10:11], 0, v[4:5]
	v_lshlrev_b32_e32 v10, 2, v1
	v_cndmask_b32_e32 v13, v5, v7, vcc
	v_cndmask_b32_e32 v11, v12, v6, vcc
	v_or_b32_e32 v12, 0x80, v10
	ds_bpermute_b32 v11, v12, v11
	ds_bpermute_b32 v12, v12, v13
	s_and_saveexec_b64 s[4:5], s[0:1]
	s_cbranch_execz .LBB226_112
; %bb.111:
	v_add_u32_e32 v9, 32, v9
	v_cndmask_b32_e32 v3, v5, v7, vcc
	v_cndmask_b32_e32 v2, v4, v6, vcc
	v_cmp_lt_u32_e32 vcc, v9, v8
	s_waitcnt lgkmcnt(0)
	s_nop 0
	v_cndmask_b32_e32 v5, 0, v12, vcc
	v_cndmask_b32_e32 v4, 0, v11, vcc
	v_lshl_add_u64 v[2:3], v[4:5], 0, v[2:3]
.LBB226_112:
	s_or_b64 exec, exec, s[4:5]
	v_cmp_eq_u32_e32 vcc, 0, v1
	s_and_saveexec_b64 s[0:1], vcc
; %bb.113:
	v_lshrrev_b32_e32 v4, 3, v0
	v_and_b32_e32 v4, 24, v4
	ds_write_b64 v4, v[2:3] offset:160
; %bb.114:
	s_or_b64 exec, exec, s[0:1]
	v_cmp_gt_u32_e32 vcc, 4, v0
	s_waitcnt lgkmcnt(0)
	s_barrier
	s_and_saveexec_b64 s[0:1], vcc
	s_cbranch_execz .LBB226_118
; %bb.115:
	v_lshlrev_b32_e32 v2, 3, v1
	ds_read_b64 v[2:3], v2 offset:160
	v_and_b32_e32 v6, 3, v1
	v_cmp_ne_u32_e32 vcc, 3, v6
	v_mov_b32_e32 v8, 0
	s_add_i32 s6, s6, 63
	v_addc_co_u32_e32 v1, vcc, 0, v1, vcc
	v_lshlrev_b32_e32 v1, 2, v1
	s_waitcnt lgkmcnt(0)
	ds_bpermute_b32 v4, v1, v2
	ds_bpermute_b32 v9, v1, v3
	v_mov_b32_e32 v5, v8
	s_lshr_b32 s6, s6, 6
	v_add_u32_e32 v1, 1, v6
	s_waitcnt lgkmcnt(1)
	v_lshl_add_u64 v[12:13], v[2:3], 0, v[4:5]
	s_waitcnt lgkmcnt(0)
	v_lshl_add_u64 v[4:5], v[8:9], 0, v[12:13]
	v_cmp_gt_u32_e32 vcc, s6, v1
	v_or_b32_e32 v8, 8, v10
	s_nop 0
	v_cndmask_b32_e32 v7, v3, v5, vcc
	v_cndmask_b32_e32 v1, v2, v12, vcc
	ds_bpermute_b32 v1, v8, v1
	ds_bpermute_b32 v7, v8, v7
	s_and_saveexec_b64 s[4:5], vcc
	s_cbranch_execz .LBB226_117
; %bb.116:
	v_add_u32_e32 v2, 2, v6
	v_cmp_gt_u32_e32 vcc, s6, v2
	s_waitcnt lgkmcnt(0)
	s_nop 0
	v_cndmask_b32_e32 v3, 0, v7, vcc
	v_cndmask_b32_e32 v2, 0, v1, vcc
	v_lshl_add_u64 v[2:3], v[2:3], 0, v[4:5]
.LBB226_117:
	s_or_b64 exec, exec, s[4:5]
.LBB226_118:
	s_or_b64 exec, exec, s[0:1]
.LBB226_119:
	v_cmp_eq_u32_e64 s[0:1], 0, v0
	v_mov_b64_e32 v[4:5], s[2:3]
.LBB226_120:
	s_branch .LBB226_166
.LBB226_121:
	s_cmp_gt_i32 s33, 1
	s_cbranch_scc0 .LBB226_129
; %bb.122:
	s_cmp_eq_u32 s33, 2
                                        ; implicit-def: $vgpr2_vgpr3
                                        ; implicit-def: $vgpr4_vgpr5
	s_cbranch_scc0 .LBB226_130
; %bb.123:
	s_mov_b32 s3, 0
	s_lshl_b32 s4, s2, 9
	s_mov_b32 s5, s3
	s_lshr_b64 s[6:7], s[38:39], 9
	s_lshl_b64 s[0:1], s[4:5], 3
	s_add_u32 s0, s36, s0
	s_addc_u32 s1, s37, s1
	s_cmp_lg_u64 s[6:7], s[2:3]
	s_cbranch_scc0 .LBB226_131
; %bb.124:
	s_waitcnt lgkmcnt(1)
	v_lshlrev_b32_e32 v1, 3, v0
	global_load_dwordx2 v[2:3], v1, s[0:1]
	s_waitcnt lgkmcnt(0)
	global_load_dwordx2 v[6:7], v1, s[0:1] offset:2048
	v_mov_b32_e32 v8, 0
	v_mov_b32_e32 v11, v8
	;; [unrolled: 1-line block ×6, first 2 shown]
	v_mbcnt_lo_u32_b32 v1, -1, 0
	v_mbcnt_hi_u32_b32 v1, -1, v1
	v_mov_b32_e32 v21, v8
	v_lshlrev_b32_e32 v4, 2, v1
	v_or_b32_e32 v5, 0xfc, v4
	v_cmp_eq_u32_e32 vcc, 0, v1
	s_waitcnt vmcnt(0)
	v_lshl_add_u64 v[2:3], v[6:7], 0, v[2:3]
	s_nop 1
	v_mov_b32_dpp v10, v2 quad_perm:[1,0,3,2] row_mask:0xf bank_mask:0xf bound_ctrl:1
	v_mov_b32_dpp v9, v3 quad_perm:[1,0,3,2] row_mask:0xf bank_mask:0xf bound_ctrl:1
	v_lshl_add_u64 v[2:3], v[2:3], 0, v[10:11]
	v_lshl_add_u64 v[6:7], v[8:9], 0, v[2:3]
	s_nop 0
	v_mov_b32_dpp v12, v2 quad_perm:[2,3,0,1] row_mask:0xf bank_mask:0xf bound_ctrl:1
	v_mov_b32_dpp v9, v7 quad_perm:[2,3,0,1] row_mask:0xf bank_mask:0xf bound_ctrl:1
	v_lshl_add_u64 v[2:3], v[6:7], 0, v[12:13]
	v_lshl_add_u64 v[6:7], v[2:3], 0, v[8:9]
	s_nop 0
	v_mov_b32_dpp v14, v2 row_ror:4 row_mask:0xf bank_mask:0xf bound_ctrl:1
	v_mov_b32_dpp v9, v7 row_ror:4 row_mask:0xf bank_mask:0xf bound_ctrl:1
	v_lshl_add_u64 v[2:3], v[6:7], 0, v[14:15]
	v_lshl_add_u64 v[6:7], v[2:3], 0, v[8:9]
	s_nop 0
	v_mov_b32_dpp v16, v2 row_ror:8 row_mask:0xf bank_mask:0xf bound_ctrl:1
	v_mov_b32_dpp v9, v7 row_ror:8 row_mask:0xf bank_mask:0xf bound_ctrl:1
	v_lshl_add_u64 v[2:3], v[6:7], 0, v[16:17]
	v_lshl_add_u64 v[6:7], v[2:3], 0, v[8:9]
	s_nop 0
	v_mov_b32_dpp v18, v2 row_bcast:15 row_mask:0xf bank_mask:0xf bound_ctrl:1
	v_mov_b32_dpp v9, v7 row_bcast:15 row_mask:0xf bank_mask:0xf bound_ctrl:1
	v_lshl_add_u64 v[2:3], v[6:7], 0, v[18:19]
	v_lshl_add_u64 v[6:7], v[2:3], 0, v[8:9]
	s_nop 0
	v_mov_b32_dpp v20, v2 row_bcast:31 row_mask:0xf bank_mask:0xf bound_ctrl:1
	v_lshl_add_u64 v[2:3], v[6:7], 0, v[20:21]
	ds_bpermute_b32 v2, v5, v2
	s_nop 0
	v_add_u32_dpp v3, v7, v3 row_bcast:31 row_mask:0xf bank_mask:0xf bound_ctrl:1
	ds_bpermute_b32 v3, v5, v3
	s_and_saveexec_b64 s[6:7], vcc
	s_cbranch_execz .LBB226_126
; %bb.125:
	v_lshrrev_b32_e32 v5, 3, v0
	v_and_b32_e32 v5, 24, v5
	s_waitcnt lgkmcnt(0)
	ds_write_b64 v5, v[2:3] offset:64
.LBB226_126:
	s_or_b64 exec, exec, s[6:7]
	v_cmp_gt_u32_e32 vcc, 64, v0
	s_waitcnt lgkmcnt(0)
	s_barrier
	s_and_saveexec_b64 s[6:7], vcc
	s_cbranch_execz .LBB226_128
; %bb.127:
	v_and_b32_e32 v5, 3, v1
	v_lshlrev_b32_e32 v2, 3, v5
	ds_read_b64 v[2:3], v2 offset:64
	v_cmp_ne_u32_e32 vcc, 3, v5
	v_mov_b32_e32 v8, 0
	v_mov_b32_e32 v7, v8
	v_addc_co_u32_e32 v1, vcc, 0, v1, vcc
	v_lshlrev_b32_e32 v1, 2, v1
	s_waitcnt lgkmcnt(0)
	ds_bpermute_b32 v6, v1, v2
	ds_bpermute_b32 v9, v1, v3
	v_or_b32_e32 v1, 8, v4
	s_waitcnt lgkmcnt(1)
	v_lshl_add_u64 v[2:3], v[2:3], 0, v[6:7]
	s_waitcnt lgkmcnt(0)
	v_lshl_add_u64 v[4:5], v[8:9], 0, v[2:3]
	ds_bpermute_b32 v2, v1, v2
	ds_bpermute_b32 v9, v1, v5
	v_mov_b32_e32 v3, v8
	s_waitcnt lgkmcnt(1)
	v_lshl_add_u64 v[2:3], v[4:5], 0, v[2:3]
	s_waitcnt lgkmcnt(0)
	v_lshl_add_u64 v[2:3], v[2:3], 0, v[8:9]
.LBB226_128:
	s_or_b64 exec, exec, s[6:7]
	s_branch .LBB226_145
.LBB226_129:
                                        ; implicit-def: $vgpr2_vgpr3
                                        ; implicit-def: $vgpr4_vgpr5
	s_cbranch_execnz .LBB226_146
	s_branch .LBB226_166
.LBB226_130:
	s_branch .LBB226_166
.LBB226_131:
                                        ; implicit-def: $vgpr2_vgpr3
	s_cbranch_execz .LBB226_145
; %bb.132:
	s_sub_i32 s6, s38, s4
	v_mov_b32_e32 v2, 0
	v_cmp_gt_u32_e32 vcc, s6, v0
	v_mov_b32_e32 v3, v2
	v_mov_b32_e32 v4, v2
	;; [unrolled: 1-line block ×3, first 2 shown]
	s_and_saveexec_b64 s[4:5], vcc
	s_cbranch_execz .LBB226_134
; %bb.133:
	s_waitcnt lgkmcnt(1)
	v_lshlrev_b32_e32 v1, 3, v0
	global_load_dwordx2 v[4:5], v1, s[0:1]
	v_mov_b32_e32 v6, v2
	s_waitcnt lgkmcnt(0)
	v_mov_b32_e32 v7, v2
	s_waitcnt vmcnt(0)
	v_mov_b64_e32 v[2:3], v[4:5]
	v_mov_b64_e32 v[4:5], v[6:7]
.LBB226_134:
	s_or_b64 exec, exec, s[4:5]
	s_waitcnt lgkmcnt(1)
	v_or_b32_e32 v1, 0x100, v0
	v_cmp_gt_u32_e32 vcc, s6, v1
	s_and_saveexec_b64 s[4:5], vcc
	s_cbranch_execz .LBB226_136
; %bb.135:
	v_lshlrev_b32_e32 v1, 3, v0
	global_load_dwordx2 v[4:5], v1, s[0:1] offset:2048
.LBB226_136:
	s_or_b64 exec, exec, s[4:5]
	v_mbcnt_lo_u32_b32 v1, -1, 0
	v_mbcnt_hi_u32_b32 v1, -1, v1
	s_waitcnt vmcnt(0)
	v_cndmask_b32_e32 v5, 0, v5, vcc
	v_cndmask_b32_e32 v4, 0, v4, vcc
	v_and_b32_e32 v9, 63, v1
	v_lshl_add_u64 v[2:3], v[4:5], 0, v[2:3]
	s_min_u32 s6, s6, 0x100
	v_and_b32_e32 v4, 0xc0, v0
	v_cmp_ne_u32_e32 vcc, 63, v9
	v_sub_u32_e64 v8, s6, v4 clamp
	v_mov_b32_e32 v6, 0
	v_addc_co_u32_e32 v4, vcc, 0, v1, vcc
	v_lshlrev_b32_e32 v5, 2, v4
	ds_bpermute_b32 v4, v5, v2
	s_waitcnt lgkmcnt(1)
	ds_bpermute_b32 v7, v5, v3
	v_add_u32_e32 v10, 1, v9
	v_mov_b32_e32 v5, v6
	v_cmp_lt_u32_e64 s[0:1], v10, v8
	s_waitcnt lgkmcnt(1)
	v_lshl_add_u64 v[4:5], v[2:3], 0, v[4:5]
	v_cmp_gt_u32_e32 vcc, 62, v9
	s_waitcnt lgkmcnt(0)
	v_lshl_add_u64 v[6:7], v[6:7], 0, v[4:5]
	v_cndmask_b32_e64 v12, v2, v4, s[0:1]
	v_cndmask_b32_e64 v4, 0, 2, vcc
	v_cndmask_b32_e64 v5, v3, v7, s[0:1]
	v_add_lshl_u32 v4, v4, v1, 2
	ds_bpermute_b32 v10, v4, v12
	ds_bpermute_b32 v11, v4, v5
	v_cndmask_b32_e64 v4, v2, v6, s[0:1]
	v_add_u32_e32 v13, 2, v9
	v_cmp_lt_u32_e32 vcc, v13, v8
	v_cmp_gt_u32_e64 s[4:5], 60, v9
	s_waitcnt lgkmcnt(0)
	v_lshl_add_u64 v[6:7], v[10:11], 0, v[4:5]
	v_cndmask_b32_e32 v5, v5, v7, vcc
	v_cndmask_b32_e64 v7, 0, 4, s[4:5]
	v_cndmask_b32_e32 v12, v12, v6, vcc
	v_add_lshl_u32 v7, v7, v1, 2
	ds_bpermute_b32 v10, v7, v12
	ds_bpermute_b32 v11, v7, v5
	v_cndmask_b32_e32 v4, v4, v6, vcc
	v_add_u32_e32 v13, 4, v9
	v_cmp_lt_u32_e32 vcc, v13, v8
	v_cmp_gt_u32_e64 s[4:5], 56, v9
	s_waitcnt lgkmcnt(0)
	v_lshl_add_u64 v[6:7], v[10:11], 0, v[4:5]
	v_cndmask_b32_e32 v5, v5, v7, vcc
	v_cndmask_b32_e64 v7, 0, 8, s[4:5]
	v_cndmask_b32_e32 v12, v12, v6, vcc
	v_add_lshl_u32 v7, v7, v1, 2
	ds_bpermute_b32 v10, v7, v12
	ds_bpermute_b32 v11, v7, v5
	v_cndmask_b32_e32 v4, v4, v6, vcc
	;; [unrolled: 12-line block ×3, first 2 shown]
	v_add_u32_e32 v13, 16, v9
	v_cmp_lt_u32_e32 vcc, v13, v8
	s_waitcnt lgkmcnt(0)
	v_lshl_add_u64 v[6:7], v[10:11], 0, v[4:5]
	v_lshlrev_b32_e32 v10, 2, v1
	v_cndmask_b32_e32 v13, v5, v7, vcc
	v_cndmask_b32_e32 v11, v12, v6, vcc
	v_or_b32_e32 v12, 0x80, v10
	ds_bpermute_b32 v11, v12, v11
	ds_bpermute_b32 v12, v12, v13
	s_and_saveexec_b64 s[4:5], s[0:1]
	s_cbranch_execz .LBB226_138
; %bb.137:
	v_add_u32_e32 v9, 32, v9
	v_cndmask_b32_e32 v3, v5, v7, vcc
	v_cndmask_b32_e32 v2, v4, v6, vcc
	v_cmp_lt_u32_e32 vcc, v9, v8
	s_waitcnt lgkmcnt(0)
	s_nop 0
	v_cndmask_b32_e32 v5, 0, v12, vcc
	v_cndmask_b32_e32 v4, 0, v11, vcc
	v_lshl_add_u64 v[2:3], v[4:5], 0, v[2:3]
.LBB226_138:
	s_or_b64 exec, exec, s[4:5]
	v_cmp_eq_u32_e32 vcc, 0, v1
	s_and_saveexec_b64 s[0:1], vcc
; %bb.139:
	v_lshrrev_b32_e32 v4, 3, v0
	v_and_b32_e32 v4, 24, v4
	ds_write_b64 v4, v[2:3] offset:160
; %bb.140:
	s_or_b64 exec, exec, s[0:1]
	v_cmp_gt_u32_e32 vcc, 4, v0
	s_waitcnt lgkmcnt(0)
	s_barrier
	s_and_saveexec_b64 s[0:1], vcc
	s_cbranch_execz .LBB226_144
; %bb.141:
	v_lshlrev_b32_e32 v2, 3, v1
	ds_read_b64 v[2:3], v2 offset:160
	v_and_b32_e32 v6, 3, v1
	v_cmp_ne_u32_e32 vcc, 3, v6
	v_mov_b32_e32 v8, 0
	s_add_i32 s6, s6, 63
	v_addc_co_u32_e32 v1, vcc, 0, v1, vcc
	v_lshlrev_b32_e32 v1, 2, v1
	s_waitcnt lgkmcnt(0)
	ds_bpermute_b32 v4, v1, v2
	ds_bpermute_b32 v9, v1, v3
	v_mov_b32_e32 v5, v8
	s_lshr_b32 s6, s6, 6
	v_add_u32_e32 v1, 1, v6
	s_waitcnt lgkmcnt(1)
	v_lshl_add_u64 v[12:13], v[2:3], 0, v[4:5]
	s_waitcnt lgkmcnt(0)
	v_lshl_add_u64 v[4:5], v[8:9], 0, v[12:13]
	v_cmp_gt_u32_e32 vcc, s6, v1
	v_or_b32_e32 v8, 8, v10
	s_nop 0
	v_cndmask_b32_e32 v7, v3, v5, vcc
	v_cndmask_b32_e32 v1, v2, v12, vcc
	ds_bpermute_b32 v1, v8, v1
	ds_bpermute_b32 v7, v8, v7
	s_and_saveexec_b64 s[4:5], vcc
	s_cbranch_execz .LBB226_143
; %bb.142:
	v_add_u32_e32 v2, 2, v6
	v_cmp_gt_u32_e32 vcc, s6, v2
	s_waitcnt lgkmcnt(0)
	s_nop 0
	v_cndmask_b32_e32 v3, 0, v7, vcc
	v_cndmask_b32_e32 v2, 0, v1, vcc
	v_lshl_add_u64 v[2:3], v[2:3], 0, v[4:5]
.LBB226_143:
	s_or_b64 exec, exec, s[4:5]
.LBB226_144:
	s_or_b64 exec, exec, s[0:1]
.LBB226_145:
	v_cmp_eq_u32_e64 s[0:1], 0, v0
	v_mov_b64_e32 v[4:5], s[2:3]
	s_branch .LBB226_166
.LBB226_146:
	s_cmp_eq_u32 s33, 1
                                        ; implicit-def: $vgpr2_vgpr3
                                        ; implicit-def: $vgpr4_vgpr5
	s_cbranch_scc0 .LBB226_166
; %bb.147:
	s_mov_b32 s1, 0
	s_lshl_b32 s0, s2, 8
	s_mov_b32 s3, s1
	s_lshr_b64 s[4:5], s[38:39], 8
	s_cmp_lg_u64 s[4:5], s[2:3]
	s_waitcnt lgkmcnt(1)
	v_mbcnt_lo_u32_b32 v1, -1, 0
	s_cbranch_scc0 .LBB226_153
; %bb.148:
	s_lshl_b64 s[4:5], s[0:1], 3
	s_add_u32 s4, s36, s4
	s_addc_u32 s5, s37, s5
	v_lshlrev_b32_e32 v2, 3, v0
	global_load_dwordx2 v[2:3], v2, s[4:5]
	v_mov_b32_e32 v6, 0
	v_mov_b32_e32 v9, v6
	v_mov_b32_e32 v11, v6
	v_mov_b32_e32 v13, v6
	v_mov_b32_e32 v15, v6
	v_mov_b32_e32 v17, v6
	v_mbcnt_hi_u32_b32 v4, -1, v1
	v_mov_b32_e32 v19, v6
	v_lshlrev_b32_e32 v5, 2, v4
	v_or_b32_e32 v20, 0xfc, v5
	v_cmp_eq_u32_e32 vcc, 0, v4
	s_waitcnt vmcnt(0)
	v_mov_b32_dpp v8, v2 quad_perm:[1,0,3,2] row_mask:0xf bank_mask:0xf bound_ctrl:1
	s_waitcnt lgkmcnt(0)
	v_mov_b32_dpp v7, v3 quad_perm:[1,0,3,2] row_mask:0xf bank_mask:0xf bound_ctrl:1
	v_lshl_add_u64 v[2:3], v[2:3], 0, v[8:9]
	v_lshl_add_u64 v[8:9], v[6:7], 0, v[2:3]
	s_nop 0
	v_mov_b32_dpp v10, v2 quad_perm:[2,3,0,1] row_mask:0xf bank_mask:0xf bound_ctrl:1
	v_mov_b32_dpp v7, v9 quad_perm:[2,3,0,1] row_mask:0xf bank_mask:0xf bound_ctrl:1
	v_lshl_add_u64 v[2:3], v[8:9], 0, v[10:11]
	v_lshl_add_u64 v[8:9], v[2:3], 0, v[6:7]
	s_nop 0
	v_mov_b32_dpp v12, v2 row_ror:4 row_mask:0xf bank_mask:0xf bound_ctrl:1
	v_mov_b32_dpp v7, v9 row_ror:4 row_mask:0xf bank_mask:0xf bound_ctrl:1
	v_lshl_add_u64 v[2:3], v[8:9], 0, v[12:13]
	v_lshl_add_u64 v[8:9], v[2:3], 0, v[6:7]
	s_nop 0
	v_mov_b32_dpp v14, v2 row_ror:8 row_mask:0xf bank_mask:0xf bound_ctrl:1
	v_mov_b32_dpp v7, v9 row_ror:8 row_mask:0xf bank_mask:0xf bound_ctrl:1
	v_lshl_add_u64 v[2:3], v[8:9], 0, v[14:15]
	v_lshl_add_u64 v[8:9], v[2:3], 0, v[6:7]
	s_nop 0
	v_mov_b32_dpp v16, v2 row_bcast:15 row_mask:0xf bank_mask:0xf bound_ctrl:1
	v_mov_b32_dpp v7, v9 row_bcast:15 row_mask:0xf bank_mask:0xf bound_ctrl:1
	v_lshl_add_u64 v[2:3], v[8:9], 0, v[16:17]
	v_lshl_add_u64 v[6:7], v[2:3], 0, v[6:7]
	s_nop 0
	v_mov_b32_dpp v18, v2 row_bcast:31 row_mask:0xf bank_mask:0xf bound_ctrl:1
	v_lshl_add_u64 v[2:3], v[6:7], 0, v[18:19]
	ds_bpermute_b32 v2, v20, v2
	s_nop 0
	v_add_u32_dpp v3, v7, v3 row_bcast:31 row_mask:0xf bank_mask:0xf bound_ctrl:1
	ds_bpermute_b32 v3, v20, v3
	s_and_saveexec_b64 s[4:5], vcc
	s_cbranch_execz .LBB226_150
; %bb.149:
	v_lshrrev_b32_e32 v6, 3, v0
	v_and_b32_e32 v6, 24, v6
	s_waitcnt lgkmcnt(0)
	ds_write_b64 v6, v[2:3] offset:32
.LBB226_150:
	s_or_b64 exec, exec, s[4:5]
	v_cmp_gt_u32_e32 vcc, 64, v0
	s_waitcnt lgkmcnt(0)
	s_barrier
	s_and_saveexec_b64 s[4:5], vcc
	s_cbranch_execz .LBB226_152
; %bb.151:
	v_and_b32_e32 v6, 3, v4
	v_lshlrev_b32_e32 v2, 3, v6
	ds_read_b64 v[2:3], v2 offset:32
	v_cmp_ne_u32_e32 vcc, 3, v6
	v_or_b32_e32 v8, 8, v5
	s_nop 0
	v_addc_co_u32_e32 v4, vcc, 0, v4, vcc
	v_lshlrev_b32_e32 v6, 2, v4
	s_waitcnt lgkmcnt(0)
	ds_bpermute_b32 v4, v6, v2
	ds_bpermute_b32 v7, v6, v3
	v_mov_b32_e32 v6, 0
	v_mov_b32_e32 v5, v6
	s_waitcnt lgkmcnt(1)
	v_lshl_add_u64 v[2:3], v[2:3], 0, v[4:5]
	s_waitcnt lgkmcnt(0)
	v_lshl_add_u64 v[4:5], v[6:7], 0, v[2:3]
	ds_bpermute_b32 v2, v8, v2
	ds_bpermute_b32 v7, v8, v5
	v_mov_b32_e32 v3, v6
	s_waitcnt lgkmcnt(1)
	v_lshl_add_u64 v[2:3], v[4:5], 0, v[2:3]
	s_waitcnt lgkmcnt(0)
	v_lshl_add_u64 v[2:3], v[2:3], 0, v[6:7]
.LBB226_152:
	s_or_b64 exec, exec, s[4:5]
	s_branch .LBB226_165
.LBB226_153:
                                        ; implicit-def: $vgpr2_vgpr3
	s_cbranch_execz .LBB226_165
; %bb.154:
	s_sub_i32 s6, s38, s0
	v_cmp_gt_u32_e32 vcc, s6, v0
                                        ; implicit-def: $vgpr2_vgpr3
	s_and_saveexec_b64 s[4:5], vcc
	s_cbranch_execz .LBB226_156
; %bb.155:
	s_lshl_b64 s[0:1], s[0:1], 3
	s_add_u32 s0, s36, s0
	s_addc_u32 s1, s37, s1
	v_lshlrev_b32_e32 v2, 3, v0
	global_load_dwordx2 v[2:3], v2, s[0:1]
.LBB226_156:
	s_or_b64 exec, exec, s[4:5]
	v_mbcnt_hi_u32_b32 v1, -1, v1
	v_and_b32_e32 v9, 63, v1
	s_min_u32 s6, s6, 0x100
	v_and_b32_e32 v4, 0xc0, v0
	v_cmp_ne_u32_e32 vcc, 63, v9
	v_sub_u32_e64 v8, s6, v4 clamp
	v_mov_b32_e32 v6, 0
	v_addc_co_u32_e32 v4, vcc, 0, v1, vcc
	v_lshlrev_b32_e32 v5, 2, v4
	s_waitcnt vmcnt(0)
	ds_bpermute_b32 v4, v5, v2
	s_waitcnt lgkmcnt(1)
	ds_bpermute_b32 v7, v5, v3
	v_add_u32_e32 v10, 1, v9
	v_mov_b32_e32 v5, v6
	v_cmp_lt_u32_e64 s[0:1], v10, v8
	s_waitcnt lgkmcnt(1)
	v_lshl_add_u64 v[4:5], v[2:3], 0, v[4:5]
	v_cmp_gt_u32_e32 vcc, 62, v9
	s_waitcnt lgkmcnt(0)
	v_lshl_add_u64 v[6:7], v[6:7], 0, v[4:5]
	v_cndmask_b32_e64 v12, v2, v4, s[0:1]
	v_cndmask_b32_e64 v4, 0, 2, vcc
	v_cndmask_b32_e64 v5, v3, v7, s[0:1]
	v_add_lshl_u32 v4, v4, v1, 2
	ds_bpermute_b32 v10, v4, v12
	ds_bpermute_b32 v11, v4, v5
	v_cndmask_b32_e64 v4, v2, v6, s[0:1]
	v_add_u32_e32 v13, 2, v9
	v_cmp_lt_u32_e32 vcc, v13, v8
	v_cmp_gt_u32_e64 s[4:5], 60, v9
	s_waitcnt lgkmcnt(0)
	v_lshl_add_u64 v[6:7], v[10:11], 0, v[4:5]
	v_cndmask_b32_e32 v5, v5, v7, vcc
	v_cndmask_b32_e64 v7, 0, 4, s[4:5]
	v_cndmask_b32_e32 v12, v12, v6, vcc
	v_add_lshl_u32 v7, v7, v1, 2
	ds_bpermute_b32 v10, v7, v12
	ds_bpermute_b32 v11, v7, v5
	v_cndmask_b32_e32 v4, v4, v6, vcc
	v_add_u32_e32 v13, 4, v9
	v_cmp_lt_u32_e32 vcc, v13, v8
	v_cmp_gt_u32_e64 s[4:5], 56, v9
	s_waitcnt lgkmcnt(0)
	v_lshl_add_u64 v[6:7], v[10:11], 0, v[4:5]
	v_cndmask_b32_e32 v5, v5, v7, vcc
	v_cndmask_b32_e64 v7, 0, 8, s[4:5]
	v_cndmask_b32_e32 v12, v12, v6, vcc
	v_add_lshl_u32 v7, v7, v1, 2
	ds_bpermute_b32 v10, v7, v12
	ds_bpermute_b32 v11, v7, v5
	v_cndmask_b32_e32 v4, v4, v6, vcc
	;; [unrolled: 12-line block ×3, first 2 shown]
	v_add_u32_e32 v13, 16, v9
	v_cmp_lt_u32_e32 vcc, v13, v8
	s_waitcnt lgkmcnt(0)
	v_lshl_add_u64 v[6:7], v[10:11], 0, v[4:5]
	v_lshlrev_b32_e32 v10, 2, v1
	v_cndmask_b32_e32 v13, v5, v7, vcc
	v_cndmask_b32_e32 v11, v12, v6, vcc
	v_or_b32_e32 v12, 0x80, v10
	ds_bpermute_b32 v11, v12, v11
	ds_bpermute_b32 v12, v12, v13
	s_and_saveexec_b64 s[4:5], s[0:1]
	s_cbranch_execz .LBB226_158
; %bb.157:
	v_add_u32_e32 v9, 32, v9
	v_cndmask_b32_e32 v3, v5, v7, vcc
	v_cndmask_b32_e32 v2, v4, v6, vcc
	v_cmp_lt_u32_e32 vcc, v9, v8
	s_waitcnt lgkmcnt(0)
	s_nop 0
	v_cndmask_b32_e32 v5, 0, v12, vcc
	v_cndmask_b32_e32 v4, 0, v11, vcc
	v_lshl_add_u64 v[2:3], v[4:5], 0, v[2:3]
.LBB226_158:
	s_or_b64 exec, exec, s[4:5]
	v_cmp_eq_u32_e32 vcc, 0, v1
	s_and_saveexec_b64 s[0:1], vcc
; %bb.159:
	v_lshrrev_b32_e32 v4, 3, v0
	v_and_b32_e32 v4, 24, v4
	ds_write_b64 v4, v[2:3] offset:160
; %bb.160:
	s_or_b64 exec, exec, s[0:1]
	v_cmp_gt_u32_e32 vcc, 4, v0
	s_waitcnt lgkmcnt(0)
	s_barrier
	s_and_saveexec_b64 s[0:1], vcc
	s_cbranch_execz .LBB226_164
; %bb.161:
	v_lshlrev_b32_e32 v2, 3, v1
	ds_read_b64 v[2:3], v2 offset:160
	v_and_b32_e32 v6, 3, v1
	v_cmp_ne_u32_e32 vcc, 3, v6
	v_mov_b32_e32 v8, 0
	s_add_i32 s6, s6, 63
	v_addc_co_u32_e32 v1, vcc, 0, v1, vcc
	v_lshlrev_b32_e32 v1, 2, v1
	s_waitcnt lgkmcnt(0)
	ds_bpermute_b32 v4, v1, v2
	ds_bpermute_b32 v9, v1, v3
	v_mov_b32_e32 v5, v8
	s_lshr_b32 s6, s6, 6
	v_add_u32_e32 v1, 1, v6
	s_waitcnt lgkmcnt(1)
	v_lshl_add_u64 v[12:13], v[2:3], 0, v[4:5]
	s_waitcnt lgkmcnt(0)
	v_lshl_add_u64 v[4:5], v[8:9], 0, v[12:13]
	v_cmp_gt_u32_e32 vcc, s6, v1
	v_or_b32_e32 v8, 8, v10
	s_nop 0
	v_cndmask_b32_e32 v7, v3, v5, vcc
	v_cndmask_b32_e32 v1, v2, v12, vcc
	ds_bpermute_b32 v1, v8, v1
	ds_bpermute_b32 v7, v8, v7
	s_and_saveexec_b64 s[4:5], vcc
	s_cbranch_execz .LBB226_163
; %bb.162:
	v_add_u32_e32 v2, 2, v6
	v_cmp_gt_u32_e32 vcc, s6, v2
	s_waitcnt lgkmcnt(0)
	s_nop 0
	v_cndmask_b32_e32 v3, 0, v7, vcc
	v_cndmask_b32_e32 v2, 0, v1, vcc
	v_lshl_add_u64 v[2:3], v[2:3], 0, v[4:5]
.LBB226_163:
	s_or_b64 exec, exec, s[4:5]
.LBB226_164:
	s_or_b64 exec, exec, s[0:1]
.LBB226_165:
	v_cmp_eq_u32_e64 s[0:1], 0, v0
	v_mov_b64_e32 v[4:5], s[2:3]
.LBB226_166:
	s_and_saveexec_b64 s[2:3], s[0:1]
	s_cbranch_execz .LBB226_168
; %bb.167:
	s_cmp_lg_u64 s[38:39], 0
	s_cselect_b64 vcc, -1, 0
	s_waitcnt lgkmcnt(1)
	v_lshlrev_b64 v[0:1], 3, v[4:5]
	v_cndmask_b32_e32 v3, 0, v3, vcc
	v_cndmask_b32_e32 v2, 0, v2, vcc
	v_lshl_add_u64 v[0:1], s[40:41], 0, v[0:1]
	v_lshl_add_u64 v[2:3], v[2:3], 0, s[42:43]
	global_store_dwordx2 v[0:1], v[2:3], off
.LBB226_168:
	s_endpgm
	.section	.rodata,"a",@progbits
	.p2align	6, 0x0
	.amdhsa_kernel _ZN7rocprim17ROCPRIM_400000_NS6detail17trampoline_kernelINS0_14default_configENS1_22reduce_config_selectorIlEEZNS1_11reduce_implILb1ES3_PlS7_lN6hipcub16HIPCUB_304000_NS6detail34convert_binary_result_type_wrapperINS9_3SumENS9_22TransformInputIteratorIb7NonZeroIfEPflEElEEEE10hipError_tPvRmT1_T2_T3_mT4_P12ihipStream_tbEUlT_E1_NS1_11comp_targetILNS1_3genE0ELNS1_11target_archE4294967295ELNS1_3gpuE0ELNS1_3repE0EEENS1_30default_config_static_selectorELNS0_4arch9wavefront6targetE1EEEvSM_
		.amdhsa_group_segment_fixed_size 192
		.amdhsa_private_segment_fixed_size 0
		.amdhsa_kernarg_size 48
		.amdhsa_user_sgpr_count 2
		.amdhsa_user_sgpr_dispatch_ptr 0
		.amdhsa_user_sgpr_queue_ptr 0
		.amdhsa_user_sgpr_kernarg_segment_ptr 1
		.amdhsa_user_sgpr_dispatch_id 0
		.amdhsa_user_sgpr_kernarg_preload_length 0
		.amdhsa_user_sgpr_kernarg_preload_offset 0
		.amdhsa_user_sgpr_private_segment_size 0
		.amdhsa_uses_dynamic_stack 0
		.amdhsa_enable_private_segment 0
		.amdhsa_system_sgpr_workgroup_id_x 1
		.amdhsa_system_sgpr_workgroup_id_y 0
		.amdhsa_system_sgpr_workgroup_id_z 0
		.amdhsa_system_sgpr_workgroup_info 0
		.amdhsa_system_vgpr_workitem_id 0
		.amdhsa_next_free_vgpr 48
		.amdhsa_next_free_sgpr 47
		.amdhsa_accum_offset 48
		.amdhsa_reserve_vcc 1
		.amdhsa_float_round_mode_32 0
		.amdhsa_float_round_mode_16_64 0
		.amdhsa_float_denorm_mode_32 3
		.amdhsa_float_denorm_mode_16_64 3
		.amdhsa_dx10_clamp 1
		.amdhsa_ieee_mode 1
		.amdhsa_fp16_overflow 0
		.amdhsa_tg_split 0
		.amdhsa_exception_fp_ieee_invalid_op 0
		.amdhsa_exception_fp_denorm_src 0
		.amdhsa_exception_fp_ieee_div_zero 0
		.amdhsa_exception_fp_ieee_overflow 0
		.amdhsa_exception_fp_ieee_underflow 0
		.amdhsa_exception_fp_ieee_inexact 0
		.amdhsa_exception_int_div_zero 0
	.end_amdhsa_kernel
	.section	.text._ZN7rocprim17ROCPRIM_400000_NS6detail17trampoline_kernelINS0_14default_configENS1_22reduce_config_selectorIlEEZNS1_11reduce_implILb1ES3_PlS7_lN6hipcub16HIPCUB_304000_NS6detail34convert_binary_result_type_wrapperINS9_3SumENS9_22TransformInputIteratorIb7NonZeroIfEPflEElEEEE10hipError_tPvRmT1_T2_T3_mT4_P12ihipStream_tbEUlT_E1_NS1_11comp_targetILNS1_3genE0ELNS1_11target_archE4294967295ELNS1_3gpuE0ELNS1_3repE0EEENS1_30default_config_static_selectorELNS0_4arch9wavefront6targetE1EEEvSM_,"axG",@progbits,_ZN7rocprim17ROCPRIM_400000_NS6detail17trampoline_kernelINS0_14default_configENS1_22reduce_config_selectorIlEEZNS1_11reduce_implILb1ES3_PlS7_lN6hipcub16HIPCUB_304000_NS6detail34convert_binary_result_type_wrapperINS9_3SumENS9_22TransformInputIteratorIb7NonZeroIfEPflEElEEEE10hipError_tPvRmT1_T2_T3_mT4_P12ihipStream_tbEUlT_E1_NS1_11comp_targetILNS1_3genE0ELNS1_11target_archE4294967295ELNS1_3gpuE0ELNS1_3repE0EEENS1_30default_config_static_selectorELNS0_4arch9wavefront6targetE1EEEvSM_,comdat
.Lfunc_end226:
	.size	_ZN7rocprim17ROCPRIM_400000_NS6detail17trampoline_kernelINS0_14default_configENS1_22reduce_config_selectorIlEEZNS1_11reduce_implILb1ES3_PlS7_lN6hipcub16HIPCUB_304000_NS6detail34convert_binary_result_type_wrapperINS9_3SumENS9_22TransformInputIteratorIb7NonZeroIfEPflEElEEEE10hipError_tPvRmT1_T2_T3_mT4_P12ihipStream_tbEUlT_E1_NS1_11comp_targetILNS1_3genE0ELNS1_11target_archE4294967295ELNS1_3gpuE0ELNS1_3repE0EEENS1_30default_config_static_selectorELNS0_4arch9wavefront6targetE1EEEvSM_, .Lfunc_end226-_ZN7rocprim17ROCPRIM_400000_NS6detail17trampoline_kernelINS0_14default_configENS1_22reduce_config_selectorIlEEZNS1_11reduce_implILb1ES3_PlS7_lN6hipcub16HIPCUB_304000_NS6detail34convert_binary_result_type_wrapperINS9_3SumENS9_22TransformInputIteratorIb7NonZeroIfEPflEElEEEE10hipError_tPvRmT1_T2_T3_mT4_P12ihipStream_tbEUlT_E1_NS1_11comp_targetILNS1_3genE0ELNS1_11target_archE4294967295ELNS1_3gpuE0ELNS1_3repE0EEENS1_30default_config_static_selectorELNS0_4arch9wavefront6targetE1EEEvSM_
                                        ; -- End function
	.set _ZN7rocprim17ROCPRIM_400000_NS6detail17trampoline_kernelINS0_14default_configENS1_22reduce_config_selectorIlEEZNS1_11reduce_implILb1ES3_PlS7_lN6hipcub16HIPCUB_304000_NS6detail34convert_binary_result_type_wrapperINS9_3SumENS9_22TransformInputIteratorIb7NonZeroIfEPflEElEEEE10hipError_tPvRmT1_T2_T3_mT4_P12ihipStream_tbEUlT_E1_NS1_11comp_targetILNS1_3genE0ELNS1_11target_archE4294967295ELNS1_3gpuE0ELNS1_3repE0EEENS1_30default_config_static_selectorELNS0_4arch9wavefront6targetE1EEEvSM_.num_vgpr, 48
	.set _ZN7rocprim17ROCPRIM_400000_NS6detail17trampoline_kernelINS0_14default_configENS1_22reduce_config_selectorIlEEZNS1_11reduce_implILb1ES3_PlS7_lN6hipcub16HIPCUB_304000_NS6detail34convert_binary_result_type_wrapperINS9_3SumENS9_22TransformInputIteratorIb7NonZeroIfEPflEElEEEE10hipError_tPvRmT1_T2_T3_mT4_P12ihipStream_tbEUlT_E1_NS1_11comp_targetILNS1_3genE0ELNS1_11target_archE4294967295ELNS1_3gpuE0ELNS1_3repE0EEENS1_30default_config_static_selectorELNS0_4arch9wavefront6targetE1EEEvSM_.num_agpr, 0
	.set _ZN7rocprim17ROCPRIM_400000_NS6detail17trampoline_kernelINS0_14default_configENS1_22reduce_config_selectorIlEEZNS1_11reduce_implILb1ES3_PlS7_lN6hipcub16HIPCUB_304000_NS6detail34convert_binary_result_type_wrapperINS9_3SumENS9_22TransformInputIteratorIb7NonZeroIfEPflEElEEEE10hipError_tPvRmT1_T2_T3_mT4_P12ihipStream_tbEUlT_E1_NS1_11comp_targetILNS1_3genE0ELNS1_11target_archE4294967295ELNS1_3gpuE0ELNS1_3repE0EEENS1_30default_config_static_selectorELNS0_4arch9wavefront6targetE1EEEvSM_.numbered_sgpr, 47
	.set _ZN7rocprim17ROCPRIM_400000_NS6detail17trampoline_kernelINS0_14default_configENS1_22reduce_config_selectorIlEEZNS1_11reduce_implILb1ES3_PlS7_lN6hipcub16HIPCUB_304000_NS6detail34convert_binary_result_type_wrapperINS9_3SumENS9_22TransformInputIteratorIb7NonZeroIfEPflEElEEEE10hipError_tPvRmT1_T2_T3_mT4_P12ihipStream_tbEUlT_E1_NS1_11comp_targetILNS1_3genE0ELNS1_11target_archE4294967295ELNS1_3gpuE0ELNS1_3repE0EEENS1_30default_config_static_selectorELNS0_4arch9wavefront6targetE1EEEvSM_.num_named_barrier, 0
	.set _ZN7rocprim17ROCPRIM_400000_NS6detail17trampoline_kernelINS0_14default_configENS1_22reduce_config_selectorIlEEZNS1_11reduce_implILb1ES3_PlS7_lN6hipcub16HIPCUB_304000_NS6detail34convert_binary_result_type_wrapperINS9_3SumENS9_22TransformInputIteratorIb7NonZeroIfEPflEElEEEE10hipError_tPvRmT1_T2_T3_mT4_P12ihipStream_tbEUlT_E1_NS1_11comp_targetILNS1_3genE0ELNS1_11target_archE4294967295ELNS1_3gpuE0ELNS1_3repE0EEENS1_30default_config_static_selectorELNS0_4arch9wavefront6targetE1EEEvSM_.private_seg_size, 0
	.set _ZN7rocprim17ROCPRIM_400000_NS6detail17trampoline_kernelINS0_14default_configENS1_22reduce_config_selectorIlEEZNS1_11reduce_implILb1ES3_PlS7_lN6hipcub16HIPCUB_304000_NS6detail34convert_binary_result_type_wrapperINS9_3SumENS9_22TransformInputIteratorIb7NonZeroIfEPflEElEEEE10hipError_tPvRmT1_T2_T3_mT4_P12ihipStream_tbEUlT_E1_NS1_11comp_targetILNS1_3genE0ELNS1_11target_archE4294967295ELNS1_3gpuE0ELNS1_3repE0EEENS1_30default_config_static_selectorELNS0_4arch9wavefront6targetE1EEEvSM_.uses_vcc, 1
	.set _ZN7rocprim17ROCPRIM_400000_NS6detail17trampoline_kernelINS0_14default_configENS1_22reduce_config_selectorIlEEZNS1_11reduce_implILb1ES3_PlS7_lN6hipcub16HIPCUB_304000_NS6detail34convert_binary_result_type_wrapperINS9_3SumENS9_22TransformInputIteratorIb7NonZeroIfEPflEElEEEE10hipError_tPvRmT1_T2_T3_mT4_P12ihipStream_tbEUlT_E1_NS1_11comp_targetILNS1_3genE0ELNS1_11target_archE4294967295ELNS1_3gpuE0ELNS1_3repE0EEENS1_30default_config_static_selectorELNS0_4arch9wavefront6targetE1EEEvSM_.uses_flat_scratch, 0
	.set _ZN7rocprim17ROCPRIM_400000_NS6detail17trampoline_kernelINS0_14default_configENS1_22reduce_config_selectorIlEEZNS1_11reduce_implILb1ES3_PlS7_lN6hipcub16HIPCUB_304000_NS6detail34convert_binary_result_type_wrapperINS9_3SumENS9_22TransformInputIteratorIb7NonZeroIfEPflEElEEEE10hipError_tPvRmT1_T2_T3_mT4_P12ihipStream_tbEUlT_E1_NS1_11comp_targetILNS1_3genE0ELNS1_11target_archE4294967295ELNS1_3gpuE0ELNS1_3repE0EEENS1_30default_config_static_selectorELNS0_4arch9wavefront6targetE1EEEvSM_.has_dyn_sized_stack, 0
	.set _ZN7rocprim17ROCPRIM_400000_NS6detail17trampoline_kernelINS0_14default_configENS1_22reduce_config_selectorIlEEZNS1_11reduce_implILb1ES3_PlS7_lN6hipcub16HIPCUB_304000_NS6detail34convert_binary_result_type_wrapperINS9_3SumENS9_22TransformInputIteratorIb7NonZeroIfEPflEElEEEE10hipError_tPvRmT1_T2_T3_mT4_P12ihipStream_tbEUlT_E1_NS1_11comp_targetILNS1_3genE0ELNS1_11target_archE4294967295ELNS1_3gpuE0ELNS1_3repE0EEENS1_30default_config_static_selectorELNS0_4arch9wavefront6targetE1EEEvSM_.has_recursion, 0
	.set _ZN7rocprim17ROCPRIM_400000_NS6detail17trampoline_kernelINS0_14default_configENS1_22reduce_config_selectorIlEEZNS1_11reduce_implILb1ES3_PlS7_lN6hipcub16HIPCUB_304000_NS6detail34convert_binary_result_type_wrapperINS9_3SumENS9_22TransformInputIteratorIb7NonZeroIfEPflEElEEEE10hipError_tPvRmT1_T2_T3_mT4_P12ihipStream_tbEUlT_E1_NS1_11comp_targetILNS1_3genE0ELNS1_11target_archE4294967295ELNS1_3gpuE0ELNS1_3repE0EEENS1_30default_config_static_selectorELNS0_4arch9wavefront6targetE1EEEvSM_.has_indirect_call, 0
	.section	.AMDGPU.csdata,"",@progbits
; Kernel info:
; codeLenInByte = 9732
; TotalNumSgprs: 53
; NumVgprs: 48
; NumAgprs: 0
; TotalNumVgprs: 48
; ScratchSize: 0
; MemoryBound: 0
; FloatMode: 240
; IeeeMode: 1
; LDSByteSize: 192 bytes/workgroup (compile time only)
; SGPRBlocks: 6
; VGPRBlocks: 5
; NumSGPRsForWavesPerEU: 53
; NumVGPRsForWavesPerEU: 48
; AccumOffset: 48
; Occupancy: 8
; WaveLimiterHint : 1
; COMPUTE_PGM_RSRC2:SCRATCH_EN: 0
; COMPUTE_PGM_RSRC2:USER_SGPR: 2
; COMPUTE_PGM_RSRC2:TRAP_HANDLER: 0
; COMPUTE_PGM_RSRC2:TGID_X_EN: 1
; COMPUTE_PGM_RSRC2:TGID_Y_EN: 0
; COMPUTE_PGM_RSRC2:TGID_Z_EN: 0
; COMPUTE_PGM_RSRC2:TIDIG_COMP_CNT: 0
; COMPUTE_PGM_RSRC3_GFX90A:ACCUM_OFFSET: 11
; COMPUTE_PGM_RSRC3_GFX90A:TG_SPLIT: 0
	.section	.text._ZN7rocprim17ROCPRIM_400000_NS6detail17trampoline_kernelINS0_14default_configENS1_22reduce_config_selectorIlEEZNS1_11reduce_implILb1ES3_PlS7_lN6hipcub16HIPCUB_304000_NS6detail34convert_binary_result_type_wrapperINS9_3SumENS9_22TransformInputIteratorIb7NonZeroIfEPflEElEEEE10hipError_tPvRmT1_T2_T3_mT4_P12ihipStream_tbEUlT_E1_NS1_11comp_targetILNS1_3genE5ELNS1_11target_archE942ELNS1_3gpuE9ELNS1_3repE0EEENS1_30default_config_static_selectorELNS0_4arch9wavefront6targetE1EEEvSM_,"axG",@progbits,_ZN7rocprim17ROCPRIM_400000_NS6detail17trampoline_kernelINS0_14default_configENS1_22reduce_config_selectorIlEEZNS1_11reduce_implILb1ES3_PlS7_lN6hipcub16HIPCUB_304000_NS6detail34convert_binary_result_type_wrapperINS9_3SumENS9_22TransformInputIteratorIb7NonZeroIfEPflEElEEEE10hipError_tPvRmT1_T2_T3_mT4_P12ihipStream_tbEUlT_E1_NS1_11comp_targetILNS1_3genE5ELNS1_11target_archE942ELNS1_3gpuE9ELNS1_3repE0EEENS1_30default_config_static_selectorELNS0_4arch9wavefront6targetE1EEEvSM_,comdat
	.protected	_ZN7rocprim17ROCPRIM_400000_NS6detail17trampoline_kernelINS0_14default_configENS1_22reduce_config_selectorIlEEZNS1_11reduce_implILb1ES3_PlS7_lN6hipcub16HIPCUB_304000_NS6detail34convert_binary_result_type_wrapperINS9_3SumENS9_22TransformInputIteratorIb7NonZeroIfEPflEElEEEE10hipError_tPvRmT1_T2_T3_mT4_P12ihipStream_tbEUlT_E1_NS1_11comp_targetILNS1_3genE5ELNS1_11target_archE942ELNS1_3gpuE9ELNS1_3repE0EEENS1_30default_config_static_selectorELNS0_4arch9wavefront6targetE1EEEvSM_ ; -- Begin function _ZN7rocprim17ROCPRIM_400000_NS6detail17trampoline_kernelINS0_14default_configENS1_22reduce_config_selectorIlEEZNS1_11reduce_implILb1ES3_PlS7_lN6hipcub16HIPCUB_304000_NS6detail34convert_binary_result_type_wrapperINS9_3SumENS9_22TransformInputIteratorIb7NonZeroIfEPflEElEEEE10hipError_tPvRmT1_T2_T3_mT4_P12ihipStream_tbEUlT_E1_NS1_11comp_targetILNS1_3genE5ELNS1_11target_archE942ELNS1_3gpuE9ELNS1_3repE0EEENS1_30default_config_static_selectorELNS0_4arch9wavefront6targetE1EEEvSM_
	.globl	_ZN7rocprim17ROCPRIM_400000_NS6detail17trampoline_kernelINS0_14default_configENS1_22reduce_config_selectorIlEEZNS1_11reduce_implILb1ES3_PlS7_lN6hipcub16HIPCUB_304000_NS6detail34convert_binary_result_type_wrapperINS9_3SumENS9_22TransformInputIteratorIb7NonZeroIfEPflEElEEEE10hipError_tPvRmT1_T2_T3_mT4_P12ihipStream_tbEUlT_E1_NS1_11comp_targetILNS1_3genE5ELNS1_11target_archE942ELNS1_3gpuE9ELNS1_3repE0EEENS1_30default_config_static_selectorELNS0_4arch9wavefront6targetE1EEEvSM_
	.p2align	8
	.type	_ZN7rocprim17ROCPRIM_400000_NS6detail17trampoline_kernelINS0_14default_configENS1_22reduce_config_selectorIlEEZNS1_11reduce_implILb1ES3_PlS7_lN6hipcub16HIPCUB_304000_NS6detail34convert_binary_result_type_wrapperINS9_3SumENS9_22TransformInputIteratorIb7NonZeroIfEPflEElEEEE10hipError_tPvRmT1_T2_T3_mT4_P12ihipStream_tbEUlT_E1_NS1_11comp_targetILNS1_3genE5ELNS1_11target_archE942ELNS1_3gpuE9ELNS1_3repE0EEENS1_30default_config_static_selectorELNS0_4arch9wavefront6targetE1EEEvSM_,@function
_ZN7rocprim17ROCPRIM_400000_NS6detail17trampoline_kernelINS0_14default_configENS1_22reduce_config_selectorIlEEZNS1_11reduce_implILb1ES3_PlS7_lN6hipcub16HIPCUB_304000_NS6detail34convert_binary_result_type_wrapperINS9_3SumENS9_22TransformInputIteratorIb7NonZeroIfEPflEElEEEE10hipError_tPvRmT1_T2_T3_mT4_P12ihipStream_tbEUlT_E1_NS1_11comp_targetILNS1_3genE5ELNS1_11target_archE942ELNS1_3gpuE9ELNS1_3repE0EEENS1_30default_config_static_selectorELNS0_4arch9wavefront6targetE1EEEvSM_: ; @_ZN7rocprim17ROCPRIM_400000_NS6detail17trampoline_kernelINS0_14default_configENS1_22reduce_config_selectorIlEEZNS1_11reduce_implILb1ES3_PlS7_lN6hipcub16HIPCUB_304000_NS6detail34convert_binary_result_type_wrapperINS9_3SumENS9_22TransformInputIteratorIb7NonZeroIfEPflEElEEEE10hipError_tPvRmT1_T2_T3_mT4_P12ihipStream_tbEUlT_E1_NS1_11comp_targetILNS1_3genE5ELNS1_11target_archE942ELNS1_3gpuE9ELNS1_3repE0EEENS1_30default_config_static_selectorELNS0_4arch9wavefront6targetE1EEEvSM_
; %bb.0:
	.section	.rodata,"a",@progbits
	.p2align	6, 0x0
	.amdhsa_kernel _ZN7rocprim17ROCPRIM_400000_NS6detail17trampoline_kernelINS0_14default_configENS1_22reduce_config_selectorIlEEZNS1_11reduce_implILb1ES3_PlS7_lN6hipcub16HIPCUB_304000_NS6detail34convert_binary_result_type_wrapperINS9_3SumENS9_22TransformInputIteratorIb7NonZeroIfEPflEElEEEE10hipError_tPvRmT1_T2_T3_mT4_P12ihipStream_tbEUlT_E1_NS1_11comp_targetILNS1_3genE5ELNS1_11target_archE942ELNS1_3gpuE9ELNS1_3repE0EEENS1_30default_config_static_selectorELNS0_4arch9wavefront6targetE1EEEvSM_
		.amdhsa_group_segment_fixed_size 0
		.amdhsa_private_segment_fixed_size 0
		.amdhsa_kernarg_size 48
		.amdhsa_user_sgpr_count 2
		.amdhsa_user_sgpr_dispatch_ptr 0
		.amdhsa_user_sgpr_queue_ptr 0
		.amdhsa_user_sgpr_kernarg_segment_ptr 1
		.amdhsa_user_sgpr_dispatch_id 0
		.amdhsa_user_sgpr_kernarg_preload_length 0
		.amdhsa_user_sgpr_kernarg_preload_offset 0
		.amdhsa_user_sgpr_private_segment_size 0
		.amdhsa_uses_dynamic_stack 0
		.amdhsa_enable_private_segment 0
		.amdhsa_system_sgpr_workgroup_id_x 1
		.amdhsa_system_sgpr_workgroup_id_y 0
		.amdhsa_system_sgpr_workgroup_id_z 0
		.amdhsa_system_sgpr_workgroup_info 0
		.amdhsa_system_vgpr_workitem_id 0
		.amdhsa_next_free_vgpr 1
		.amdhsa_next_free_sgpr 0
		.amdhsa_accum_offset 4
		.amdhsa_reserve_vcc 0
		.amdhsa_float_round_mode_32 0
		.amdhsa_float_round_mode_16_64 0
		.amdhsa_float_denorm_mode_32 3
		.amdhsa_float_denorm_mode_16_64 3
		.amdhsa_dx10_clamp 1
		.amdhsa_ieee_mode 1
		.amdhsa_fp16_overflow 0
		.amdhsa_tg_split 0
		.amdhsa_exception_fp_ieee_invalid_op 0
		.amdhsa_exception_fp_denorm_src 0
		.amdhsa_exception_fp_ieee_div_zero 0
		.amdhsa_exception_fp_ieee_overflow 0
		.amdhsa_exception_fp_ieee_underflow 0
		.amdhsa_exception_fp_ieee_inexact 0
		.amdhsa_exception_int_div_zero 0
	.end_amdhsa_kernel
	.section	.text._ZN7rocprim17ROCPRIM_400000_NS6detail17trampoline_kernelINS0_14default_configENS1_22reduce_config_selectorIlEEZNS1_11reduce_implILb1ES3_PlS7_lN6hipcub16HIPCUB_304000_NS6detail34convert_binary_result_type_wrapperINS9_3SumENS9_22TransformInputIteratorIb7NonZeroIfEPflEElEEEE10hipError_tPvRmT1_T2_T3_mT4_P12ihipStream_tbEUlT_E1_NS1_11comp_targetILNS1_3genE5ELNS1_11target_archE942ELNS1_3gpuE9ELNS1_3repE0EEENS1_30default_config_static_selectorELNS0_4arch9wavefront6targetE1EEEvSM_,"axG",@progbits,_ZN7rocprim17ROCPRIM_400000_NS6detail17trampoline_kernelINS0_14default_configENS1_22reduce_config_selectorIlEEZNS1_11reduce_implILb1ES3_PlS7_lN6hipcub16HIPCUB_304000_NS6detail34convert_binary_result_type_wrapperINS9_3SumENS9_22TransformInputIteratorIb7NonZeroIfEPflEElEEEE10hipError_tPvRmT1_T2_T3_mT4_P12ihipStream_tbEUlT_E1_NS1_11comp_targetILNS1_3genE5ELNS1_11target_archE942ELNS1_3gpuE9ELNS1_3repE0EEENS1_30default_config_static_selectorELNS0_4arch9wavefront6targetE1EEEvSM_,comdat
.Lfunc_end227:
	.size	_ZN7rocprim17ROCPRIM_400000_NS6detail17trampoline_kernelINS0_14default_configENS1_22reduce_config_selectorIlEEZNS1_11reduce_implILb1ES3_PlS7_lN6hipcub16HIPCUB_304000_NS6detail34convert_binary_result_type_wrapperINS9_3SumENS9_22TransformInputIteratorIb7NonZeroIfEPflEElEEEE10hipError_tPvRmT1_T2_T3_mT4_P12ihipStream_tbEUlT_E1_NS1_11comp_targetILNS1_3genE5ELNS1_11target_archE942ELNS1_3gpuE9ELNS1_3repE0EEENS1_30default_config_static_selectorELNS0_4arch9wavefront6targetE1EEEvSM_, .Lfunc_end227-_ZN7rocprim17ROCPRIM_400000_NS6detail17trampoline_kernelINS0_14default_configENS1_22reduce_config_selectorIlEEZNS1_11reduce_implILb1ES3_PlS7_lN6hipcub16HIPCUB_304000_NS6detail34convert_binary_result_type_wrapperINS9_3SumENS9_22TransformInputIteratorIb7NonZeroIfEPflEElEEEE10hipError_tPvRmT1_T2_T3_mT4_P12ihipStream_tbEUlT_E1_NS1_11comp_targetILNS1_3genE5ELNS1_11target_archE942ELNS1_3gpuE9ELNS1_3repE0EEENS1_30default_config_static_selectorELNS0_4arch9wavefront6targetE1EEEvSM_
                                        ; -- End function
	.set _ZN7rocprim17ROCPRIM_400000_NS6detail17trampoline_kernelINS0_14default_configENS1_22reduce_config_selectorIlEEZNS1_11reduce_implILb1ES3_PlS7_lN6hipcub16HIPCUB_304000_NS6detail34convert_binary_result_type_wrapperINS9_3SumENS9_22TransformInputIteratorIb7NonZeroIfEPflEElEEEE10hipError_tPvRmT1_T2_T3_mT4_P12ihipStream_tbEUlT_E1_NS1_11comp_targetILNS1_3genE5ELNS1_11target_archE942ELNS1_3gpuE9ELNS1_3repE0EEENS1_30default_config_static_selectorELNS0_4arch9wavefront6targetE1EEEvSM_.num_vgpr, 0
	.set _ZN7rocprim17ROCPRIM_400000_NS6detail17trampoline_kernelINS0_14default_configENS1_22reduce_config_selectorIlEEZNS1_11reduce_implILb1ES3_PlS7_lN6hipcub16HIPCUB_304000_NS6detail34convert_binary_result_type_wrapperINS9_3SumENS9_22TransformInputIteratorIb7NonZeroIfEPflEElEEEE10hipError_tPvRmT1_T2_T3_mT4_P12ihipStream_tbEUlT_E1_NS1_11comp_targetILNS1_3genE5ELNS1_11target_archE942ELNS1_3gpuE9ELNS1_3repE0EEENS1_30default_config_static_selectorELNS0_4arch9wavefront6targetE1EEEvSM_.num_agpr, 0
	.set _ZN7rocprim17ROCPRIM_400000_NS6detail17trampoline_kernelINS0_14default_configENS1_22reduce_config_selectorIlEEZNS1_11reduce_implILb1ES3_PlS7_lN6hipcub16HIPCUB_304000_NS6detail34convert_binary_result_type_wrapperINS9_3SumENS9_22TransformInputIteratorIb7NonZeroIfEPflEElEEEE10hipError_tPvRmT1_T2_T3_mT4_P12ihipStream_tbEUlT_E1_NS1_11comp_targetILNS1_3genE5ELNS1_11target_archE942ELNS1_3gpuE9ELNS1_3repE0EEENS1_30default_config_static_selectorELNS0_4arch9wavefront6targetE1EEEvSM_.numbered_sgpr, 0
	.set _ZN7rocprim17ROCPRIM_400000_NS6detail17trampoline_kernelINS0_14default_configENS1_22reduce_config_selectorIlEEZNS1_11reduce_implILb1ES3_PlS7_lN6hipcub16HIPCUB_304000_NS6detail34convert_binary_result_type_wrapperINS9_3SumENS9_22TransformInputIteratorIb7NonZeroIfEPflEElEEEE10hipError_tPvRmT1_T2_T3_mT4_P12ihipStream_tbEUlT_E1_NS1_11comp_targetILNS1_3genE5ELNS1_11target_archE942ELNS1_3gpuE9ELNS1_3repE0EEENS1_30default_config_static_selectorELNS0_4arch9wavefront6targetE1EEEvSM_.num_named_barrier, 0
	.set _ZN7rocprim17ROCPRIM_400000_NS6detail17trampoline_kernelINS0_14default_configENS1_22reduce_config_selectorIlEEZNS1_11reduce_implILb1ES3_PlS7_lN6hipcub16HIPCUB_304000_NS6detail34convert_binary_result_type_wrapperINS9_3SumENS9_22TransformInputIteratorIb7NonZeroIfEPflEElEEEE10hipError_tPvRmT1_T2_T3_mT4_P12ihipStream_tbEUlT_E1_NS1_11comp_targetILNS1_3genE5ELNS1_11target_archE942ELNS1_3gpuE9ELNS1_3repE0EEENS1_30default_config_static_selectorELNS0_4arch9wavefront6targetE1EEEvSM_.private_seg_size, 0
	.set _ZN7rocprim17ROCPRIM_400000_NS6detail17trampoline_kernelINS0_14default_configENS1_22reduce_config_selectorIlEEZNS1_11reduce_implILb1ES3_PlS7_lN6hipcub16HIPCUB_304000_NS6detail34convert_binary_result_type_wrapperINS9_3SumENS9_22TransformInputIteratorIb7NonZeroIfEPflEElEEEE10hipError_tPvRmT1_T2_T3_mT4_P12ihipStream_tbEUlT_E1_NS1_11comp_targetILNS1_3genE5ELNS1_11target_archE942ELNS1_3gpuE9ELNS1_3repE0EEENS1_30default_config_static_selectorELNS0_4arch9wavefront6targetE1EEEvSM_.uses_vcc, 0
	.set _ZN7rocprim17ROCPRIM_400000_NS6detail17trampoline_kernelINS0_14default_configENS1_22reduce_config_selectorIlEEZNS1_11reduce_implILb1ES3_PlS7_lN6hipcub16HIPCUB_304000_NS6detail34convert_binary_result_type_wrapperINS9_3SumENS9_22TransformInputIteratorIb7NonZeroIfEPflEElEEEE10hipError_tPvRmT1_T2_T3_mT4_P12ihipStream_tbEUlT_E1_NS1_11comp_targetILNS1_3genE5ELNS1_11target_archE942ELNS1_3gpuE9ELNS1_3repE0EEENS1_30default_config_static_selectorELNS0_4arch9wavefront6targetE1EEEvSM_.uses_flat_scratch, 0
	.set _ZN7rocprim17ROCPRIM_400000_NS6detail17trampoline_kernelINS0_14default_configENS1_22reduce_config_selectorIlEEZNS1_11reduce_implILb1ES3_PlS7_lN6hipcub16HIPCUB_304000_NS6detail34convert_binary_result_type_wrapperINS9_3SumENS9_22TransformInputIteratorIb7NonZeroIfEPflEElEEEE10hipError_tPvRmT1_T2_T3_mT4_P12ihipStream_tbEUlT_E1_NS1_11comp_targetILNS1_3genE5ELNS1_11target_archE942ELNS1_3gpuE9ELNS1_3repE0EEENS1_30default_config_static_selectorELNS0_4arch9wavefront6targetE1EEEvSM_.has_dyn_sized_stack, 0
	.set _ZN7rocprim17ROCPRIM_400000_NS6detail17trampoline_kernelINS0_14default_configENS1_22reduce_config_selectorIlEEZNS1_11reduce_implILb1ES3_PlS7_lN6hipcub16HIPCUB_304000_NS6detail34convert_binary_result_type_wrapperINS9_3SumENS9_22TransformInputIteratorIb7NonZeroIfEPflEElEEEE10hipError_tPvRmT1_T2_T3_mT4_P12ihipStream_tbEUlT_E1_NS1_11comp_targetILNS1_3genE5ELNS1_11target_archE942ELNS1_3gpuE9ELNS1_3repE0EEENS1_30default_config_static_selectorELNS0_4arch9wavefront6targetE1EEEvSM_.has_recursion, 0
	.set _ZN7rocprim17ROCPRIM_400000_NS6detail17trampoline_kernelINS0_14default_configENS1_22reduce_config_selectorIlEEZNS1_11reduce_implILb1ES3_PlS7_lN6hipcub16HIPCUB_304000_NS6detail34convert_binary_result_type_wrapperINS9_3SumENS9_22TransformInputIteratorIb7NonZeroIfEPflEElEEEE10hipError_tPvRmT1_T2_T3_mT4_P12ihipStream_tbEUlT_E1_NS1_11comp_targetILNS1_3genE5ELNS1_11target_archE942ELNS1_3gpuE9ELNS1_3repE0EEENS1_30default_config_static_selectorELNS0_4arch9wavefront6targetE1EEEvSM_.has_indirect_call, 0
	.section	.AMDGPU.csdata,"",@progbits
; Kernel info:
; codeLenInByte = 0
; TotalNumSgprs: 6
; NumVgprs: 0
; NumAgprs: 0
; TotalNumVgprs: 0
; ScratchSize: 0
; MemoryBound: 0
; FloatMode: 240
; IeeeMode: 1
; LDSByteSize: 0 bytes/workgroup (compile time only)
; SGPRBlocks: 0
; VGPRBlocks: 0
; NumSGPRsForWavesPerEU: 6
; NumVGPRsForWavesPerEU: 1
; AccumOffset: 4
; Occupancy: 8
; WaveLimiterHint : 0
; COMPUTE_PGM_RSRC2:SCRATCH_EN: 0
; COMPUTE_PGM_RSRC2:USER_SGPR: 2
; COMPUTE_PGM_RSRC2:TRAP_HANDLER: 0
; COMPUTE_PGM_RSRC2:TGID_X_EN: 1
; COMPUTE_PGM_RSRC2:TGID_Y_EN: 0
; COMPUTE_PGM_RSRC2:TGID_Z_EN: 0
; COMPUTE_PGM_RSRC2:TIDIG_COMP_CNT: 0
; COMPUTE_PGM_RSRC3_GFX90A:ACCUM_OFFSET: 0
; COMPUTE_PGM_RSRC3_GFX90A:TG_SPLIT: 0
	.section	.text._ZN7rocprim17ROCPRIM_400000_NS6detail17trampoline_kernelINS0_14default_configENS1_22reduce_config_selectorIlEEZNS1_11reduce_implILb1ES3_PlS7_lN6hipcub16HIPCUB_304000_NS6detail34convert_binary_result_type_wrapperINS9_3SumENS9_22TransformInputIteratorIb7NonZeroIfEPflEElEEEE10hipError_tPvRmT1_T2_T3_mT4_P12ihipStream_tbEUlT_E1_NS1_11comp_targetILNS1_3genE4ELNS1_11target_archE910ELNS1_3gpuE8ELNS1_3repE0EEENS1_30default_config_static_selectorELNS0_4arch9wavefront6targetE1EEEvSM_,"axG",@progbits,_ZN7rocprim17ROCPRIM_400000_NS6detail17trampoline_kernelINS0_14default_configENS1_22reduce_config_selectorIlEEZNS1_11reduce_implILb1ES3_PlS7_lN6hipcub16HIPCUB_304000_NS6detail34convert_binary_result_type_wrapperINS9_3SumENS9_22TransformInputIteratorIb7NonZeroIfEPflEElEEEE10hipError_tPvRmT1_T2_T3_mT4_P12ihipStream_tbEUlT_E1_NS1_11comp_targetILNS1_3genE4ELNS1_11target_archE910ELNS1_3gpuE8ELNS1_3repE0EEENS1_30default_config_static_selectorELNS0_4arch9wavefront6targetE1EEEvSM_,comdat
	.protected	_ZN7rocprim17ROCPRIM_400000_NS6detail17trampoline_kernelINS0_14default_configENS1_22reduce_config_selectorIlEEZNS1_11reduce_implILb1ES3_PlS7_lN6hipcub16HIPCUB_304000_NS6detail34convert_binary_result_type_wrapperINS9_3SumENS9_22TransformInputIteratorIb7NonZeroIfEPflEElEEEE10hipError_tPvRmT1_T2_T3_mT4_P12ihipStream_tbEUlT_E1_NS1_11comp_targetILNS1_3genE4ELNS1_11target_archE910ELNS1_3gpuE8ELNS1_3repE0EEENS1_30default_config_static_selectorELNS0_4arch9wavefront6targetE1EEEvSM_ ; -- Begin function _ZN7rocprim17ROCPRIM_400000_NS6detail17trampoline_kernelINS0_14default_configENS1_22reduce_config_selectorIlEEZNS1_11reduce_implILb1ES3_PlS7_lN6hipcub16HIPCUB_304000_NS6detail34convert_binary_result_type_wrapperINS9_3SumENS9_22TransformInputIteratorIb7NonZeroIfEPflEElEEEE10hipError_tPvRmT1_T2_T3_mT4_P12ihipStream_tbEUlT_E1_NS1_11comp_targetILNS1_3genE4ELNS1_11target_archE910ELNS1_3gpuE8ELNS1_3repE0EEENS1_30default_config_static_selectorELNS0_4arch9wavefront6targetE1EEEvSM_
	.globl	_ZN7rocprim17ROCPRIM_400000_NS6detail17trampoline_kernelINS0_14default_configENS1_22reduce_config_selectorIlEEZNS1_11reduce_implILb1ES3_PlS7_lN6hipcub16HIPCUB_304000_NS6detail34convert_binary_result_type_wrapperINS9_3SumENS9_22TransformInputIteratorIb7NonZeroIfEPflEElEEEE10hipError_tPvRmT1_T2_T3_mT4_P12ihipStream_tbEUlT_E1_NS1_11comp_targetILNS1_3genE4ELNS1_11target_archE910ELNS1_3gpuE8ELNS1_3repE0EEENS1_30default_config_static_selectorELNS0_4arch9wavefront6targetE1EEEvSM_
	.p2align	8
	.type	_ZN7rocprim17ROCPRIM_400000_NS6detail17trampoline_kernelINS0_14default_configENS1_22reduce_config_selectorIlEEZNS1_11reduce_implILb1ES3_PlS7_lN6hipcub16HIPCUB_304000_NS6detail34convert_binary_result_type_wrapperINS9_3SumENS9_22TransformInputIteratorIb7NonZeroIfEPflEElEEEE10hipError_tPvRmT1_T2_T3_mT4_P12ihipStream_tbEUlT_E1_NS1_11comp_targetILNS1_3genE4ELNS1_11target_archE910ELNS1_3gpuE8ELNS1_3repE0EEENS1_30default_config_static_selectorELNS0_4arch9wavefront6targetE1EEEvSM_,@function
_ZN7rocprim17ROCPRIM_400000_NS6detail17trampoline_kernelINS0_14default_configENS1_22reduce_config_selectorIlEEZNS1_11reduce_implILb1ES3_PlS7_lN6hipcub16HIPCUB_304000_NS6detail34convert_binary_result_type_wrapperINS9_3SumENS9_22TransformInputIteratorIb7NonZeroIfEPflEElEEEE10hipError_tPvRmT1_T2_T3_mT4_P12ihipStream_tbEUlT_E1_NS1_11comp_targetILNS1_3genE4ELNS1_11target_archE910ELNS1_3gpuE8ELNS1_3repE0EEENS1_30default_config_static_selectorELNS0_4arch9wavefront6targetE1EEEvSM_: ; @_ZN7rocprim17ROCPRIM_400000_NS6detail17trampoline_kernelINS0_14default_configENS1_22reduce_config_selectorIlEEZNS1_11reduce_implILb1ES3_PlS7_lN6hipcub16HIPCUB_304000_NS6detail34convert_binary_result_type_wrapperINS9_3SumENS9_22TransformInputIteratorIb7NonZeroIfEPflEElEEEE10hipError_tPvRmT1_T2_T3_mT4_P12ihipStream_tbEUlT_E1_NS1_11comp_targetILNS1_3genE4ELNS1_11target_archE910ELNS1_3gpuE8ELNS1_3repE0EEENS1_30default_config_static_selectorELNS0_4arch9wavefront6targetE1EEEvSM_
; %bb.0:
	.section	.rodata,"a",@progbits
	.p2align	6, 0x0
	.amdhsa_kernel _ZN7rocprim17ROCPRIM_400000_NS6detail17trampoline_kernelINS0_14default_configENS1_22reduce_config_selectorIlEEZNS1_11reduce_implILb1ES3_PlS7_lN6hipcub16HIPCUB_304000_NS6detail34convert_binary_result_type_wrapperINS9_3SumENS9_22TransformInputIteratorIb7NonZeroIfEPflEElEEEE10hipError_tPvRmT1_T2_T3_mT4_P12ihipStream_tbEUlT_E1_NS1_11comp_targetILNS1_3genE4ELNS1_11target_archE910ELNS1_3gpuE8ELNS1_3repE0EEENS1_30default_config_static_selectorELNS0_4arch9wavefront6targetE1EEEvSM_
		.amdhsa_group_segment_fixed_size 0
		.amdhsa_private_segment_fixed_size 0
		.amdhsa_kernarg_size 48
		.amdhsa_user_sgpr_count 2
		.amdhsa_user_sgpr_dispatch_ptr 0
		.amdhsa_user_sgpr_queue_ptr 0
		.amdhsa_user_sgpr_kernarg_segment_ptr 1
		.amdhsa_user_sgpr_dispatch_id 0
		.amdhsa_user_sgpr_kernarg_preload_length 0
		.amdhsa_user_sgpr_kernarg_preload_offset 0
		.amdhsa_user_sgpr_private_segment_size 0
		.amdhsa_uses_dynamic_stack 0
		.amdhsa_enable_private_segment 0
		.amdhsa_system_sgpr_workgroup_id_x 1
		.amdhsa_system_sgpr_workgroup_id_y 0
		.amdhsa_system_sgpr_workgroup_id_z 0
		.amdhsa_system_sgpr_workgroup_info 0
		.amdhsa_system_vgpr_workitem_id 0
		.amdhsa_next_free_vgpr 1
		.amdhsa_next_free_sgpr 0
		.amdhsa_accum_offset 4
		.amdhsa_reserve_vcc 0
		.amdhsa_float_round_mode_32 0
		.amdhsa_float_round_mode_16_64 0
		.amdhsa_float_denorm_mode_32 3
		.amdhsa_float_denorm_mode_16_64 3
		.amdhsa_dx10_clamp 1
		.amdhsa_ieee_mode 1
		.amdhsa_fp16_overflow 0
		.amdhsa_tg_split 0
		.amdhsa_exception_fp_ieee_invalid_op 0
		.amdhsa_exception_fp_denorm_src 0
		.amdhsa_exception_fp_ieee_div_zero 0
		.amdhsa_exception_fp_ieee_overflow 0
		.amdhsa_exception_fp_ieee_underflow 0
		.amdhsa_exception_fp_ieee_inexact 0
		.amdhsa_exception_int_div_zero 0
	.end_amdhsa_kernel
	.section	.text._ZN7rocprim17ROCPRIM_400000_NS6detail17trampoline_kernelINS0_14default_configENS1_22reduce_config_selectorIlEEZNS1_11reduce_implILb1ES3_PlS7_lN6hipcub16HIPCUB_304000_NS6detail34convert_binary_result_type_wrapperINS9_3SumENS9_22TransformInputIteratorIb7NonZeroIfEPflEElEEEE10hipError_tPvRmT1_T2_T3_mT4_P12ihipStream_tbEUlT_E1_NS1_11comp_targetILNS1_3genE4ELNS1_11target_archE910ELNS1_3gpuE8ELNS1_3repE0EEENS1_30default_config_static_selectorELNS0_4arch9wavefront6targetE1EEEvSM_,"axG",@progbits,_ZN7rocprim17ROCPRIM_400000_NS6detail17trampoline_kernelINS0_14default_configENS1_22reduce_config_selectorIlEEZNS1_11reduce_implILb1ES3_PlS7_lN6hipcub16HIPCUB_304000_NS6detail34convert_binary_result_type_wrapperINS9_3SumENS9_22TransformInputIteratorIb7NonZeroIfEPflEElEEEE10hipError_tPvRmT1_T2_T3_mT4_P12ihipStream_tbEUlT_E1_NS1_11comp_targetILNS1_3genE4ELNS1_11target_archE910ELNS1_3gpuE8ELNS1_3repE0EEENS1_30default_config_static_selectorELNS0_4arch9wavefront6targetE1EEEvSM_,comdat
.Lfunc_end228:
	.size	_ZN7rocprim17ROCPRIM_400000_NS6detail17trampoline_kernelINS0_14default_configENS1_22reduce_config_selectorIlEEZNS1_11reduce_implILb1ES3_PlS7_lN6hipcub16HIPCUB_304000_NS6detail34convert_binary_result_type_wrapperINS9_3SumENS9_22TransformInputIteratorIb7NonZeroIfEPflEElEEEE10hipError_tPvRmT1_T2_T3_mT4_P12ihipStream_tbEUlT_E1_NS1_11comp_targetILNS1_3genE4ELNS1_11target_archE910ELNS1_3gpuE8ELNS1_3repE0EEENS1_30default_config_static_selectorELNS0_4arch9wavefront6targetE1EEEvSM_, .Lfunc_end228-_ZN7rocprim17ROCPRIM_400000_NS6detail17trampoline_kernelINS0_14default_configENS1_22reduce_config_selectorIlEEZNS1_11reduce_implILb1ES3_PlS7_lN6hipcub16HIPCUB_304000_NS6detail34convert_binary_result_type_wrapperINS9_3SumENS9_22TransformInputIteratorIb7NonZeroIfEPflEElEEEE10hipError_tPvRmT1_T2_T3_mT4_P12ihipStream_tbEUlT_E1_NS1_11comp_targetILNS1_3genE4ELNS1_11target_archE910ELNS1_3gpuE8ELNS1_3repE0EEENS1_30default_config_static_selectorELNS0_4arch9wavefront6targetE1EEEvSM_
                                        ; -- End function
	.set _ZN7rocprim17ROCPRIM_400000_NS6detail17trampoline_kernelINS0_14default_configENS1_22reduce_config_selectorIlEEZNS1_11reduce_implILb1ES3_PlS7_lN6hipcub16HIPCUB_304000_NS6detail34convert_binary_result_type_wrapperINS9_3SumENS9_22TransformInputIteratorIb7NonZeroIfEPflEElEEEE10hipError_tPvRmT1_T2_T3_mT4_P12ihipStream_tbEUlT_E1_NS1_11comp_targetILNS1_3genE4ELNS1_11target_archE910ELNS1_3gpuE8ELNS1_3repE0EEENS1_30default_config_static_selectorELNS0_4arch9wavefront6targetE1EEEvSM_.num_vgpr, 0
	.set _ZN7rocprim17ROCPRIM_400000_NS6detail17trampoline_kernelINS0_14default_configENS1_22reduce_config_selectorIlEEZNS1_11reduce_implILb1ES3_PlS7_lN6hipcub16HIPCUB_304000_NS6detail34convert_binary_result_type_wrapperINS9_3SumENS9_22TransformInputIteratorIb7NonZeroIfEPflEElEEEE10hipError_tPvRmT1_T2_T3_mT4_P12ihipStream_tbEUlT_E1_NS1_11comp_targetILNS1_3genE4ELNS1_11target_archE910ELNS1_3gpuE8ELNS1_3repE0EEENS1_30default_config_static_selectorELNS0_4arch9wavefront6targetE1EEEvSM_.num_agpr, 0
	.set _ZN7rocprim17ROCPRIM_400000_NS6detail17trampoline_kernelINS0_14default_configENS1_22reduce_config_selectorIlEEZNS1_11reduce_implILb1ES3_PlS7_lN6hipcub16HIPCUB_304000_NS6detail34convert_binary_result_type_wrapperINS9_3SumENS9_22TransformInputIteratorIb7NonZeroIfEPflEElEEEE10hipError_tPvRmT1_T2_T3_mT4_P12ihipStream_tbEUlT_E1_NS1_11comp_targetILNS1_3genE4ELNS1_11target_archE910ELNS1_3gpuE8ELNS1_3repE0EEENS1_30default_config_static_selectorELNS0_4arch9wavefront6targetE1EEEvSM_.numbered_sgpr, 0
	.set _ZN7rocprim17ROCPRIM_400000_NS6detail17trampoline_kernelINS0_14default_configENS1_22reduce_config_selectorIlEEZNS1_11reduce_implILb1ES3_PlS7_lN6hipcub16HIPCUB_304000_NS6detail34convert_binary_result_type_wrapperINS9_3SumENS9_22TransformInputIteratorIb7NonZeroIfEPflEElEEEE10hipError_tPvRmT1_T2_T3_mT4_P12ihipStream_tbEUlT_E1_NS1_11comp_targetILNS1_3genE4ELNS1_11target_archE910ELNS1_3gpuE8ELNS1_3repE0EEENS1_30default_config_static_selectorELNS0_4arch9wavefront6targetE1EEEvSM_.num_named_barrier, 0
	.set _ZN7rocprim17ROCPRIM_400000_NS6detail17trampoline_kernelINS0_14default_configENS1_22reduce_config_selectorIlEEZNS1_11reduce_implILb1ES3_PlS7_lN6hipcub16HIPCUB_304000_NS6detail34convert_binary_result_type_wrapperINS9_3SumENS9_22TransformInputIteratorIb7NonZeroIfEPflEElEEEE10hipError_tPvRmT1_T2_T3_mT4_P12ihipStream_tbEUlT_E1_NS1_11comp_targetILNS1_3genE4ELNS1_11target_archE910ELNS1_3gpuE8ELNS1_3repE0EEENS1_30default_config_static_selectorELNS0_4arch9wavefront6targetE1EEEvSM_.private_seg_size, 0
	.set _ZN7rocprim17ROCPRIM_400000_NS6detail17trampoline_kernelINS0_14default_configENS1_22reduce_config_selectorIlEEZNS1_11reduce_implILb1ES3_PlS7_lN6hipcub16HIPCUB_304000_NS6detail34convert_binary_result_type_wrapperINS9_3SumENS9_22TransformInputIteratorIb7NonZeroIfEPflEElEEEE10hipError_tPvRmT1_T2_T3_mT4_P12ihipStream_tbEUlT_E1_NS1_11comp_targetILNS1_3genE4ELNS1_11target_archE910ELNS1_3gpuE8ELNS1_3repE0EEENS1_30default_config_static_selectorELNS0_4arch9wavefront6targetE1EEEvSM_.uses_vcc, 0
	.set _ZN7rocprim17ROCPRIM_400000_NS6detail17trampoline_kernelINS0_14default_configENS1_22reduce_config_selectorIlEEZNS1_11reduce_implILb1ES3_PlS7_lN6hipcub16HIPCUB_304000_NS6detail34convert_binary_result_type_wrapperINS9_3SumENS9_22TransformInputIteratorIb7NonZeroIfEPflEElEEEE10hipError_tPvRmT1_T2_T3_mT4_P12ihipStream_tbEUlT_E1_NS1_11comp_targetILNS1_3genE4ELNS1_11target_archE910ELNS1_3gpuE8ELNS1_3repE0EEENS1_30default_config_static_selectorELNS0_4arch9wavefront6targetE1EEEvSM_.uses_flat_scratch, 0
	.set _ZN7rocprim17ROCPRIM_400000_NS6detail17trampoline_kernelINS0_14default_configENS1_22reduce_config_selectorIlEEZNS1_11reduce_implILb1ES3_PlS7_lN6hipcub16HIPCUB_304000_NS6detail34convert_binary_result_type_wrapperINS9_3SumENS9_22TransformInputIteratorIb7NonZeroIfEPflEElEEEE10hipError_tPvRmT1_T2_T3_mT4_P12ihipStream_tbEUlT_E1_NS1_11comp_targetILNS1_3genE4ELNS1_11target_archE910ELNS1_3gpuE8ELNS1_3repE0EEENS1_30default_config_static_selectorELNS0_4arch9wavefront6targetE1EEEvSM_.has_dyn_sized_stack, 0
	.set _ZN7rocprim17ROCPRIM_400000_NS6detail17trampoline_kernelINS0_14default_configENS1_22reduce_config_selectorIlEEZNS1_11reduce_implILb1ES3_PlS7_lN6hipcub16HIPCUB_304000_NS6detail34convert_binary_result_type_wrapperINS9_3SumENS9_22TransformInputIteratorIb7NonZeroIfEPflEElEEEE10hipError_tPvRmT1_T2_T3_mT4_P12ihipStream_tbEUlT_E1_NS1_11comp_targetILNS1_3genE4ELNS1_11target_archE910ELNS1_3gpuE8ELNS1_3repE0EEENS1_30default_config_static_selectorELNS0_4arch9wavefront6targetE1EEEvSM_.has_recursion, 0
	.set _ZN7rocprim17ROCPRIM_400000_NS6detail17trampoline_kernelINS0_14default_configENS1_22reduce_config_selectorIlEEZNS1_11reduce_implILb1ES3_PlS7_lN6hipcub16HIPCUB_304000_NS6detail34convert_binary_result_type_wrapperINS9_3SumENS9_22TransformInputIteratorIb7NonZeroIfEPflEElEEEE10hipError_tPvRmT1_T2_T3_mT4_P12ihipStream_tbEUlT_E1_NS1_11comp_targetILNS1_3genE4ELNS1_11target_archE910ELNS1_3gpuE8ELNS1_3repE0EEENS1_30default_config_static_selectorELNS0_4arch9wavefront6targetE1EEEvSM_.has_indirect_call, 0
	.section	.AMDGPU.csdata,"",@progbits
; Kernel info:
; codeLenInByte = 0
; TotalNumSgprs: 6
; NumVgprs: 0
; NumAgprs: 0
; TotalNumVgprs: 0
; ScratchSize: 0
; MemoryBound: 0
; FloatMode: 240
; IeeeMode: 1
; LDSByteSize: 0 bytes/workgroup (compile time only)
; SGPRBlocks: 0
; VGPRBlocks: 0
; NumSGPRsForWavesPerEU: 6
; NumVGPRsForWavesPerEU: 1
; AccumOffset: 4
; Occupancy: 8
; WaveLimiterHint : 0
; COMPUTE_PGM_RSRC2:SCRATCH_EN: 0
; COMPUTE_PGM_RSRC2:USER_SGPR: 2
; COMPUTE_PGM_RSRC2:TRAP_HANDLER: 0
; COMPUTE_PGM_RSRC2:TGID_X_EN: 1
; COMPUTE_PGM_RSRC2:TGID_Y_EN: 0
; COMPUTE_PGM_RSRC2:TGID_Z_EN: 0
; COMPUTE_PGM_RSRC2:TIDIG_COMP_CNT: 0
; COMPUTE_PGM_RSRC3_GFX90A:ACCUM_OFFSET: 0
; COMPUTE_PGM_RSRC3_GFX90A:TG_SPLIT: 0
	.section	.text._ZN7rocprim17ROCPRIM_400000_NS6detail17trampoline_kernelINS0_14default_configENS1_22reduce_config_selectorIlEEZNS1_11reduce_implILb1ES3_PlS7_lN6hipcub16HIPCUB_304000_NS6detail34convert_binary_result_type_wrapperINS9_3SumENS9_22TransformInputIteratorIb7NonZeroIfEPflEElEEEE10hipError_tPvRmT1_T2_T3_mT4_P12ihipStream_tbEUlT_E1_NS1_11comp_targetILNS1_3genE3ELNS1_11target_archE908ELNS1_3gpuE7ELNS1_3repE0EEENS1_30default_config_static_selectorELNS0_4arch9wavefront6targetE1EEEvSM_,"axG",@progbits,_ZN7rocprim17ROCPRIM_400000_NS6detail17trampoline_kernelINS0_14default_configENS1_22reduce_config_selectorIlEEZNS1_11reduce_implILb1ES3_PlS7_lN6hipcub16HIPCUB_304000_NS6detail34convert_binary_result_type_wrapperINS9_3SumENS9_22TransformInputIteratorIb7NonZeroIfEPflEElEEEE10hipError_tPvRmT1_T2_T3_mT4_P12ihipStream_tbEUlT_E1_NS1_11comp_targetILNS1_3genE3ELNS1_11target_archE908ELNS1_3gpuE7ELNS1_3repE0EEENS1_30default_config_static_selectorELNS0_4arch9wavefront6targetE1EEEvSM_,comdat
	.protected	_ZN7rocprim17ROCPRIM_400000_NS6detail17trampoline_kernelINS0_14default_configENS1_22reduce_config_selectorIlEEZNS1_11reduce_implILb1ES3_PlS7_lN6hipcub16HIPCUB_304000_NS6detail34convert_binary_result_type_wrapperINS9_3SumENS9_22TransformInputIteratorIb7NonZeroIfEPflEElEEEE10hipError_tPvRmT1_T2_T3_mT4_P12ihipStream_tbEUlT_E1_NS1_11comp_targetILNS1_3genE3ELNS1_11target_archE908ELNS1_3gpuE7ELNS1_3repE0EEENS1_30default_config_static_selectorELNS0_4arch9wavefront6targetE1EEEvSM_ ; -- Begin function _ZN7rocprim17ROCPRIM_400000_NS6detail17trampoline_kernelINS0_14default_configENS1_22reduce_config_selectorIlEEZNS1_11reduce_implILb1ES3_PlS7_lN6hipcub16HIPCUB_304000_NS6detail34convert_binary_result_type_wrapperINS9_3SumENS9_22TransformInputIteratorIb7NonZeroIfEPflEElEEEE10hipError_tPvRmT1_T2_T3_mT4_P12ihipStream_tbEUlT_E1_NS1_11comp_targetILNS1_3genE3ELNS1_11target_archE908ELNS1_3gpuE7ELNS1_3repE0EEENS1_30default_config_static_selectorELNS0_4arch9wavefront6targetE1EEEvSM_
	.globl	_ZN7rocprim17ROCPRIM_400000_NS6detail17trampoline_kernelINS0_14default_configENS1_22reduce_config_selectorIlEEZNS1_11reduce_implILb1ES3_PlS7_lN6hipcub16HIPCUB_304000_NS6detail34convert_binary_result_type_wrapperINS9_3SumENS9_22TransformInputIteratorIb7NonZeroIfEPflEElEEEE10hipError_tPvRmT1_T2_T3_mT4_P12ihipStream_tbEUlT_E1_NS1_11comp_targetILNS1_3genE3ELNS1_11target_archE908ELNS1_3gpuE7ELNS1_3repE0EEENS1_30default_config_static_selectorELNS0_4arch9wavefront6targetE1EEEvSM_
	.p2align	8
	.type	_ZN7rocprim17ROCPRIM_400000_NS6detail17trampoline_kernelINS0_14default_configENS1_22reduce_config_selectorIlEEZNS1_11reduce_implILb1ES3_PlS7_lN6hipcub16HIPCUB_304000_NS6detail34convert_binary_result_type_wrapperINS9_3SumENS9_22TransformInputIteratorIb7NonZeroIfEPflEElEEEE10hipError_tPvRmT1_T2_T3_mT4_P12ihipStream_tbEUlT_E1_NS1_11comp_targetILNS1_3genE3ELNS1_11target_archE908ELNS1_3gpuE7ELNS1_3repE0EEENS1_30default_config_static_selectorELNS0_4arch9wavefront6targetE1EEEvSM_,@function
_ZN7rocprim17ROCPRIM_400000_NS6detail17trampoline_kernelINS0_14default_configENS1_22reduce_config_selectorIlEEZNS1_11reduce_implILb1ES3_PlS7_lN6hipcub16HIPCUB_304000_NS6detail34convert_binary_result_type_wrapperINS9_3SumENS9_22TransformInputIteratorIb7NonZeroIfEPflEElEEEE10hipError_tPvRmT1_T2_T3_mT4_P12ihipStream_tbEUlT_E1_NS1_11comp_targetILNS1_3genE3ELNS1_11target_archE908ELNS1_3gpuE7ELNS1_3repE0EEENS1_30default_config_static_selectorELNS0_4arch9wavefront6targetE1EEEvSM_: ; @_ZN7rocprim17ROCPRIM_400000_NS6detail17trampoline_kernelINS0_14default_configENS1_22reduce_config_selectorIlEEZNS1_11reduce_implILb1ES3_PlS7_lN6hipcub16HIPCUB_304000_NS6detail34convert_binary_result_type_wrapperINS9_3SumENS9_22TransformInputIteratorIb7NonZeroIfEPflEElEEEE10hipError_tPvRmT1_T2_T3_mT4_P12ihipStream_tbEUlT_E1_NS1_11comp_targetILNS1_3genE3ELNS1_11target_archE908ELNS1_3gpuE7ELNS1_3repE0EEENS1_30default_config_static_selectorELNS0_4arch9wavefront6targetE1EEEvSM_
; %bb.0:
	.section	.rodata,"a",@progbits
	.p2align	6, 0x0
	.amdhsa_kernel _ZN7rocprim17ROCPRIM_400000_NS6detail17trampoline_kernelINS0_14default_configENS1_22reduce_config_selectorIlEEZNS1_11reduce_implILb1ES3_PlS7_lN6hipcub16HIPCUB_304000_NS6detail34convert_binary_result_type_wrapperINS9_3SumENS9_22TransformInputIteratorIb7NonZeroIfEPflEElEEEE10hipError_tPvRmT1_T2_T3_mT4_P12ihipStream_tbEUlT_E1_NS1_11comp_targetILNS1_3genE3ELNS1_11target_archE908ELNS1_3gpuE7ELNS1_3repE0EEENS1_30default_config_static_selectorELNS0_4arch9wavefront6targetE1EEEvSM_
		.amdhsa_group_segment_fixed_size 0
		.amdhsa_private_segment_fixed_size 0
		.amdhsa_kernarg_size 48
		.amdhsa_user_sgpr_count 2
		.amdhsa_user_sgpr_dispatch_ptr 0
		.amdhsa_user_sgpr_queue_ptr 0
		.amdhsa_user_sgpr_kernarg_segment_ptr 1
		.amdhsa_user_sgpr_dispatch_id 0
		.amdhsa_user_sgpr_kernarg_preload_length 0
		.amdhsa_user_sgpr_kernarg_preload_offset 0
		.amdhsa_user_sgpr_private_segment_size 0
		.amdhsa_uses_dynamic_stack 0
		.amdhsa_enable_private_segment 0
		.amdhsa_system_sgpr_workgroup_id_x 1
		.amdhsa_system_sgpr_workgroup_id_y 0
		.amdhsa_system_sgpr_workgroup_id_z 0
		.amdhsa_system_sgpr_workgroup_info 0
		.amdhsa_system_vgpr_workitem_id 0
		.amdhsa_next_free_vgpr 1
		.amdhsa_next_free_sgpr 0
		.amdhsa_accum_offset 4
		.amdhsa_reserve_vcc 0
		.amdhsa_float_round_mode_32 0
		.amdhsa_float_round_mode_16_64 0
		.amdhsa_float_denorm_mode_32 3
		.amdhsa_float_denorm_mode_16_64 3
		.amdhsa_dx10_clamp 1
		.amdhsa_ieee_mode 1
		.amdhsa_fp16_overflow 0
		.amdhsa_tg_split 0
		.amdhsa_exception_fp_ieee_invalid_op 0
		.amdhsa_exception_fp_denorm_src 0
		.amdhsa_exception_fp_ieee_div_zero 0
		.amdhsa_exception_fp_ieee_overflow 0
		.amdhsa_exception_fp_ieee_underflow 0
		.amdhsa_exception_fp_ieee_inexact 0
		.amdhsa_exception_int_div_zero 0
	.end_amdhsa_kernel
	.section	.text._ZN7rocprim17ROCPRIM_400000_NS6detail17trampoline_kernelINS0_14default_configENS1_22reduce_config_selectorIlEEZNS1_11reduce_implILb1ES3_PlS7_lN6hipcub16HIPCUB_304000_NS6detail34convert_binary_result_type_wrapperINS9_3SumENS9_22TransformInputIteratorIb7NonZeroIfEPflEElEEEE10hipError_tPvRmT1_T2_T3_mT4_P12ihipStream_tbEUlT_E1_NS1_11comp_targetILNS1_3genE3ELNS1_11target_archE908ELNS1_3gpuE7ELNS1_3repE0EEENS1_30default_config_static_selectorELNS0_4arch9wavefront6targetE1EEEvSM_,"axG",@progbits,_ZN7rocprim17ROCPRIM_400000_NS6detail17trampoline_kernelINS0_14default_configENS1_22reduce_config_selectorIlEEZNS1_11reduce_implILb1ES3_PlS7_lN6hipcub16HIPCUB_304000_NS6detail34convert_binary_result_type_wrapperINS9_3SumENS9_22TransformInputIteratorIb7NonZeroIfEPflEElEEEE10hipError_tPvRmT1_T2_T3_mT4_P12ihipStream_tbEUlT_E1_NS1_11comp_targetILNS1_3genE3ELNS1_11target_archE908ELNS1_3gpuE7ELNS1_3repE0EEENS1_30default_config_static_selectorELNS0_4arch9wavefront6targetE1EEEvSM_,comdat
.Lfunc_end229:
	.size	_ZN7rocprim17ROCPRIM_400000_NS6detail17trampoline_kernelINS0_14default_configENS1_22reduce_config_selectorIlEEZNS1_11reduce_implILb1ES3_PlS7_lN6hipcub16HIPCUB_304000_NS6detail34convert_binary_result_type_wrapperINS9_3SumENS9_22TransformInputIteratorIb7NonZeroIfEPflEElEEEE10hipError_tPvRmT1_T2_T3_mT4_P12ihipStream_tbEUlT_E1_NS1_11comp_targetILNS1_3genE3ELNS1_11target_archE908ELNS1_3gpuE7ELNS1_3repE0EEENS1_30default_config_static_selectorELNS0_4arch9wavefront6targetE1EEEvSM_, .Lfunc_end229-_ZN7rocprim17ROCPRIM_400000_NS6detail17trampoline_kernelINS0_14default_configENS1_22reduce_config_selectorIlEEZNS1_11reduce_implILb1ES3_PlS7_lN6hipcub16HIPCUB_304000_NS6detail34convert_binary_result_type_wrapperINS9_3SumENS9_22TransformInputIteratorIb7NonZeroIfEPflEElEEEE10hipError_tPvRmT1_T2_T3_mT4_P12ihipStream_tbEUlT_E1_NS1_11comp_targetILNS1_3genE3ELNS1_11target_archE908ELNS1_3gpuE7ELNS1_3repE0EEENS1_30default_config_static_selectorELNS0_4arch9wavefront6targetE1EEEvSM_
                                        ; -- End function
	.set _ZN7rocprim17ROCPRIM_400000_NS6detail17trampoline_kernelINS0_14default_configENS1_22reduce_config_selectorIlEEZNS1_11reduce_implILb1ES3_PlS7_lN6hipcub16HIPCUB_304000_NS6detail34convert_binary_result_type_wrapperINS9_3SumENS9_22TransformInputIteratorIb7NonZeroIfEPflEElEEEE10hipError_tPvRmT1_T2_T3_mT4_P12ihipStream_tbEUlT_E1_NS1_11comp_targetILNS1_3genE3ELNS1_11target_archE908ELNS1_3gpuE7ELNS1_3repE0EEENS1_30default_config_static_selectorELNS0_4arch9wavefront6targetE1EEEvSM_.num_vgpr, 0
	.set _ZN7rocprim17ROCPRIM_400000_NS6detail17trampoline_kernelINS0_14default_configENS1_22reduce_config_selectorIlEEZNS1_11reduce_implILb1ES3_PlS7_lN6hipcub16HIPCUB_304000_NS6detail34convert_binary_result_type_wrapperINS9_3SumENS9_22TransformInputIteratorIb7NonZeroIfEPflEElEEEE10hipError_tPvRmT1_T2_T3_mT4_P12ihipStream_tbEUlT_E1_NS1_11comp_targetILNS1_3genE3ELNS1_11target_archE908ELNS1_3gpuE7ELNS1_3repE0EEENS1_30default_config_static_selectorELNS0_4arch9wavefront6targetE1EEEvSM_.num_agpr, 0
	.set _ZN7rocprim17ROCPRIM_400000_NS6detail17trampoline_kernelINS0_14default_configENS1_22reduce_config_selectorIlEEZNS1_11reduce_implILb1ES3_PlS7_lN6hipcub16HIPCUB_304000_NS6detail34convert_binary_result_type_wrapperINS9_3SumENS9_22TransformInputIteratorIb7NonZeroIfEPflEElEEEE10hipError_tPvRmT1_T2_T3_mT4_P12ihipStream_tbEUlT_E1_NS1_11comp_targetILNS1_3genE3ELNS1_11target_archE908ELNS1_3gpuE7ELNS1_3repE0EEENS1_30default_config_static_selectorELNS0_4arch9wavefront6targetE1EEEvSM_.numbered_sgpr, 0
	.set _ZN7rocprim17ROCPRIM_400000_NS6detail17trampoline_kernelINS0_14default_configENS1_22reduce_config_selectorIlEEZNS1_11reduce_implILb1ES3_PlS7_lN6hipcub16HIPCUB_304000_NS6detail34convert_binary_result_type_wrapperINS9_3SumENS9_22TransformInputIteratorIb7NonZeroIfEPflEElEEEE10hipError_tPvRmT1_T2_T3_mT4_P12ihipStream_tbEUlT_E1_NS1_11comp_targetILNS1_3genE3ELNS1_11target_archE908ELNS1_3gpuE7ELNS1_3repE0EEENS1_30default_config_static_selectorELNS0_4arch9wavefront6targetE1EEEvSM_.num_named_barrier, 0
	.set _ZN7rocprim17ROCPRIM_400000_NS6detail17trampoline_kernelINS0_14default_configENS1_22reduce_config_selectorIlEEZNS1_11reduce_implILb1ES3_PlS7_lN6hipcub16HIPCUB_304000_NS6detail34convert_binary_result_type_wrapperINS9_3SumENS9_22TransformInputIteratorIb7NonZeroIfEPflEElEEEE10hipError_tPvRmT1_T2_T3_mT4_P12ihipStream_tbEUlT_E1_NS1_11comp_targetILNS1_3genE3ELNS1_11target_archE908ELNS1_3gpuE7ELNS1_3repE0EEENS1_30default_config_static_selectorELNS0_4arch9wavefront6targetE1EEEvSM_.private_seg_size, 0
	.set _ZN7rocprim17ROCPRIM_400000_NS6detail17trampoline_kernelINS0_14default_configENS1_22reduce_config_selectorIlEEZNS1_11reduce_implILb1ES3_PlS7_lN6hipcub16HIPCUB_304000_NS6detail34convert_binary_result_type_wrapperINS9_3SumENS9_22TransformInputIteratorIb7NonZeroIfEPflEElEEEE10hipError_tPvRmT1_T2_T3_mT4_P12ihipStream_tbEUlT_E1_NS1_11comp_targetILNS1_3genE3ELNS1_11target_archE908ELNS1_3gpuE7ELNS1_3repE0EEENS1_30default_config_static_selectorELNS0_4arch9wavefront6targetE1EEEvSM_.uses_vcc, 0
	.set _ZN7rocprim17ROCPRIM_400000_NS6detail17trampoline_kernelINS0_14default_configENS1_22reduce_config_selectorIlEEZNS1_11reduce_implILb1ES3_PlS7_lN6hipcub16HIPCUB_304000_NS6detail34convert_binary_result_type_wrapperINS9_3SumENS9_22TransformInputIteratorIb7NonZeroIfEPflEElEEEE10hipError_tPvRmT1_T2_T3_mT4_P12ihipStream_tbEUlT_E1_NS1_11comp_targetILNS1_3genE3ELNS1_11target_archE908ELNS1_3gpuE7ELNS1_3repE0EEENS1_30default_config_static_selectorELNS0_4arch9wavefront6targetE1EEEvSM_.uses_flat_scratch, 0
	.set _ZN7rocprim17ROCPRIM_400000_NS6detail17trampoline_kernelINS0_14default_configENS1_22reduce_config_selectorIlEEZNS1_11reduce_implILb1ES3_PlS7_lN6hipcub16HIPCUB_304000_NS6detail34convert_binary_result_type_wrapperINS9_3SumENS9_22TransformInputIteratorIb7NonZeroIfEPflEElEEEE10hipError_tPvRmT1_T2_T3_mT4_P12ihipStream_tbEUlT_E1_NS1_11comp_targetILNS1_3genE3ELNS1_11target_archE908ELNS1_3gpuE7ELNS1_3repE0EEENS1_30default_config_static_selectorELNS0_4arch9wavefront6targetE1EEEvSM_.has_dyn_sized_stack, 0
	.set _ZN7rocprim17ROCPRIM_400000_NS6detail17trampoline_kernelINS0_14default_configENS1_22reduce_config_selectorIlEEZNS1_11reduce_implILb1ES3_PlS7_lN6hipcub16HIPCUB_304000_NS6detail34convert_binary_result_type_wrapperINS9_3SumENS9_22TransformInputIteratorIb7NonZeroIfEPflEElEEEE10hipError_tPvRmT1_T2_T3_mT4_P12ihipStream_tbEUlT_E1_NS1_11comp_targetILNS1_3genE3ELNS1_11target_archE908ELNS1_3gpuE7ELNS1_3repE0EEENS1_30default_config_static_selectorELNS0_4arch9wavefront6targetE1EEEvSM_.has_recursion, 0
	.set _ZN7rocprim17ROCPRIM_400000_NS6detail17trampoline_kernelINS0_14default_configENS1_22reduce_config_selectorIlEEZNS1_11reduce_implILb1ES3_PlS7_lN6hipcub16HIPCUB_304000_NS6detail34convert_binary_result_type_wrapperINS9_3SumENS9_22TransformInputIteratorIb7NonZeroIfEPflEElEEEE10hipError_tPvRmT1_T2_T3_mT4_P12ihipStream_tbEUlT_E1_NS1_11comp_targetILNS1_3genE3ELNS1_11target_archE908ELNS1_3gpuE7ELNS1_3repE0EEENS1_30default_config_static_selectorELNS0_4arch9wavefront6targetE1EEEvSM_.has_indirect_call, 0
	.section	.AMDGPU.csdata,"",@progbits
; Kernel info:
; codeLenInByte = 0
; TotalNumSgprs: 6
; NumVgprs: 0
; NumAgprs: 0
; TotalNumVgprs: 0
; ScratchSize: 0
; MemoryBound: 0
; FloatMode: 240
; IeeeMode: 1
; LDSByteSize: 0 bytes/workgroup (compile time only)
; SGPRBlocks: 0
; VGPRBlocks: 0
; NumSGPRsForWavesPerEU: 6
; NumVGPRsForWavesPerEU: 1
; AccumOffset: 4
; Occupancy: 8
; WaveLimiterHint : 0
; COMPUTE_PGM_RSRC2:SCRATCH_EN: 0
; COMPUTE_PGM_RSRC2:USER_SGPR: 2
; COMPUTE_PGM_RSRC2:TRAP_HANDLER: 0
; COMPUTE_PGM_RSRC2:TGID_X_EN: 1
; COMPUTE_PGM_RSRC2:TGID_Y_EN: 0
; COMPUTE_PGM_RSRC2:TGID_Z_EN: 0
; COMPUTE_PGM_RSRC2:TIDIG_COMP_CNT: 0
; COMPUTE_PGM_RSRC3_GFX90A:ACCUM_OFFSET: 0
; COMPUTE_PGM_RSRC3_GFX90A:TG_SPLIT: 0
	.section	.text._ZN7rocprim17ROCPRIM_400000_NS6detail17trampoline_kernelINS0_14default_configENS1_22reduce_config_selectorIlEEZNS1_11reduce_implILb1ES3_PlS7_lN6hipcub16HIPCUB_304000_NS6detail34convert_binary_result_type_wrapperINS9_3SumENS9_22TransformInputIteratorIb7NonZeroIfEPflEElEEEE10hipError_tPvRmT1_T2_T3_mT4_P12ihipStream_tbEUlT_E1_NS1_11comp_targetILNS1_3genE2ELNS1_11target_archE906ELNS1_3gpuE6ELNS1_3repE0EEENS1_30default_config_static_selectorELNS0_4arch9wavefront6targetE1EEEvSM_,"axG",@progbits,_ZN7rocprim17ROCPRIM_400000_NS6detail17trampoline_kernelINS0_14default_configENS1_22reduce_config_selectorIlEEZNS1_11reduce_implILb1ES3_PlS7_lN6hipcub16HIPCUB_304000_NS6detail34convert_binary_result_type_wrapperINS9_3SumENS9_22TransformInputIteratorIb7NonZeroIfEPflEElEEEE10hipError_tPvRmT1_T2_T3_mT4_P12ihipStream_tbEUlT_E1_NS1_11comp_targetILNS1_3genE2ELNS1_11target_archE906ELNS1_3gpuE6ELNS1_3repE0EEENS1_30default_config_static_selectorELNS0_4arch9wavefront6targetE1EEEvSM_,comdat
	.protected	_ZN7rocprim17ROCPRIM_400000_NS6detail17trampoline_kernelINS0_14default_configENS1_22reduce_config_selectorIlEEZNS1_11reduce_implILb1ES3_PlS7_lN6hipcub16HIPCUB_304000_NS6detail34convert_binary_result_type_wrapperINS9_3SumENS9_22TransformInputIteratorIb7NonZeroIfEPflEElEEEE10hipError_tPvRmT1_T2_T3_mT4_P12ihipStream_tbEUlT_E1_NS1_11comp_targetILNS1_3genE2ELNS1_11target_archE906ELNS1_3gpuE6ELNS1_3repE0EEENS1_30default_config_static_selectorELNS0_4arch9wavefront6targetE1EEEvSM_ ; -- Begin function _ZN7rocprim17ROCPRIM_400000_NS6detail17trampoline_kernelINS0_14default_configENS1_22reduce_config_selectorIlEEZNS1_11reduce_implILb1ES3_PlS7_lN6hipcub16HIPCUB_304000_NS6detail34convert_binary_result_type_wrapperINS9_3SumENS9_22TransformInputIteratorIb7NonZeroIfEPflEElEEEE10hipError_tPvRmT1_T2_T3_mT4_P12ihipStream_tbEUlT_E1_NS1_11comp_targetILNS1_3genE2ELNS1_11target_archE906ELNS1_3gpuE6ELNS1_3repE0EEENS1_30default_config_static_selectorELNS0_4arch9wavefront6targetE1EEEvSM_
	.globl	_ZN7rocprim17ROCPRIM_400000_NS6detail17trampoline_kernelINS0_14default_configENS1_22reduce_config_selectorIlEEZNS1_11reduce_implILb1ES3_PlS7_lN6hipcub16HIPCUB_304000_NS6detail34convert_binary_result_type_wrapperINS9_3SumENS9_22TransformInputIteratorIb7NonZeroIfEPflEElEEEE10hipError_tPvRmT1_T2_T3_mT4_P12ihipStream_tbEUlT_E1_NS1_11comp_targetILNS1_3genE2ELNS1_11target_archE906ELNS1_3gpuE6ELNS1_3repE0EEENS1_30default_config_static_selectorELNS0_4arch9wavefront6targetE1EEEvSM_
	.p2align	8
	.type	_ZN7rocprim17ROCPRIM_400000_NS6detail17trampoline_kernelINS0_14default_configENS1_22reduce_config_selectorIlEEZNS1_11reduce_implILb1ES3_PlS7_lN6hipcub16HIPCUB_304000_NS6detail34convert_binary_result_type_wrapperINS9_3SumENS9_22TransformInputIteratorIb7NonZeroIfEPflEElEEEE10hipError_tPvRmT1_T2_T3_mT4_P12ihipStream_tbEUlT_E1_NS1_11comp_targetILNS1_3genE2ELNS1_11target_archE906ELNS1_3gpuE6ELNS1_3repE0EEENS1_30default_config_static_selectorELNS0_4arch9wavefront6targetE1EEEvSM_,@function
_ZN7rocprim17ROCPRIM_400000_NS6detail17trampoline_kernelINS0_14default_configENS1_22reduce_config_selectorIlEEZNS1_11reduce_implILb1ES3_PlS7_lN6hipcub16HIPCUB_304000_NS6detail34convert_binary_result_type_wrapperINS9_3SumENS9_22TransformInputIteratorIb7NonZeroIfEPflEElEEEE10hipError_tPvRmT1_T2_T3_mT4_P12ihipStream_tbEUlT_E1_NS1_11comp_targetILNS1_3genE2ELNS1_11target_archE906ELNS1_3gpuE6ELNS1_3repE0EEENS1_30default_config_static_selectorELNS0_4arch9wavefront6targetE1EEEvSM_: ; @_ZN7rocprim17ROCPRIM_400000_NS6detail17trampoline_kernelINS0_14default_configENS1_22reduce_config_selectorIlEEZNS1_11reduce_implILb1ES3_PlS7_lN6hipcub16HIPCUB_304000_NS6detail34convert_binary_result_type_wrapperINS9_3SumENS9_22TransformInputIteratorIb7NonZeroIfEPflEElEEEE10hipError_tPvRmT1_T2_T3_mT4_P12ihipStream_tbEUlT_E1_NS1_11comp_targetILNS1_3genE2ELNS1_11target_archE906ELNS1_3gpuE6ELNS1_3repE0EEENS1_30default_config_static_selectorELNS0_4arch9wavefront6targetE1EEEvSM_
; %bb.0:
	.section	.rodata,"a",@progbits
	.p2align	6, 0x0
	.amdhsa_kernel _ZN7rocprim17ROCPRIM_400000_NS6detail17trampoline_kernelINS0_14default_configENS1_22reduce_config_selectorIlEEZNS1_11reduce_implILb1ES3_PlS7_lN6hipcub16HIPCUB_304000_NS6detail34convert_binary_result_type_wrapperINS9_3SumENS9_22TransformInputIteratorIb7NonZeroIfEPflEElEEEE10hipError_tPvRmT1_T2_T3_mT4_P12ihipStream_tbEUlT_E1_NS1_11comp_targetILNS1_3genE2ELNS1_11target_archE906ELNS1_3gpuE6ELNS1_3repE0EEENS1_30default_config_static_selectorELNS0_4arch9wavefront6targetE1EEEvSM_
		.amdhsa_group_segment_fixed_size 0
		.amdhsa_private_segment_fixed_size 0
		.amdhsa_kernarg_size 48
		.amdhsa_user_sgpr_count 2
		.amdhsa_user_sgpr_dispatch_ptr 0
		.amdhsa_user_sgpr_queue_ptr 0
		.amdhsa_user_sgpr_kernarg_segment_ptr 1
		.amdhsa_user_sgpr_dispatch_id 0
		.amdhsa_user_sgpr_kernarg_preload_length 0
		.amdhsa_user_sgpr_kernarg_preload_offset 0
		.amdhsa_user_sgpr_private_segment_size 0
		.amdhsa_uses_dynamic_stack 0
		.amdhsa_enable_private_segment 0
		.amdhsa_system_sgpr_workgroup_id_x 1
		.amdhsa_system_sgpr_workgroup_id_y 0
		.amdhsa_system_sgpr_workgroup_id_z 0
		.amdhsa_system_sgpr_workgroup_info 0
		.amdhsa_system_vgpr_workitem_id 0
		.amdhsa_next_free_vgpr 1
		.amdhsa_next_free_sgpr 0
		.amdhsa_accum_offset 4
		.amdhsa_reserve_vcc 0
		.amdhsa_float_round_mode_32 0
		.amdhsa_float_round_mode_16_64 0
		.amdhsa_float_denorm_mode_32 3
		.amdhsa_float_denorm_mode_16_64 3
		.amdhsa_dx10_clamp 1
		.amdhsa_ieee_mode 1
		.amdhsa_fp16_overflow 0
		.amdhsa_tg_split 0
		.amdhsa_exception_fp_ieee_invalid_op 0
		.amdhsa_exception_fp_denorm_src 0
		.amdhsa_exception_fp_ieee_div_zero 0
		.amdhsa_exception_fp_ieee_overflow 0
		.amdhsa_exception_fp_ieee_underflow 0
		.amdhsa_exception_fp_ieee_inexact 0
		.amdhsa_exception_int_div_zero 0
	.end_amdhsa_kernel
	.section	.text._ZN7rocprim17ROCPRIM_400000_NS6detail17trampoline_kernelINS0_14default_configENS1_22reduce_config_selectorIlEEZNS1_11reduce_implILb1ES3_PlS7_lN6hipcub16HIPCUB_304000_NS6detail34convert_binary_result_type_wrapperINS9_3SumENS9_22TransformInputIteratorIb7NonZeroIfEPflEElEEEE10hipError_tPvRmT1_T2_T3_mT4_P12ihipStream_tbEUlT_E1_NS1_11comp_targetILNS1_3genE2ELNS1_11target_archE906ELNS1_3gpuE6ELNS1_3repE0EEENS1_30default_config_static_selectorELNS0_4arch9wavefront6targetE1EEEvSM_,"axG",@progbits,_ZN7rocprim17ROCPRIM_400000_NS6detail17trampoline_kernelINS0_14default_configENS1_22reduce_config_selectorIlEEZNS1_11reduce_implILb1ES3_PlS7_lN6hipcub16HIPCUB_304000_NS6detail34convert_binary_result_type_wrapperINS9_3SumENS9_22TransformInputIteratorIb7NonZeroIfEPflEElEEEE10hipError_tPvRmT1_T2_T3_mT4_P12ihipStream_tbEUlT_E1_NS1_11comp_targetILNS1_3genE2ELNS1_11target_archE906ELNS1_3gpuE6ELNS1_3repE0EEENS1_30default_config_static_selectorELNS0_4arch9wavefront6targetE1EEEvSM_,comdat
.Lfunc_end230:
	.size	_ZN7rocprim17ROCPRIM_400000_NS6detail17trampoline_kernelINS0_14default_configENS1_22reduce_config_selectorIlEEZNS1_11reduce_implILb1ES3_PlS7_lN6hipcub16HIPCUB_304000_NS6detail34convert_binary_result_type_wrapperINS9_3SumENS9_22TransformInputIteratorIb7NonZeroIfEPflEElEEEE10hipError_tPvRmT1_T2_T3_mT4_P12ihipStream_tbEUlT_E1_NS1_11comp_targetILNS1_3genE2ELNS1_11target_archE906ELNS1_3gpuE6ELNS1_3repE0EEENS1_30default_config_static_selectorELNS0_4arch9wavefront6targetE1EEEvSM_, .Lfunc_end230-_ZN7rocprim17ROCPRIM_400000_NS6detail17trampoline_kernelINS0_14default_configENS1_22reduce_config_selectorIlEEZNS1_11reduce_implILb1ES3_PlS7_lN6hipcub16HIPCUB_304000_NS6detail34convert_binary_result_type_wrapperINS9_3SumENS9_22TransformInputIteratorIb7NonZeroIfEPflEElEEEE10hipError_tPvRmT1_T2_T3_mT4_P12ihipStream_tbEUlT_E1_NS1_11comp_targetILNS1_3genE2ELNS1_11target_archE906ELNS1_3gpuE6ELNS1_3repE0EEENS1_30default_config_static_selectorELNS0_4arch9wavefront6targetE1EEEvSM_
                                        ; -- End function
	.set _ZN7rocprim17ROCPRIM_400000_NS6detail17trampoline_kernelINS0_14default_configENS1_22reduce_config_selectorIlEEZNS1_11reduce_implILb1ES3_PlS7_lN6hipcub16HIPCUB_304000_NS6detail34convert_binary_result_type_wrapperINS9_3SumENS9_22TransformInputIteratorIb7NonZeroIfEPflEElEEEE10hipError_tPvRmT1_T2_T3_mT4_P12ihipStream_tbEUlT_E1_NS1_11comp_targetILNS1_3genE2ELNS1_11target_archE906ELNS1_3gpuE6ELNS1_3repE0EEENS1_30default_config_static_selectorELNS0_4arch9wavefront6targetE1EEEvSM_.num_vgpr, 0
	.set _ZN7rocprim17ROCPRIM_400000_NS6detail17trampoline_kernelINS0_14default_configENS1_22reduce_config_selectorIlEEZNS1_11reduce_implILb1ES3_PlS7_lN6hipcub16HIPCUB_304000_NS6detail34convert_binary_result_type_wrapperINS9_3SumENS9_22TransformInputIteratorIb7NonZeroIfEPflEElEEEE10hipError_tPvRmT1_T2_T3_mT4_P12ihipStream_tbEUlT_E1_NS1_11comp_targetILNS1_3genE2ELNS1_11target_archE906ELNS1_3gpuE6ELNS1_3repE0EEENS1_30default_config_static_selectorELNS0_4arch9wavefront6targetE1EEEvSM_.num_agpr, 0
	.set _ZN7rocprim17ROCPRIM_400000_NS6detail17trampoline_kernelINS0_14default_configENS1_22reduce_config_selectorIlEEZNS1_11reduce_implILb1ES3_PlS7_lN6hipcub16HIPCUB_304000_NS6detail34convert_binary_result_type_wrapperINS9_3SumENS9_22TransformInputIteratorIb7NonZeroIfEPflEElEEEE10hipError_tPvRmT1_T2_T3_mT4_P12ihipStream_tbEUlT_E1_NS1_11comp_targetILNS1_3genE2ELNS1_11target_archE906ELNS1_3gpuE6ELNS1_3repE0EEENS1_30default_config_static_selectorELNS0_4arch9wavefront6targetE1EEEvSM_.numbered_sgpr, 0
	.set _ZN7rocprim17ROCPRIM_400000_NS6detail17trampoline_kernelINS0_14default_configENS1_22reduce_config_selectorIlEEZNS1_11reduce_implILb1ES3_PlS7_lN6hipcub16HIPCUB_304000_NS6detail34convert_binary_result_type_wrapperINS9_3SumENS9_22TransformInputIteratorIb7NonZeroIfEPflEElEEEE10hipError_tPvRmT1_T2_T3_mT4_P12ihipStream_tbEUlT_E1_NS1_11comp_targetILNS1_3genE2ELNS1_11target_archE906ELNS1_3gpuE6ELNS1_3repE0EEENS1_30default_config_static_selectorELNS0_4arch9wavefront6targetE1EEEvSM_.num_named_barrier, 0
	.set _ZN7rocprim17ROCPRIM_400000_NS6detail17trampoline_kernelINS0_14default_configENS1_22reduce_config_selectorIlEEZNS1_11reduce_implILb1ES3_PlS7_lN6hipcub16HIPCUB_304000_NS6detail34convert_binary_result_type_wrapperINS9_3SumENS9_22TransformInputIteratorIb7NonZeroIfEPflEElEEEE10hipError_tPvRmT1_T2_T3_mT4_P12ihipStream_tbEUlT_E1_NS1_11comp_targetILNS1_3genE2ELNS1_11target_archE906ELNS1_3gpuE6ELNS1_3repE0EEENS1_30default_config_static_selectorELNS0_4arch9wavefront6targetE1EEEvSM_.private_seg_size, 0
	.set _ZN7rocprim17ROCPRIM_400000_NS6detail17trampoline_kernelINS0_14default_configENS1_22reduce_config_selectorIlEEZNS1_11reduce_implILb1ES3_PlS7_lN6hipcub16HIPCUB_304000_NS6detail34convert_binary_result_type_wrapperINS9_3SumENS9_22TransformInputIteratorIb7NonZeroIfEPflEElEEEE10hipError_tPvRmT1_T2_T3_mT4_P12ihipStream_tbEUlT_E1_NS1_11comp_targetILNS1_3genE2ELNS1_11target_archE906ELNS1_3gpuE6ELNS1_3repE0EEENS1_30default_config_static_selectorELNS0_4arch9wavefront6targetE1EEEvSM_.uses_vcc, 0
	.set _ZN7rocprim17ROCPRIM_400000_NS6detail17trampoline_kernelINS0_14default_configENS1_22reduce_config_selectorIlEEZNS1_11reduce_implILb1ES3_PlS7_lN6hipcub16HIPCUB_304000_NS6detail34convert_binary_result_type_wrapperINS9_3SumENS9_22TransformInputIteratorIb7NonZeroIfEPflEElEEEE10hipError_tPvRmT1_T2_T3_mT4_P12ihipStream_tbEUlT_E1_NS1_11comp_targetILNS1_3genE2ELNS1_11target_archE906ELNS1_3gpuE6ELNS1_3repE0EEENS1_30default_config_static_selectorELNS0_4arch9wavefront6targetE1EEEvSM_.uses_flat_scratch, 0
	.set _ZN7rocprim17ROCPRIM_400000_NS6detail17trampoline_kernelINS0_14default_configENS1_22reduce_config_selectorIlEEZNS1_11reduce_implILb1ES3_PlS7_lN6hipcub16HIPCUB_304000_NS6detail34convert_binary_result_type_wrapperINS9_3SumENS9_22TransformInputIteratorIb7NonZeroIfEPflEElEEEE10hipError_tPvRmT1_T2_T3_mT4_P12ihipStream_tbEUlT_E1_NS1_11comp_targetILNS1_3genE2ELNS1_11target_archE906ELNS1_3gpuE6ELNS1_3repE0EEENS1_30default_config_static_selectorELNS0_4arch9wavefront6targetE1EEEvSM_.has_dyn_sized_stack, 0
	.set _ZN7rocprim17ROCPRIM_400000_NS6detail17trampoline_kernelINS0_14default_configENS1_22reduce_config_selectorIlEEZNS1_11reduce_implILb1ES3_PlS7_lN6hipcub16HIPCUB_304000_NS6detail34convert_binary_result_type_wrapperINS9_3SumENS9_22TransformInputIteratorIb7NonZeroIfEPflEElEEEE10hipError_tPvRmT1_T2_T3_mT4_P12ihipStream_tbEUlT_E1_NS1_11comp_targetILNS1_3genE2ELNS1_11target_archE906ELNS1_3gpuE6ELNS1_3repE0EEENS1_30default_config_static_selectorELNS0_4arch9wavefront6targetE1EEEvSM_.has_recursion, 0
	.set _ZN7rocprim17ROCPRIM_400000_NS6detail17trampoline_kernelINS0_14default_configENS1_22reduce_config_selectorIlEEZNS1_11reduce_implILb1ES3_PlS7_lN6hipcub16HIPCUB_304000_NS6detail34convert_binary_result_type_wrapperINS9_3SumENS9_22TransformInputIteratorIb7NonZeroIfEPflEElEEEE10hipError_tPvRmT1_T2_T3_mT4_P12ihipStream_tbEUlT_E1_NS1_11comp_targetILNS1_3genE2ELNS1_11target_archE906ELNS1_3gpuE6ELNS1_3repE0EEENS1_30default_config_static_selectorELNS0_4arch9wavefront6targetE1EEEvSM_.has_indirect_call, 0
	.section	.AMDGPU.csdata,"",@progbits
; Kernel info:
; codeLenInByte = 0
; TotalNumSgprs: 6
; NumVgprs: 0
; NumAgprs: 0
; TotalNumVgprs: 0
; ScratchSize: 0
; MemoryBound: 0
; FloatMode: 240
; IeeeMode: 1
; LDSByteSize: 0 bytes/workgroup (compile time only)
; SGPRBlocks: 0
; VGPRBlocks: 0
; NumSGPRsForWavesPerEU: 6
; NumVGPRsForWavesPerEU: 1
; AccumOffset: 4
; Occupancy: 8
; WaveLimiterHint : 0
; COMPUTE_PGM_RSRC2:SCRATCH_EN: 0
; COMPUTE_PGM_RSRC2:USER_SGPR: 2
; COMPUTE_PGM_RSRC2:TRAP_HANDLER: 0
; COMPUTE_PGM_RSRC2:TGID_X_EN: 1
; COMPUTE_PGM_RSRC2:TGID_Y_EN: 0
; COMPUTE_PGM_RSRC2:TGID_Z_EN: 0
; COMPUTE_PGM_RSRC2:TIDIG_COMP_CNT: 0
; COMPUTE_PGM_RSRC3_GFX90A:ACCUM_OFFSET: 0
; COMPUTE_PGM_RSRC3_GFX90A:TG_SPLIT: 0
	.section	.text._ZN7rocprim17ROCPRIM_400000_NS6detail17trampoline_kernelINS0_14default_configENS1_22reduce_config_selectorIlEEZNS1_11reduce_implILb1ES3_PlS7_lN6hipcub16HIPCUB_304000_NS6detail34convert_binary_result_type_wrapperINS9_3SumENS9_22TransformInputIteratorIb7NonZeroIfEPflEElEEEE10hipError_tPvRmT1_T2_T3_mT4_P12ihipStream_tbEUlT_E1_NS1_11comp_targetILNS1_3genE10ELNS1_11target_archE1201ELNS1_3gpuE5ELNS1_3repE0EEENS1_30default_config_static_selectorELNS0_4arch9wavefront6targetE1EEEvSM_,"axG",@progbits,_ZN7rocprim17ROCPRIM_400000_NS6detail17trampoline_kernelINS0_14default_configENS1_22reduce_config_selectorIlEEZNS1_11reduce_implILb1ES3_PlS7_lN6hipcub16HIPCUB_304000_NS6detail34convert_binary_result_type_wrapperINS9_3SumENS9_22TransformInputIteratorIb7NonZeroIfEPflEElEEEE10hipError_tPvRmT1_T2_T3_mT4_P12ihipStream_tbEUlT_E1_NS1_11comp_targetILNS1_3genE10ELNS1_11target_archE1201ELNS1_3gpuE5ELNS1_3repE0EEENS1_30default_config_static_selectorELNS0_4arch9wavefront6targetE1EEEvSM_,comdat
	.protected	_ZN7rocprim17ROCPRIM_400000_NS6detail17trampoline_kernelINS0_14default_configENS1_22reduce_config_selectorIlEEZNS1_11reduce_implILb1ES3_PlS7_lN6hipcub16HIPCUB_304000_NS6detail34convert_binary_result_type_wrapperINS9_3SumENS9_22TransformInputIteratorIb7NonZeroIfEPflEElEEEE10hipError_tPvRmT1_T2_T3_mT4_P12ihipStream_tbEUlT_E1_NS1_11comp_targetILNS1_3genE10ELNS1_11target_archE1201ELNS1_3gpuE5ELNS1_3repE0EEENS1_30default_config_static_selectorELNS0_4arch9wavefront6targetE1EEEvSM_ ; -- Begin function _ZN7rocprim17ROCPRIM_400000_NS6detail17trampoline_kernelINS0_14default_configENS1_22reduce_config_selectorIlEEZNS1_11reduce_implILb1ES3_PlS7_lN6hipcub16HIPCUB_304000_NS6detail34convert_binary_result_type_wrapperINS9_3SumENS9_22TransformInputIteratorIb7NonZeroIfEPflEElEEEE10hipError_tPvRmT1_T2_T3_mT4_P12ihipStream_tbEUlT_E1_NS1_11comp_targetILNS1_3genE10ELNS1_11target_archE1201ELNS1_3gpuE5ELNS1_3repE0EEENS1_30default_config_static_selectorELNS0_4arch9wavefront6targetE1EEEvSM_
	.globl	_ZN7rocprim17ROCPRIM_400000_NS6detail17trampoline_kernelINS0_14default_configENS1_22reduce_config_selectorIlEEZNS1_11reduce_implILb1ES3_PlS7_lN6hipcub16HIPCUB_304000_NS6detail34convert_binary_result_type_wrapperINS9_3SumENS9_22TransformInputIteratorIb7NonZeroIfEPflEElEEEE10hipError_tPvRmT1_T2_T3_mT4_P12ihipStream_tbEUlT_E1_NS1_11comp_targetILNS1_3genE10ELNS1_11target_archE1201ELNS1_3gpuE5ELNS1_3repE0EEENS1_30default_config_static_selectorELNS0_4arch9wavefront6targetE1EEEvSM_
	.p2align	8
	.type	_ZN7rocprim17ROCPRIM_400000_NS6detail17trampoline_kernelINS0_14default_configENS1_22reduce_config_selectorIlEEZNS1_11reduce_implILb1ES3_PlS7_lN6hipcub16HIPCUB_304000_NS6detail34convert_binary_result_type_wrapperINS9_3SumENS9_22TransformInputIteratorIb7NonZeroIfEPflEElEEEE10hipError_tPvRmT1_T2_T3_mT4_P12ihipStream_tbEUlT_E1_NS1_11comp_targetILNS1_3genE10ELNS1_11target_archE1201ELNS1_3gpuE5ELNS1_3repE0EEENS1_30default_config_static_selectorELNS0_4arch9wavefront6targetE1EEEvSM_,@function
_ZN7rocprim17ROCPRIM_400000_NS6detail17trampoline_kernelINS0_14default_configENS1_22reduce_config_selectorIlEEZNS1_11reduce_implILb1ES3_PlS7_lN6hipcub16HIPCUB_304000_NS6detail34convert_binary_result_type_wrapperINS9_3SumENS9_22TransformInputIteratorIb7NonZeroIfEPflEElEEEE10hipError_tPvRmT1_T2_T3_mT4_P12ihipStream_tbEUlT_E1_NS1_11comp_targetILNS1_3genE10ELNS1_11target_archE1201ELNS1_3gpuE5ELNS1_3repE0EEENS1_30default_config_static_selectorELNS0_4arch9wavefront6targetE1EEEvSM_: ; @_ZN7rocprim17ROCPRIM_400000_NS6detail17trampoline_kernelINS0_14default_configENS1_22reduce_config_selectorIlEEZNS1_11reduce_implILb1ES3_PlS7_lN6hipcub16HIPCUB_304000_NS6detail34convert_binary_result_type_wrapperINS9_3SumENS9_22TransformInputIteratorIb7NonZeroIfEPflEElEEEE10hipError_tPvRmT1_T2_T3_mT4_P12ihipStream_tbEUlT_E1_NS1_11comp_targetILNS1_3genE10ELNS1_11target_archE1201ELNS1_3gpuE5ELNS1_3repE0EEENS1_30default_config_static_selectorELNS0_4arch9wavefront6targetE1EEEvSM_
; %bb.0:
	.section	.rodata,"a",@progbits
	.p2align	6, 0x0
	.amdhsa_kernel _ZN7rocprim17ROCPRIM_400000_NS6detail17trampoline_kernelINS0_14default_configENS1_22reduce_config_selectorIlEEZNS1_11reduce_implILb1ES3_PlS7_lN6hipcub16HIPCUB_304000_NS6detail34convert_binary_result_type_wrapperINS9_3SumENS9_22TransformInputIteratorIb7NonZeroIfEPflEElEEEE10hipError_tPvRmT1_T2_T3_mT4_P12ihipStream_tbEUlT_E1_NS1_11comp_targetILNS1_3genE10ELNS1_11target_archE1201ELNS1_3gpuE5ELNS1_3repE0EEENS1_30default_config_static_selectorELNS0_4arch9wavefront6targetE1EEEvSM_
		.amdhsa_group_segment_fixed_size 0
		.amdhsa_private_segment_fixed_size 0
		.amdhsa_kernarg_size 48
		.amdhsa_user_sgpr_count 2
		.amdhsa_user_sgpr_dispatch_ptr 0
		.amdhsa_user_sgpr_queue_ptr 0
		.amdhsa_user_sgpr_kernarg_segment_ptr 1
		.amdhsa_user_sgpr_dispatch_id 0
		.amdhsa_user_sgpr_kernarg_preload_length 0
		.amdhsa_user_sgpr_kernarg_preload_offset 0
		.amdhsa_user_sgpr_private_segment_size 0
		.amdhsa_uses_dynamic_stack 0
		.amdhsa_enable_private_segment 0
		.amdhsa_system_sgpr_workgroup_id_x 1
		.amdhsa_system_sgpr_workgroup_id_y 0
		.amdhsa_system_sgpr_workgroup_id_z 0
		.amdhsa_system_sgpr_workgroup_info 0
		.amdhsa_system_vgpr_workitem_id 0
		.amdhsa_next_free_vgpr 1
		.amdhsa_next_free_sgpr 0
		.amdhsa_accum_offset 4
		.amdhsa_reserve_vcc 0
		.amdhsa_float_round_mode_32 0
		.amdhsa_float_round_mode_16_64 0
		.amdhsa_float_denorm_mode_32 3
		.amdhsa_float_denorm_mode_16_64 3
		.amdhsa_dx10_clamp 1
		.amdhsa_ieee_mode 1
		.amdhsa_fp16_overflow 0
		.amdhsa_tg_split 0
		.amdhsa_exception_fp_ieee_invalid_op 0
		.amdhsa_exception_fp_denorm_src 0
		.amdhsa_exception_fp_ieee_div_zero 0
		.amdhsa_exception_fp_ieee_overflow 0
		.amdhsa_exception_fp_ieee_underflow 0
		.amdhsa_exception_fp_ieee_inexact 0
		.amdhsa_exception_int_div_zero 0
	.end_amdhsa_kernel
	.section	.text._ZN7rocprim17ROCPRIM_400000_NS6detail17trampoline_kernelINS0_14default_configENS1_22reduce_config_selectorIlEEZNS1_11reduce_implILb1ES3_PlS7_lN6hipcub16HIPCUB_304000_NS6detail34convert_binary_result_type_wrapperINS9_3SumENS9_22TransformInputIteratorIb7NonZeroIfEPflEElEEEE10hipError_tPvRmT1_T2_T3_mT4_P12ihipStream_tbEUlT_E1_NS1_11comp_targetILNS1_3genE10ELNS1_11target_archE1201ELNS1_3gpuE5ELNS1_3repE0EEENS1_30default_config_static_selectorELNS0_4arch9wavefront6targetE1EEEvSM_,"axG",@progbits,_ZN7rocprim17ROCPRIM_400000_NS6detail17trampoline_kernelINS0_14default_configENS1_22reduce_config_selectorIlEEZNS1_11reduce_implILb1ES3_PlS7_lN6hipcub16HIPCUB_304000_NS6detail34convert_binary_result_type_wrapperINS9_3SumENS9_22TransformInputIteratorIb7NonZeroIfEPflEElEEEE10hipError_tPvRmT1_T2_T3_mT4_P12ihipStream_tbEUlT_E1_NS1_11comp_targetILNS1_3genE10ELNS1_11target_archE1201ELNS1_3gpuE5ELNS1_3repE0EEENS1_30default_config_static_selectorELNS0_4arch9wavefront6targetE1EEEvSM_,comdat
.Lfunc_end231:
	.size	_ZN7rocprim17ROCPRIM_400000_NS6detail17trampoline_kernelINS0_14default_configENS1_22reduce_config_selectorIlEEZNS1_11reduce_implILb1ES3_PlS7_lN6hipcub16HIPCUB_304000_NS6detail34convert_binary_result_type_wrapperINS9_3SumENS9_22TransformInputIteratorIb7NonZeroIfEPflEElEEEE10hipError_tPvRmT1_T2_T3_mT4_P12ihipStream_tbEUlT_E1_NS1_11comp_targetILNS1_3genE10ELNS1_11target_archE1201ELNS1_3gpuE5ELNS1_3repE0EEENS1_30default_config_static_selectorELNS0_4arch9wavefront6targetE1EEEvSM_, .Lfunc_end231-_ZN7rocprim17ROCPRIM_400000_NS6detail17trampoline_kernelINS0_14default_configENS1_22reduce_config_selectorIlEEZNS1_11reduce_implILb1ES3_PlS7_lN6hipcub16HIPCUB_304000_NS6detail34convert_binary_result_type_wrapperINS9_3SumENS9_22TransformInputIteratorIb7NonZeroIfEPflEElEEEE10hipError_tPvRmT1_T2_T3_mT4_P12ihipStream_tbEUlT_E1_NS1_11comp_targetILNS1_3genE10ELNS1_11target_archE1201ELNS1_3gpuE5ELNS1_3repE0EEENS1_30default_config_static_selectorELNS0_4arch9wavefront6targetE1EEEvSM_
                                        ; -- End function
	.set _ZN7rocprim17ROCPRIM_400000_NS6detail17trampoline_kernelINS0_14default_configENS1_22reduce_config_selectorIlEEZNS1_11reduce_implILb1ES3_PlS7_lN6hipcub16HIPCUB_304000_NS6detail34convert_binary_result_type_wrapperINS9_3SumENS9_22TransformInputIteratorIb7NonZeroIfEPflEElEEEE10hipError_tPvRmT1_T2_T3_mT4_P12ihipStream_tbEUlT_E1_NS1_11comp_targetILNS1_3genE10ELNS1_11target_archE1201ELNS1_3gpuE5ELNS1_3repE0EEENS1_30default_config_static_selectorELNS0_4arch9wavefront6targetE1EEEvSM_.num_vgpr, 0
	.set _ZN7rocprim17ROCPRIM_400000_NS6detail17trampoline_kernelINS0_14default_configENS1_22reduce_config_selectorIlEEZNS1_11reduce_implILb1ES3_PlS7_lN6hipcub16HIPCUB_304000_NS6detail34convert_binary_result_type_wrapperINS9_3SumENS9_22TransformInputIteratorIb7NonZeroIfEPflEElEEEE10hipError_tPvRmT1_T2_T3_mT4_P12ihipStream_tbEUlT_E1_NS1_11comp_targetILNS1_3genE10ELNS1_11target_archE1201ELNS1_3gpuE5ELNS1_3repE0EEENS1_30default_config_static_selectorELNS0_4arch9wavefront6targetE1EEEvSM_.num_agpr, 0
	.set _ZN7rocprim17ROCPRIM_400000_NS6detail17trampoline_kernelINS0_14default_configENS1_22reduce_config_selectorIlEEZNS1_11reduce_implILb1ES3_PlS7_lN6hipcub16HIPCUB_304000_NS6detail34convert_binary_result_type_wrapperINS9_3SumENS9_22TransformInputIteratorIb7NonZeroIfEPflEElEEEE10hipError_tPvRmT1_T2_T3_mT4_P12ihipStream_tbEUlT_E1_NS1_11comp_targetILNS1_3genE10ELNS1_11target_archE1201ELNS1_3gpuE5ELNS1_3repE0EEENS1_30default_config_static_selectorELNS0_4arch9wavefront6targetE1EEEvSM_.numbered_sgpr, 0
	.set _ZN7rocprim17ROCPRIM_400000_NS6detail17trampoline_kernelINS0_14default_configENS1_22reduce_config_selectorIlEEZNS1_11reduce_implILb1ES3_PlS7_lN6hipcub16HIPCUB_304000_NS6detail34convert_binary_result_type_wrapperINS9_3SumENS9_22TransformInputIteratorIb7NonZeroIfEPflEElEEEE10hipError_tPvRmT1_T2_T3_mT4_P12ihipStream_tbEUlT_E1_NS1_11comp_targetILNS1_3genE10ELNS1_11target_archE1201ELNS1_3gpuE5ELNS1_3repE0EEENS1_30default_config_static_selectorELNS0_4arch9wavefront6targetE1EEEvSM_.num_named_barrier, 0
	.set _ZN7rocprim17ROCPRIM_400000_NS6detail17trampoline_kernelINS0_14default_configENS1_22reduce_config_selectorIlEEZNS1_11reduce_implILb1ES3_PlS7_lN6hipcub16HIPCUB_304000_NS6detail34convert_binary_result_type_wrapperINS9_3SumENS9_22TransformInputIteratorIb7NonZeroIfEPflEElEEEE10hipError_tPvRmT1_T2_T3_mT4_P12ihipStream_tbEUlT_E1_NS1_11comp_targetILNS1_3genE10ELNS1_11target_archE1201ELNS1_3gpuE5ELNS1_3repE0EEENS1_30default_config_static_selectorELNS0_4arch9wavefront6targetE1EEEvSM_.private_seg_size, 0
	.set _ZN7rocprim17ROCPRIM_400000_NS6detail17trampoline_kernelINS0_14default_configENS1_22reduce_config_selectorIlEEZNS1_11reduce_implILb1ES3_PlS7_lN6hipcub16HIPCUB_304000_NS6detail34convert_binary_result_type_wrapperINS9_3SumENS9_22TransformInputIteratorIb7NonZeroIfEPflEElEEEE10hipError_tPvRmT1_T2_T3_mT4_P12ihipStream_tbEUlT_E1_NS1_11comp_targetILNS1_3genE10ELNS1_11target_archE1201ELNS1_3gpuE5ELNS1_3repE0EEENS1_30default_config_static_selectorELNS0_4arch9wavefront6targetE1EEEvSM_.uses_vcc, 0
	.set _ZN7rocprim17ROCPRIM_400000_NS6detail17trampoline_kernelINS0_14default_configENS1_22reduce_config_selectorIlEEZNS1_11reduce_implILb1ES3_PlS7_lN6hipcub16HIPCUB_304000_NS6detail34convert_binary_result_type_wrapperINS9_3SumENS9_22TransformInputIteratorIb7NonZeroIfEPflEElEEEE10hipError_tPvRmT1_T2_T3_mT4_P12ihipStream_tbEUlT_E1_NS1_11comp_targetILNS1_3genE10ELNS1_11target_archE1201ELNS1_3gpuE5ELNS1_3repE0EEENS1_30default_config_static_selectorELNS0_4arch9wavefront6targetE1EEEvSM_.uses_flat_scratch, 0
	.set _ZN7rocprim17ROCPRIM_400000_NS6detail17trampoline_kernelINS0_14default_configENS1_22reduce_config_selectorIlEEZNS1_11reduce_implILb1ES3_PlS7_lN6hipcub16HIPCUB_304000_NS6detail34convert_binary_result_type_wrapperINS9_3SumENS9_22TransformInputIteratorIb7NonZeroIfEPflEElEEEE10hipError_tPvRmT1_T2_T3_mT4_P12ihipStream_tbEUlT_E1_NS1_11comp_targetILNS1_3genE10ELNS1_11target_archE1201ELNS1_3gpuE5ELNS1_3repE0EEENS1_30default_config_static_selectorELNS0_4arch9wavefront6targetE1EEEvSM_.has_dyn_sized_stack, 0
	.set _ZN7rocprim17ROCPRIM_400000_NS6detail17trampoline_kernelINS0_14default_configENS1_22reduce_config_selectorIlEEZNS1_11reduce_implILb1ES3_PlS7_lN6hipcub16HIPCUB_304000_NS6detail34convert_binary_result_type_wrapperINS9_3SumENS9_22TransformInputIteratorIb7NonZeroIfEPflEElEEEE10hipError_tPvRmT1_T2_T3_mT4_P12ihipStream_tbEUlT_E1_NS1_11comp_targetILNS1_3genE10ELNS1_11target_archE1201ELNS1_3gpuE5ELNS1_3repE0EEENS1_30default_config_static_selectorELNS0_4arch9wavefront6targetE1EEEvSM_.has_recursion, 0
	.set _ZN7rocprim17ROCPRIM_400000_NS6detail17trampoline_kernelINS0_14default_configENS1_22reduce_config_selectorIlEEZNS1_11reduce_implILb1ES3_PlS7_lN6hipcub16HIPCUB_304000_NS6detail34convert_binary_result_type_wrapperINS9_3SumENS9_22TransformInputIteratorIb7NonZeroIfEPflEElEEEE10hipError_tPvRmT1_T2_T3_mT4_P12ihipStream_tbEUlT_E1_NS1_11comp_targetILNS1_3genE10ELNS1_11target_archE1201ELNS1_3gpuE5ELNS1_3repE0EEENS1_30default_config_static_selectorELNS0_4arch9wavefront6targetE1EEEvSM_.has_indirect_call, 0
	.section	.AMDGPU.csdata,"",@progbits
; Kernel info:
; codeLenInByte = 0
; TotalNumSgprs: 6
; NumVgprs: 0
; NumAgprs: 0
; TotalNumVgprs: 0
; ScratchSize: 0
; MemoryBound: 0
; FloatMode: 240
; IeeeMode: 1
; LDSByteSize: 0 bytes/workgroup (compile time only)
; SGPRBlocks: 0
; VGPRBlocks: 0
; NumSGPRsForWavesPerEU: 6
; NumVGPRsForWavesPerEU: 1
; AccumOffset: 4
; Occupancy: 8
; WaveLimiterHint : 0
; COMPUTE_PGM_RSRC2:SCRATCH_EN: 0
; COMPUTE_PGM_RSRC2:USER_SGPR: 2
; COMPUTE_PGM_RSRC2:TRAP_HANDLER: 0
; COMPUTE_PGM_RSRC2:TGID_X_EN: 1
; COMPUTE_PGM_RSRC2:TGID_Y_EN: 0
; COMPUTE_PGM_RSRC2:TGID_Z_EN: 0
; COMPUTE_PGM_RSRC2:TIDIG_COMP_CNT: 0
; COMPUTE_PGM_RSRC3_GFX90A:ACCUM_OFFSET: 0
; COMPUTE_PGM_RSRC3_GFX90A:TG_SPLIT: 0
	.section	.text._ZN7rocprim17ROCPRIM_400000_NS6detail17trampoline_kernelINS0_14default_configENS1_22reduce_config_selectorIlEEZNS1_11reduce_implILb1ES3_PlS7_lN6hipcub16HIPCUB_304000_NS6detail34convert_binary_result_type_wrapperINS9_3SumENS9_22TransformInputIteratorIb7NonZeroIfEPflEElEEEE10hipError_tPvRmT1_T2_T3_mT4_P12ihipStream_tbEUlT_E1_NS1_11comp_targetILNS1_3genE10ELNS1_11target_archE1200ELNS1_3gpuE4ELNS1_3repE0EEENS1_30default_config_static_selectorELNS0_4arch9wavefront6targetE1EEEvSM_,"axG",@progbits,_ZN7rocprim17ROCPRIM_400000_NS6detail17trampoline_kernelINS0_14default_configENS1_22reduce_config_selectorIlEEZNS1_11reduce_implILb1ES3_PlS7_lN6hipcub16HIPCUB_304000_NS6detail34convert_binary_result_type_wrapperINS9_3SumENS9_22TransformInputIteratorIb7NonZeroIfEPflEElEEEE10hipError_tPvRmT1_T2_T3_mT4_P12ihipStream_tbEUlT_E1_NS1_11comp_targetILNS1_3genE10ELNS1_11target_archE1200ELNS1_3gpuE4ELNS1_3repE0EEENS1_30default_config_static_selectorELNS0_4arch9wavefront6targetE1EEEvSM_,comdat
	.protected	_ZN7rocprim17ROCPRIM_400000_NS6detail17trampoline_kernelINS0_14default_configENS1_22reduce_config_selectorIlEEZNS1_11reduce_implILb1ES3_PlS7_lN6hipcub16HIPCUB_304000_NS6detail34convert_binary_result_type_wrapperINS9_3SumENS9_22TransformInputIteratorIb7NonZeroIfEPflEElEEEE10hipError_tPvRmT1_T2_T3_mT4_P12ihipStream_tbEUlT_E1_NS1_11comp_targetILNS1_3genE10ELNS1_11target_archE1200ELNS1_3gpuE4ELNS1_3repE0EEENS1_30default_config_static_selectorELNS0_4arch9wavefront6targetE1EEEvSM_ ; -- Begin function _ZN7rocprim17ROCPRIM_400000_NS6detail17trampoline_kernelINS0_14default_configENS1_22reduce_config_selectorIlEEZNS1_11reduce_implILb1ES3_PlS7_lN6hipcub16HIPCUB_304000_NS6detail34convert_binary_result_type_wrapperINS9_3SumENS9_22TransformInputIteratorIb7NonZeroIfEPflEElEEEE10hipError_tPvRmT1_T2_T3_mT4_P12ihipStream_tbEUlT_E1_NS1_11comp_targetILNS1_3genE10ELNS1_11target_archE1200ELNS1_3gpuE4ELNS1_3repE0EEENS1_30default_config_static_selectorELNS0_4arch9wavefront6targetE1EEEvSM_
	.globl	_ZN7rocprim17ROCPRIM_400000_NS6detail17trampoline_kernelINS0_14default_configENS1_22reduce_config_selectorIlEEZNS1_11reduce_implILb1ES3_PlS7_lN6hipcub16HIPCUB_304000_NS6detail34convert_binary_result_type_wrapperINS9_3SumENS9_22TransformInputIteratorIb7NonZeroIfEPflEElEEEE10hipError_tPvRmT1_T2_T3_mT4_P12ihipStream_tbEUlT_E1_NS1_11comp_targetILNS1_3genE10ELNS1_11target_archE1200ELNS1_3gpuE4ELNS1_3repE0EEENS1_30default_config_static_selectorELNS0_4arch9wavefront6targetE1EEEvSM_
	.p2align	8
	.type	_ZN7rocprim17ROCPRIM_400000_NS6detail17trampoline_kernelINS0_14default_configENS1_22reduce_config_selectorIlEEZNS1_11reduce_implILb1ES3_PlS7_lN6hipcub16HIPCUB_304000_NS6detail34convert_binary_result_type_wrapperINS9_3SumENS9_22TransformInputIteratorIb7NonZeroIfEPflEElEEEE10hipError_tPvRmT1_T2_T3_mT4_P12ihipStream_tbEUlT_E1_NS1_11comp_targetILNS1_3genE10ELNS1_11target_archE1200ELNS1_3gpuE4ELNS1_3repE0EEENS1_30default_config_static_selectorELNS0_4arch9wavefront6targetE1EEEvSM_,@function
_ZN7rocprim17ROCPRIM_400000_NS6detail17trampoline_kernelINS0_14default_configENS1_22reduce_config_selectorIlEEZNS1_11reduce_implILb1ES3_PlS7_lN6hipcub16HIPCUB_304000_NS6detail34convert_binary_result_type_wrapperINS9_3SumENS9_22TransformInputIteratorIb7NonZeroIfEPflEElEEEE10hipError_tPvRmT1_T2_T3_mT4_P12ihipStream_tbEUlT_E1_NS1_11comp_targetILNS1_3genE10ELNS1_11target_archE1200ELNS1_3gpuE4ELNS1_3repE0EEENS1_30default_config_static_selectorELNS0_4arch9wavefront6targetE1EEEvSM_: ; @_ZN7rocprim17ROCPRIM_400000_NS6detail17trampoline_kernelINS0_14default_configENS1_22reduce_config_selectorIlEEZNS1_11reduce_implILb1ES3_PlS7_lN6hipcub16HIPCUB_304000_NS6detail34convert_binary_result_type_wrapperINS9_3SumENS9_22TransformInputIteratorIb7NonZeroIfEPflEElEEEE10hipError_tPvRmT1_T2_T3_mT4_P12ihipStream_tbEUlT_E1_NS1_11comp_targetILNS1_3genE10ELNS1_11target_archE1200ELNS1_3gpuE4ELNS1_3repE0EEENS1_30default_config_static_selectorELNS0_4arch9wavefront6targetE1EEEvSM_
; %bb.0:
	.section	.rodata,"a",@progbits
	.p2align	6, 0x0
	.amdhsa_kernel _ZN7rocprim17ROCPRIM_400000_NS6detail17trampoline_kernelINS0_14default_configENS1_22reduce_config_selectorIlEEZNS1_11reduce_implILb1ES3_PlS7_lN6hipcub16HIPCUB_304000_NS6detail34convert_binary_result_type_wrapperINS9_3SumENS9_22TransformInputIteratorIb7NonZeroIfEPflEElEEEE10hipError_tPvRmT1_T2_T3_mT4_P12ihipStream_tbEUlT_E1_NS1_11comp_targetILNS1_3genE10ELNS1_11target_archE1200ELNS1_3gpuE4ELNS1_3repE0EEENS1_30default_config_static_selectorELNS0_4arch9wavefront6targetE1EEEvSM_
		.amdhsa_group_segment_fixed_size 0
		.amdhsa_private_segment_fixed_size 0
		.amdhsa_kernarg_size 48
		.amdhsa_user_sgpr_count 2
		.amdhsa_user_sgpr_dispatch_ptr 0
		.amdhsa_user_sgpr_queue_ptr 0
		.amdhsa_user_sgpr_kernarg_segment_ptr 1
		.amdhsa_user_sgpr_dispatch_id 0
		.amdhsa_user_sgpr_kernarg_preload_length 0
		.amdhsa_user_sgpr_kernarg_preload_offset 0
		.amdhsa_user_sgpr_private_segment_size 0
		.amdhsa_uses_dynamic_stack 0
		.amdhsa_enable_private_segment 0
		.amdhsa_system_sgpr_workgroup_id_x 1
		.amdhsa_system_sgpr_workgroup_id_y 0
		.amdhsa_system_sgpr_workgroup_id_z 0
		.amdhsa_system_sgpr_workgroup_info 0
		.amdhsa_system_vgpr_workitem_id 0
		.amdhsa_next_free_vgpr 1
		.amdhsa_next_free_sgpr 0
		.amdhsa_accum_offset 4
		.amdhsa_reserve_vcc 0
		.amdhsa_float_round_mode_32 0
		.amdhsa_float_round_mode_16_64 0
		.amdhsa_float_denorm_mode_32 3
		.amdhsa_float_denorm_mode_16_64 3
		.amdhsa_dx10_clamp 1
		.amdhsa_ieee_mode 1
		.amdhsa_fp16_overflow 0
		.amdhsa_tg_split 0
		.amdhsa_exception_fp_ieee_invalid_op 0
		.amdhsa_exception_fp_denorm_src 0
		.amdhsa_exception_fp_ieee_div_zero 0
		.amdhsa_exception_fp_ieee_overflow 0
		.amdhsa_exception_fp_ieee_underflow 0
		.amdhsa_exception_fp_ieee_inexact 0
		.amdhsa_exception_int_div_zero 0
	.end_amdhsa_kernel
	.section	.text._ZN7rocprim17ROCPRIM_400000_NS6detail17trampoline_kernelINS0_14default_configENS1_22reduce_config_selectorIlEEZNS1_11reduce_implILb1ES3_PlS7_lN6hipcub16HIPCUB_304000_NS6detail34convert_binary_result_type_wrapperINS9_3SumENS9_22TransformInputIteratorIb7NonZeroIfEPflEElEEEE10hipError_tPvRmT1_T2_T3_mT4_P12ihipStream_tbEUlT_E1_NS1_11comp_targetILNS1_3genE10ELNS1_11target_archE1200ELNS1_3gpuE4ELNS1_3repE0EEENS1_30default_config_static_selectorELNS0_4arch9wavefront6targetE1EEEvSM_,"axG",@progbits,_ZN7rocprim17ROCPRIM_400000_NS6detail17trampoline_kernelINS0_14default_configENS1_22reduce_config_selectorIlEEZNS1_11reduce_implILb1ES3_PlS7_lN6hipcub16HIPCUB_304000_NS6detail34convert_binary_result_type_wrapperINS9_3SumENS9_22TransformInputIteratorIb7NonZeroIfEPflEElEEEE10hipError_tPvRmT1_T2_T3_mT4_P12ihipStream_tbEUlT_E1_NS1_11comp_targetILNS1_3genE10ELNS1_11target_archE1200ELNS1_3gpuE4ELNS1_3repE0EEENS1_30default_config_static_selectorELNS0_4arch9wavefront6targetE1EEEvSM_,comdat
.Lfunc_end232:
	.size	_ZN7rocprim17ROCPRIM_400000_NS6detail17trampoline_kernelINS0_14default_configENS1_22reduce_config_selectorIlEEZNS1_11reduce_implILb1ES3_PlS7_lN6hipcub16HIPCUB_304000_NS6detail34convert_binary_result_type_wrapperINS9_3SumENS9_22TransformInputIteratorIb7NonZeroIfEPflEElEEEE10hipError_tPvRmT1_T2_T3_mT4_P12ihipStream_tbEUlT_E1_NS1_11comp_targetILNS1_3genE10ELNS1_11target_archE1200ELNS1_3gpuE4ELNS1_3repE0EEENS1_30default_config_static_selectorELNS0_4arch9wavefront6targetE1EEEvSM_, .Lfunc_end232-_ZN7rocprim17ROCPRIM_400000_NS6detail17trampoline_kernelINS0_14default_configENS1_22reduce_config_selectorIlEEZNS1_11reduce_implILb1ES3_PlS7_lN6hipcub16HIPCUB_304000_NS6detail34convert_binary_result_type_wrapperINS9_3SumENS9_22TransformInputIteratorIb7NonZeroIfEPflEElEEEE10hipError_tPvRmT1_T2_T3_mT4_P12ihipStream_tbEUlT_E1_NS1_11comp_targetILNS1_3genE10ELNS1_11target_archE1200ELNS1_3gpuE4ELNS1_3repE0EEENS1_30default_config_static_selectorELNS0_4arch9wavefront6targetE1EEEvSM_
                                        ; -- End function
	.set _ZN7rocprim17ROCPRIM_400000_NS6detail17trampoline_kernelINS0_14default_configENS1_22reduce_config_selectorIlEEZNS1_11reduce_implILb1ES3_PlS7_lN6hipcub16HIPCUB_304000_NS6detail34convert_binary_result_type_wrapperINS9_3SumENS9_22TransformInputIteratorIb7NonZeroIfEPflEElEEEE10hipError_tPvRmT1_T2_T3_mT4_P12ihipStream_tbEUlT_E1_NS1_11comp_targetILNS1_3genE10ELNS1_11target_archE1200ELNS1_3gpuE4ELNS1_3repE0EEENS1_30default_config_static_selectorELNS0_4arch9wavefront6targetE1EEEvSM_.num_vgpr, 0
	.set _ZN7rocprim17ROCPRIM_400000_NS6detail17trampoline_kernelINS0_14default_configENS1_22reduce_config_selectorIlEEZNS1_11reduce_implILb1ES3_PlS7_lN6hipcub16HIPCUB_304000_NS6detail34convert_binary_result_type_wrapperINS9_3SumENS9_22TransformInputIteratorIb7NonZeroIfEPflEElEEEE10hipError_tPvRmT1_T2_T3_mT4_P12ihipStream_tbEUlT_E1_NS1_11comp_targetILNS1_3genE10ELNS1_11target_archE1200ELNS1_3gpuE4ELNS1_3repE0EEENS1_30default_config_static_selectorELNS0_4arch9wavefront6targetE1EEEvSM_.num_agpr, 0
	.set _ZN7rocprim17ROCPRIM_400000_NS6detail17trampoline_kernelINS0_14default_configENS1_22reduce_config_selectorIlEEZNS1_11reduce_implILb1ES3_PlS7_lN6hipcub16HIPCUB_304000_NS6detail34convert_binary_result_type_wrapperINS9_3SumENS9_22TransformInputIteratorIb7NonZeroIfEPflEElEEEE10hipError_tPvRmT1_T2_T3_mT4_P12ihipStream_tbEUlT_E1_NS1_11comp_targetILNS1_3genE10ELNS1_11target_archE1200ELNS1_3gpuE4ELNS1_3repE0EEENS1_30default_config_static_selectorELNS0_4arch9wavefront6targetE1EEEvSM_.numbered_sgpr, 0
	.set _ZN7rocprim17ROCPRIM_400000_NS6detail17trampoline_kernelINS0_14default_configENS1_22reduce_config_selectorIlEEZNS1_11reduce_implILb1ES3_PlS7_lN6hipcub16HIPCUB_304000_NS6detail34convert_binary_result_type_wrapperINS9_3SumENS9_22TransformInputIteratorIb7NonZeroIfEPflEElEEEE10hipError_tPvRmT1_T2_T3_mT4_P12ihipStream_tbEUlT_E1_NS1_11comp_targetILNS1_3genE10ELNS1_11target_archE1200ELNS1_3gpuE4ELNS1_3repE0EEENS1_30default_config_static_selectorELNS0_4arch9wavefront6targetE1EEEvSM_.num_named_barrier, 0
	.set _ZN7rocprim17ROCPRIM_400000_NS6detail17trampoline_kernelINS0_14default_configENS1_22reduce_config_selectorIlEEZNS1_11reduce_implILb1ES3_PlS7_lN6hipcub16HIPCUB_304000_NS6detail34convert_binary_result_type_wrapperINS9_3SumENS9_22TransformInputIteratorIb7NonZeroIfEPflEElEEEE10hipError_tPvRmT1_T2_T3_mT4_P12ihipStream_tbEUlT_E1_NS1_11comp_targetILNS1_3genE10ELNS1_11target_archE1200ELNS1_3gpuE4ELNS1_3repE0EEENS1_30default_config_static_selectorELNS0_4arch9wavefront6targetE1EEEvSM_.private_seg_size, 0
	.set _ZN7rocprim17ROCPRIM_400000_NS6detail17trampoline_kernelINS0_14default_configENS1_22reduce_config_selectorIlEEZNS1_11reduce_implILb1ES3_PlS7_lN6hipcub16HIPCUB_304000_NS6detail34convert_binary_result_type_wrapperINS9_3SumENS9_22TransformInputIteratorIb7NonZeroIfEPflEElEEEE10hipError_tPvRmT1_T2_T3_mT4_P12ihipStream_tbEUlT_E1_NS1_11comp_targetILNS1_3genE10ELNS1_11target_archE1200ELNS1_3gpuE4ELNS1_3repE0EEENS1_30default_config_static_selectorELNS0_4arch9wavefront6targetE1EEEvSM_.uses_vcc, 0
	.set _ZN7rocprim17ROCPRIM_400000_NS6detail17trampoline_kernelINS0_14default_configENS1_22reduce_config_selectorIlEEZNS1_11reduce_implILb1ES3_PlS7_lN6hipcub16HIPCUB_304000_NS6detail34convert_binary_result_type_wrapperINS9_3SumENS9_22TransformInputIteratorIb7NonZeroIfEPflEElEEEE10hipError_tPvRmT1_T2_T3_mT4_P12ihipStream_tbEUlT_E1_NS1_11comp_targetILNS1_3genE10ELNS1_11target_archE1200ELNS1_3gpuE4ELNS1_3repE0EEENS1_30default_config_static_selectorELNS0_4arch9wavefront6targetE1EEEvSM_.uses_flat_scratch, 0
	.set _ZN7rocprim17ROCPRIM_400000_NS6detail17trampoline_kernelINS0_14default_configENS1_22reduce_config_selectorIlEEZNS1_11reduce_implILb1ES3_PlS7_lN6hipcub16HIPCUB_304000_NS6detail34convert_binary_result_type_wrapperINS9_3SumENS9_22TransformInputIteratorIb7NonZeroIfEPflEElEEEE10hipError_tPvRmT1_T2_T3_mT4_P12ihipStream_tbEUlT_E1_NS1_11comp_targetILNS1_3genE10ELNS1_11target_archE1200ELNS1_3gpuE4ELNS1_3repE0EEENS1_30default_config_static_selectorELNS0_4arch9wavefront6targetE1EEEvSM_.has_dyn_sized_stack, 0
	.set _ZN7rocprim17ROCPRIM_400000_NS6detail17trampoline_kernelINS0_14default_configENS1_22reduce_config_selectorIlEEZNS1_11reduce_implILb1ES3_PlS7_lN6hipcub16HIPCUB_304000_NS6detail34convert_binary_result_type_wrapperINS9_3SumENS9_22TransformInputIteratorIb7NonZeroIfEPflEElEEEE10hipError_tPvRmT1_T2_T3_mT4_P12ihipStream_tbEUlT_E1_NS1_11comp_targetILNS1_3genE10ELNS1_11target_archE1200ELNS1_3gpuE4ELNS1_3repE0EEENS1_30default_config_static_selectorELNS0_4arch9wavefront6targetE1EEEvSM_.has_recursion, 0
	.set _ZN7rocprim17ROCPRIM_400000_NS6detail17trampoline_kernelINS0_14default_configENS1_22reduce_config_selectorIlEEZNS1_11reduce_implILb1ES3_PlS7_lN6hipcub16HIPCUB_304000_NS6detail34convert_binary_result_type_wrapperINS9_3SumENS9_22TransformInputIteratorIb7NonZeroIfEPflEElEEEE10hipError_tPvRmT1_T2_T3_mT4_P12ihipStream_tbEUlT_E1_NS1_11comp_targetILNS1_3genE10ELNS1_11target_archE1200ELNS1_3gpuE4ELNS1_3repE0EEENS1_30default_config_static_selectorELNS0_4arch9wavefront6targetE1EEEvSM_.has_indirect_call, 0
	.section	.AMDGPU.csdata,"",@progbits
; Kernel info:
; codeLenInByte = 0
; TotalNumSgprs: 6
; NumVgprs: 0
; NumAgprs: 0
; TotalNumVgprs: 0
; ScratchSize: 0
; MemoryBound: 0
; FloatMode: 240
; IeeeMode: 1
; LDSByteSize: 0 bytes/workgroup (compile time only)
; SGPRBlocks: 0
; VGPRBlocks: 0
; NumSGPRsForWavesPerEU: 6
; NumVGPRsForWavesPerEU: 1
; AccumOffset: 4
; Occupancy: 8
; WaveLimiterHint : 0
; COMPUTE_PGM_RSRC2:SCRATCH_EN: 0
; COMPUTE_PGM_RSRC2:USER_SGPR: 2
; COMPUTE_PGM_RSRC2:TRAP_HANDLER: 0
; COMPUTE_PGM_RSRC2:TGID_X_EN: 1
; COMPUTE_PGM_RSRC2:TGID_Y_EN: 0
; COMPUTE_PGM_RSRC2:TGID_Z_EN: 0
; COMPUTE_PGM_RSRC2:TIDIG_COMP_CNT: 0
; COMPUTE_PGM_RSRC3_GFX90A:ACCUM_OFFSET: 0
; COMPUTE_PGM_RSRC3_GFX90A:TG_SPLIT: 0
	.section	.text._ZN7rocprim17ROCPRIM_400000_NS6detail17trampoline_kernelINS0_14default_configENS1_22reduce_config_selectorIlEEZNS1_11reduce_implILb1ES3_PlS7_lN6hipcub16HIPCUB_304000_NS6detail34convert_binary_result_type_wrapperINS9_3SumENS9_22TransformInputIteratorIb7NonZeroIfEPflEElEEEE10hipError_tPvRmT1_T2_T3_mT4_P12ihipStream_tbEUlT_E1_NS1_11comp_targetILNS1_3genE9ELNS1_11target_archE1100ELNS1_3gpuE3ELNS1_3repE0EEENS1_30default_config_static_selectorELNS0_4arch9wavefront6targetE1EEEvSM_,"axG",@progbits,_ZN7rocprim17ROCPRIM_400000_NS6detail17trampoline_kernelINS0_14default_configENS1_22reduce_config_selectorIlEEZNS1_11reduce_implILb1ES3_PlS7_lN6hipcub16HIPCUB_304000_NS6detail34convert_binary_result_type_wrapperINS9_3SumENS9_22TransformInputIteratorIb7NonZeroIfEPflEElEEEE10hipError_tPvRmT1_T2_T3_mT4_P12ihipStream_tbEUlT_E1_NS1_11comp_targetILNS1_3genE9ELNS1_11target_archE1100ELNS1_3gpuE3ELNS1_3repE0EEENS1_30default_config_static_selectorELNS0_4arch9wavefront6targetE1EEEvSM_,comdat
	.protected	_ZN7rocprim17ROCPRIM_400000_NS6detail17trampoline_kernelINS0_14default_configENS1_22reduce_config_selectorIlEEZNS1_11reduce_implILb1ES3_PlS7_lN6hipcub16HIPCUB_304000_NS6detail34convert_binary_result_type_wrapperINS9_3SumENS9_22TransformInputIteratorIb7NonZeroIfEPflEElEEEE10hipError_tPvRmT1_T2_T3_mT4_P12ihipStream_tbEUlT_E1_NS1_11comp_targetILNS1_3genE9ELNS1_11target_archE1100ELNS1_3gpuE3ELNS1_3repE0EEENS1_30default_config_static_selectorELNS0_4arch9wavefront6targetE1EEEvSM_ ; -- Begin function _ZN7rocprim17ROCPRIM_400000_NS6detail17trampoline_kernelINS0_14default_configENS1_22reduce_config_selectorIlEEZNS1_11reduce_implILb1ES3_PlS7_lN6hipcub16HIPCUB_304000_NS6detail34convert_binary_result_type_wrapperINS9_3SumENS9_22TransformInputIteratorIb7NonZeroIfEPflEElEEEE10hipError_tPvRmT1_T2_T3_mT4_P12ihipStream_tbEUlT_E1_NS1_11comp_targetILNS1_3genE9ELNS1_11target_archE1100ELNS1_3gpuE3ELNS1_3repE0EEENS1_30default_config_static_selectorELNS0_4arch9wavefront6targetE1EEEvSM_
	.globl	_ZN7rocprim17ROCPRIM_400000_NS6detail17trampoline_kernelINS0_14default_configENS1_22reduce_config_selectorIlEEZNS1_11reduce_implILb1ES3_PlS7_lN6hipcub16HIPCUB_304000_NS6detail34convert_binary_result_type_wrapperINS9_3SumENS9_22TransformInputIteratorIb7NonZeroIfEPflEElEEEE10hipError_tPvRmT1_T2_T3_mT4_P12ihipStream_tbEUlT_E1_NS1_11comp_targetILNS1_3genE9ELNS1_11target_archE1100ELNS1_3gpuE3ELNS1_3repE0EEENS1_30default_config_static_selectorELNS0_4arch9wavefront6targetE1EEEvSM_
	.p2align	8
	.type	_ZN7rocprim17ROCPRIM_400000_NS6detail17trampoline_kernelINS0_14default_configENS1_22reduce_config_selectorIlEEZNS1_11reduce_implILb1ES3_PlS7_lN6hipcub16HIPCUB_304000_NS6detail34convert_binary_result_type_wrapperINS9_3SumENS9_22TransformInputIteratorIb7NonZeroIfEPflEElEEEE10hipError_tPvRmT1_T2_T3_mT4_P12ihipStream_tbEUlT_E1_NS1_11comp_targetILNS1_3genE9ELNS1_11target_archE1100ELNS1_3gpuE3ELNS1_3repE0EEENS1_30default_config_static_selectorELNS0_4arch9wavefront6targetE1EEEvSM_,@function
_ZN7rocprim17ROCPRIM_400000_NS6detail17trampoline_kernelINS0_14default_configENS1_22reduce_config_selectorIlEEZNS1_11reduce_implILb1ES3_PlS7_lN6hipcub16HIPCUB_304000_NS6detail34convert_binary_result_type_wrapperINS9_3SumENS9_22TransformInputIteratorIb7NonZeroIfEPflEElEEEE10hipError_tPvRmT1_T2_T3_mT4_P12ihipStream_tbEUlT_E1_NS1_11comp_targetILNS1_3genE9ELNS1_11target_archE1100ELNS1_3gpuE3ELNS1_3repE0EEENS1_30default_config_static_selectorELNS0_4arch9wavefront6targetE1EEEvSM_: ; @_ZN7rocprim17ROCPRIM_400000_NS6detail17trampoline_kernelINS0_14default_configENS1_22reduce_config_selectorIlEEZNS1_11reduce_implILb1ES3_PlS7_lN6hipcub16HIPCUB_304000_NS6detail34convert_binary_result_type_wrapperINS9_3SumENS9_22TransformInputIteratorIb7NonZeroIfEPflEElEEEE10hipError_tPvRmT1_T2_T3_mT4_P12ihipStream_tbEUlT_E1_NS1_11comp_targetILNS1_3genE9ELNS1_11target_archE1100ELNS1_3gpuE3ELNS1_3repE0EEENS1_30default_config_static_selectorELNS0_4arch9wavefront6targetE1EEEvSM_
; %bb.0:
	.section	.rodata,"a",@progbits
	.p2align	6, 0x0
	.amdhsa_kernel _ZN7rocprim17ROCPRIM_400000_NS6detail17trampoline_kernelINS0_14default_configENS1_22reduce_config_selectorIlEEZNS1_11reduce_implILb1ES3_PlS7_lN6hipcub16HIPCUB_304000_NS6detail34convert_binary_result_type_wrapperINS9_3SumENS9_22TransformInputIteratorIb7NonZeroIfEPflEElEEEE10hipError_tPvRmT1_T2_T3_mT4_P12ihipStream_tbEUlT_E1_NS1_11comp_targetILNS1_3genE9ELNS1_11target_archE1100ELNS1_3gpuE3ELNS1_3repE0EEENS1_30default_config_static_selectorELNS0_4arch9wavefront6targetE1EEEvSM_
		.amdhsa_group_segment_fixed_size 0
		.amdhsa_private_segment_fixed_size 0
		.amdhsa_kernarg_size 48
		.amdhsa_user_sgpr_count 2
		.amdhsa_user_sgpr_dispatch_ptr 0
		.amdhsa_user_sgpr_queue_ptr 0
		.amdhsa_user_sgpr_kernarg_segment_ptr 1
		.amdhsa_user_sgpr_dispatch_id 0
		.amdhsa_user_sgpr_kernarg_preload_length 0
		.amdhsa_user_sgpr_kernarg_preload_offset 0
		.amdhsa_user_sgpr_private_segment_size 0
		.amdhsa_uses_dynamic_stack 0
		.amdhsa_enable_private_segment 0
		.amdhsa_system_sgpr_workgroup_id_x 1
		.amdhsa_system_sgpr_workgroup_id_y 0
		.amdhsa_system_sgpr_workgroup_id_z 0
		.amdhsa_system_sgpr_workgroup_info 0
		.amdhsa_system_vgpr_workitem_id 0
		.amdhsa_next_free_vgpr 1
		.amdhsa_next_free_sgpr 0
		.amdhsa_accum_offset 4
		.amdhsa_reserve_vcc 0
		.amdhsa_float_round_mode_32 0
		.amdhsa_float_round_mode_16_64 0
		.amdhsa_float_denorm_mode_32 3
		.amdhsa_float_denorm_mode_16_64 3
		.amdhsa_dx10_clamp 1
		.amdhsa_ieee_mode 1
		.amdhsa_fp16_overflow 0
		.amdhsa_tg_split 0
		.amdhsa_exception_fp_ieee_invalid_op 0
		.amdhsa_exception_fp_denorm_src 0
		.amdhsa_exception_fp_ieee_div_zero 0
		.amdhsa_exception_fp_ieee_overflow 0
		.amdhsa_exception_fp_ieee_underflow 0
		.amdhsa_exception_fp_ieee_inexact 0
		.amdhsa_exception_int_div_zero 0
	.end_amdhsa_kernel
	.section	.text._ZN7rocprim17ROCPRIM_400000_NS6detail17trampoline_kernelINS0_14default_configENS1_22reduce_config_selectorIlEEZNS1_11reduce_implILb1ES3_PlS7_lN6hipcub16HIPCUB_304000_NS6detail34convert_binary_result_type_wrapperINS9_3SumENS9_22TransformInputIteratorIb7NonZeroIfEPflEElEEEE10hipError_tPvRmT1_T2_T3_mT4_P12ihipStream_tbEUlT_E1_NS1_11comp_targetILNS1_3genE9ELNS1_11target_archE1100ELNS1_3gpuE3ELNS1_3repE0EEENS1_30default_config_static_selectorELNS0_4arch9wavefront6targetE1EEEvSM_,"axG",@progbits,_ZN7rocprim17ROCPRIM_400000_NS6detail17trampoline_kernelINS0_14default_configENS1_22reduce_config_selectorIlEEZNS1_11reduce_implILb1ES3_PlS7_lN6hipcub16HIPCUB_304000_NS6detail34convert_binary_result_type_wrapperINS9_3SumENS9_22TransformInputIteratorIb7NonZeroIfEPflEElEEEE10hipError_tPvRmT1_T2_T3_mT4_P12ihipStream_tbEUlT_E1_NS1_11comp_targetILNS1_3genE9ELNS1_11target_archE1100ELNS1_3gpuE3ELNS1_3repE0EEENS1_30default_config_static_selectorELNS0_4arch9wavefront6targetE1EEEvSM_,comdat
.Lfunc_end233:
	.size	_ZN7rocprim17ROCPRIM_400000_NS6detail17trampoline_kernelINS0_14default_configENS1_22reduce_config_selectorIlEEZNS1_11reduce_implILb1ES3_PlS7_lN6hipcub16HIPCUB_304000_NS6detail34convert_binary_result_type_wrapperINS9_3SumENS9_22TransformInputIteratorIb7NonZeroIfEPflEElEEEE10hipError_tPvRmT1_T2_T3_mT4_P12ihipStream_tbEUlT_E1_NS1_11comp_targetILNS1_3genE9ELNS1_11target_archE1100ELNS1_3gpuE3ELNS1_3repE0EEENS1_30default_config_static_selectorELNS0_4arch9wavefront6targetE1EEEvSM_, .Lfunc_end233-_ZN7rocprim17ROCPRIM_400000_NS6detail17trampoline_kernelINS0_14default_configENS1_22reduce_config_selectorIlEEZNS1_11reduce_implILb1ES3_PlS7_lN6hipcub16HIPCUB_304000_NS6detail34convert_binary_result_type_wrapperINS9_3SumENS9_22TransformInputIteratorIb7NonZeroIfEPflEElEEEE10hipError_tPvRmT1_T2_T3_mT4_P12ihipStream_tbEUlT_E1_NS1_11comp_targetILNS1_3genE9ELNS1_11target_archE1100ELNS1_3gpuE3ELNS1_3repE0EEENS1_30default_config_static_selectorELNS0_4arch9wavefront6targetE1EEEvSM_
                                        ; -- End function
	.set _ZN7rocprim17ROCPRIM_400000_NS6detail17trampoline_kernelINS0_14default_configENS1_22reduce_config_selectorIlEEZNS1_11reduce_implILb1ES3_PlS7_lN6hipcub16HIPCUB_304000_NS6detail34convert_binary_result_type_wrapperINS9_3SumENS9_22TransformInputIteratorIb7NonZeroIfEPflEElEEEE10hipError_tPvRmT1_T2_T3_mT4_P12ihipStream_tbEUlT_E1_NS1_11comp_targetILNS1_3genE9ELNS1_11target_archE1100ELNS1_3gpuE3ELNS1_3repE0EEENS1_30default_config_static_selectorELNS0_4arch9wavefront6targetE1EEEvSM_.num_vgpr, 0
	.set _ZN7rocprim17ROCPRIM_400000_NS6detail17trampoline_kernelINS0_14default_configENS1_22reduce_config_selectorIlEEZNS1_11reduce_implILb1ES3_PlS7_lN6hipcub16HIPCUB_304000_NS6detail34convert_binary_result_type_wrapperINS9_3SumENS9_22TransformInputIteratorIb7NonZeroIfEPflEElEEEE10hipError_tPvRmT1_T2_T3_mT4_P12ihipStream_tbEUlT_E1_NS1_11comp_targetILNS1_3genE9ELNS1_11target_archE1100ELNS1_3gpuE3ELNS1_3repE0EEENS1_30default_config_static_selectorELNS0_4arch9wavefront6targetE1EEEvSM_.num_agpr, 0
	.set _ZN7rocprim17ROCPRIM_400000_NS6detail17trampoline_kernelINS0_14default_configENS1_22reduce_config_selectorIlEEZNS1_11reduce_implILb1ES3_PlS7_lN6hipcub16HIPCUB_304000_NS6detail34convert_binary_result_type_wrapperINS9_3SumENS9_22TransformInputIteratorIb7NonZeroIfEPflEElEEEE10hipError_tPvRmT1_T2_T3_mT4_P12ihipStream_tbEUlT_E1_NS1_11comp_targetILNS1_3genE9ELNS1_11target_archE1100ELNS1_3gpuE3ELNS1_3repE0EEENS1_30default_config_static_selectorELNS0_4arch9wavefront6targetE1EEEvSM_.numbered_sgpr, 0
	.set _ZN7rocprim17ROCPRIM_400000_NS6detail17trampoline_kernelINS0_14default_configENS1_22reduce_config_selectorIlEEZNS1_11reduce_implILb1ES3_PlS7_lN6hipcub16HIPCUB_304000_NS6detail34convert_binary_result_type_wrapperINS9_3SumENS9_22TransformInputIteratorIb7NonZeroIfEPflEElEEEE10hipError_tPvRmT1_T2_T3_mT4_P12ihipStream_tbEUlT_E1_NS1_11comp_targetILNS1_3genE9ELNS1_11target_archE1100ELNS1_3gpuE3ELNS1_3repE0EEENS1_30default_config_static_selectorELNS0_4arch9wavefront6targetE1EEEvSM_.num_named_barrier, 0
	.set _ZN7rocprim17ROCPRIM_400000_NS6detail17trampoline_kernelINS0_14default_configENS1_22reduce_config_selectorIlEEZNS1_11reduce_implILb1ES3_PlS7_lN6hipcub16HIPCUB_304000_NS6detail34convert_binary_result_type_wrapperINS9_3SumENS9_22TransformInputIteratorIb7NonZeroIfEPflEElEEEE10hipError_tPvRmT1_T2_T3_mT4_P12ihipStream_tbEUlT_E1_NS1_11comp_targetILNS1_3genE9ELNS1_11target_archE1100ELNS1_3gpuE3ELNS1_3repE0EEENS1_30default_config_static_selectorELNS0_4arch9wavefront6targetE1EEEvSM_.private_seg_size, 0
	.set _ZN7rocprim17ROCPRIM_400000_NS6detail17trampoline_kernelINS0_14default_configENS1_22reduce_config_selectorIlEEZNS1_11reduce_implILb1ES3_PlS7_lN6hipcub16HIPCUB_304000_NS6detail34convert_binary_result_type_wrapperINS9_3SumENS9_22TransformInputIteratorIb7NonZeroIfEPflEElEEEE10hipError_tPvRmT1_T2_T3_mT4_P12ihipStream_tbEUlT_E1_NS1_11comp_targetILNS1_3genE9ELNS1_11target_archE1100ELNS1_3gpuE3ELNS1_3repE0EEENS1_30default_config_static_selectorELNS0_4arch9wavefront6targetE1EEEvSM_.uses_vcc, 0
	.set _ZN7rocprim17ROCPRIM_400000_NS6detail17trampoline_kernelINS0_14default_configENS1_22reduce_config_selectorIlEEZNS1_11reduce_implILb1ES3_PlS7_lN6hipcub16HIPCUB_304000_NS6detail34convert_binary_result_type_wrapperINS9_3SumENS9_22TransformInputIteratorIb7NonZeroIfEPflEElEEEE10hipError_tPvRmT1_T2_T3_mT4_P12ihipStream_tbEUlT_E1_NS1_11comp_targetILNS1_3genE9ELNS1_11target_archE1100ELNS1_3gpuE3ELNS1_3repE0EEENS1_30default_config_static_selectorELNS0_4arch9wavefront6targetE1EEEvSM_.uses_flat_scratch, 0
	.set _ZN7rocprim17ROCPRIM_400000_NS6detail17trampoline_kernelINS0_14default_configENS1_22reduce_config_selectorIlEEZNS1_11reduce_implILb1ES3_PlS7_lN6hipcub16HIPCUB_304000_NS6detail34convert_binary_result_type_wrapperINS9_3SumENS9_22TransformInputIteratorIb7NonZeroIfEPflEElEEEE10hipError_tPvRmT1_T2_T3_mT4_P12ihipStream_tbEUlT_E1_NS1_11comp_targetILNS1_3genE9ELNS1_11target_archE1100ELNS1_3gpuE3ELNS1_3repE0EEENS1_30default_config_static_selectorELNS0_4arch9wavefront6targetE1EEEvSM_.has_dyn_sized_stack, 0
	.set _ZN7rocprim17ROCPRIM_400000_NS6detail17trampoline_kernelINS0_14default_configENS1_22reduce_config_selectorIlEEZNS1_11reduce_implILb1ES3_PlS7_lN6hipcub16HIPCUB_304000_NS6detail34convert_binary_result_type_wrapperINS9_3SumENS9_22TransformInputIteratorIb7NonZeroIfEPflEElEEEE10hipError_tPvRmT1_T2_T3_mT4_P12ihipStream_tbEUlT_E1_NS1_11comp_targetILNS1_3genE9ELNS1_11target_archE1100ELNS1_3gpuE3ELNS1_3repE0EEENS1_30default_config_static_selectorELNS0_4arch9wavefront6targetE1EEEvSM_.has_recursion, 0
	.set _ZN7rocprim17ROCPRIM_400000_NS6detail17trampoline_kernelINS0_14default_configENS1_22reduce_config_selectorIlEEZNS1_11reduce_implILb1ES3_PlS7_lN6hipcub16HIPCUB_304000_NS6detail34convert_binary_result_type_wrapperINS9_3SumENS9_22TransformInputIteratorIb7NonZeroIfEPflEElEEEE10hipError_tPvRmT1_T2_T3_mT4_P12ihipStream_tbEUlT_E1_NS1_11comp_targetILNS1_3genE9ELNS1_11target_archE1100ELNS1_3gpuE3ELNS1_3repE0EEENS1_30default_config_static_selectorELNS0_4arch9wavefront6targetE1EEEvSM_.has_indirect_call, 0
	.section	.AMDGPU.csdata,"",@progbits
; Kernel info:
; codeLenInByte = 0
; TotalNumSgprs: 6
; NumVgprs: 0
; NumAgprs: 0
; TotalNumVgprs: 0
; ScratchSize: 0
; MemoryBound: 0
; FloatMode: 240
; IeeeMode: 1
; LDSByteSize: 0 bytes/workgroup (compile time only)
; SGPRBlocks: 0
; VGPRBlocks: 0
; NumSGPRsForWavesPerEU: 6
; NumVGPRsForWavesPerEU: 1
; AccumOffset: 4
; Occupancy: 8
; WaveLimiterHint : 0
; COMPUTE_PGM_RSRC2:SCRATCH_EN: 0
; COMPUTE_PGM_RSRC2:USER_SGPR: 2
; COMPUTE_PGM_RSRC2:TRAP_HANDLER: 0
; COMPUTE_PGM_RSRC2:TGID_X_EN: 1
; COMPUTE_PGM_RSRC2:TGID_Y_EN: 0
; COMPUTE_PGM_RSRC2:TGID_Z_EN: 0
; COMPUTE_PGM_RSRC2:TIDIG_COMP_CNT: 0
; COMPUTE_PGM_RSRC3_GFX90A:ACCUM_OFFSET: 0
; COMPUTE_PGM_RSRC3_GFX90A:TG_SPLIT: 0
	.section	.text._ZN7rocprim17ROCPRIM_400000_NS6detail17trampoline_kernelINS0_14default_configENS1_22reduce_config_selectorIlEEZNS1_11reduce_implILb1ES3_PlS7_lN6hipcub16HIPCUB_304000_NS6detail34convert_binary_result_type_wrapperINS9_3SumENS9_22TransformInputIteratorIb7NonZeroIfEPflEElEEEE10hipError_tPvRmT1_T2_T3_mT4_P12ihipStream_tbEUlT_E1_NS1_11comp_targetILNS1_3genE8ELNS1_11target_archE1030ELNS1_3gpuE2ELNS1_3repE0EEENS1_30default_config_static_selectorELNS0_4arch9wavefront6targetE1EEEvSM_,"axG",@progbits,_ZN7rocprim17ROCPRIM_400000_NS6detail17trampoline_kernelINS0_14default_configENS1_22reduce_config_selectorIlEEZNS1_11reduce_implILb1ES3_PlS7_lN6hipcub16HIPCUB_304000_NS6detail34convert_binary_result_type_wrapperINS9_3SumENS9_22TransformInputIteratorIb7NonZeroIfEPflEElEEEE10hipError_tPvRmT1_T2_T3_mT4_P12ihipStream_tbEUlT_E1_NS1_11comp_targetILNS1_3genE8ELNS1_11target_archE1030ELNS1_3gpuE2ELNS1_3repE0EEENS1_30default_config_static_selectorELNS0_4arch9wavefront6targetE1EEEvSM_,comdat
	.protected	_ZN7rocprim17ROCPRIM_400000_NS6detail17trampoline_kernelINS0_14default_configENS1_22reduce_config_selectorIlEEZNS1_11reduce_implILb1ES3_PlS7_lN6hipcub16HIPCUB_304000_NS6detail34convert_binary_result_type_wrapperINS9_3SumENS9_22TransformInputIteratorIb7NonZeroIfEPflEElEEEE10hipError_tPvRmT1_T2_T3_mT4_P12ihipStream_tbEUlT_E1_NS1_11comp_targetILNS1_3genE8ELNS1_11target_archE1030ELNS1_3gpuE2ELNS1_3repE0EEENS1_30default_config_static_selectorELNS0_4arch9wavefront6targetE1EEEvSM_ ; -- Begin function _ZN7rocprim17ROCPRIM_400000_NS6detail17trampoline_kernelINS0_14default_configENS1_22reduce_config_selectorIlEEZNS1_11reduce_implILb1ES3_PlS7_lN6hipcub16HIPCUB_304000_NS6detail34convert_binary_result_type_wrapperINS9_3SumENS9_22TransformInputIteratorIb7NonZeroIfEPflEElEEEE10hipError_tPvRmT1_T2_T3_mT4_P12ihipStream_tbEUlT_E1_NS1_11comp_targetILNS1_3genE8ELNS1_11target_archE1030ELNS1_3gpuE2ELNS1_3repE0EEENS1_30default_config_static_selectorELNS0_4arch9wavefront6targetE1EEEvSM_
	.globl	_ZN7rocprim17ROCPRIM_400000_NS6detail17trampoline_kernelINS0_14default_configENS1_22reduce_config_selectorIlEEZNS1_11reduce_implILb1ES3_PlS7_lN6hipcub16HIPCUB_304000_NS6detail34convert_binary_result_type_wrapperINS9_3SumENS9_22TransformInputIteratorIb7NonZeroIfEPflEElEEEE10hipError_tPvRmT1_T2_T3_mT4_P12ihipStream_tbEUlT_E1_NS1_11comp_targetILNS1_3genE8ELNS1_11target_archE1030ELNS1_3gpuE2ELNS1_3repE0EEENS1_30default_config_static_selectorELNS0_4arch9wavefront6targetE1EEEvSM_
	.p2align	8
	.type	_ZN7rocprim17ROCPRIM_400000_NS6detail17trampoline_kernelINS0_14default_configENS1_22reduce_config_selectorIlEEZNS1_11reduce_implILb1ES3_PlS7_lN6hipcub16HIPCUB_304000_NS6detail34convert_binary_result_type_wrapperINS9_3SumENS9_22TransformInputIteratorIb7NonZeroIfEPflEElEEEE10hipError_tPvRmT1_T2_T3_mT4_P12ihipStream_tbEUlT_E1_NS1_11comp_targetILNS1_3genE8ELNS1_11target_archE1030ELNS1_3gpuE2ELNS1_3repE0EEENS1_30default_config_static_selectorELNS0_4arch9wavefront6targetE1EEEvSM_,@function
_ZN7rocprim17ROCPRIM_400000_NS6detail17trampoline_kernelINS0_14default_configENS1_22reduce_config_selectorIlEEZNS1_11reduce_implILb1ES3_PlS7_lN6hipcub16HIPCUB_304000_NS6detail34convert_binary_result_type_wrapperINS9_3SumENS9_22TransformInputIteratorIb7NonZeroIfEPflEElEEEE10hipError_tPvRmT1_T2_T3_mT4_P12ihipStream_tbEUlT_E1_NS1_11comp_targetILNS1_3genE8ELNS1_11target_archE1030ELNS1_3gpuE2ELNS1_3repE0EEENS1_30default_config_static_selectorELNS0_4arch9wavefront6targetE1EEEvSM_: ; @_ZN7rocprim17ROCPRIM_400000_NS6detail17trampoline_kernelINS0_14default_configENS1_22reduce_config_selectorIlEEZNS1_11reduce_implILb1ES3_PlS7_lN6hipcub16HIPCUB_304000_NS6detail34convert_binary_result_type_wrapperINS9_3SumENS9_22TransformInputIteratorIb7NonZeroIfEPflEElEEEE10hipError_tPvRmT1_T2_T3_mT4_P12ihipStream_tbEUlT_E1_NS1_11comp_targetILNS1_3genE8ELNS1_11target_archE1030ELNS1_3gpuE2ELNS1_3repE0EEENS1_30default_config_static_selectorELNS0_4arch9wavefront6targetE1EEEvSM_
; %bb.0:
	.section	.rodata,"a",@progbits
	.p2align	6, 0x0
	.amdhsa_kernel _ZN7rocprim17ROCPRIM_400000_NS6detail17trampoline_kernelINS0_14default_configENS1_22reduce_config_selectorIlEEZNS1_11reduce_implILb1ES3_PlS7_lN6hipcub16HIPCUB_304000_NS6detail34convert_binary_result_type_wrapperINS9_3SumENS9_22TransformInputIteratorIb7NonZeroIfEPflEElEEEE10hipError_tPvRmT1_T2_T3_mT4_P12ihipStream_tbEUlT_E1_NS1_11comp_targetILNS1_3genE8ELNS1_11target_archE1030ELNS1_3gpuE2ELNS1_3repE0EEENS1_30default_config_static_selectorELNS0_4arch9wavefront6targetE1EEEvSM_
		.amdhsa_group_segment_fixed_size 0
		.amdhsa_private_segment_fixed_size 0
		.amdhsa_kernarg_size 48
		.amdhsa_user_sgpr_count 2
		.amdhsa_user_sgpr_dispatch_ptr 0
		.amdhsa_user_sgpr_queue_ptr 0
		.amdhsa_user_sgpr_kernarg_segment_ptr 1
		.amdhsa_user_sgpr_dispatch_id 0
		.amdhsa_user_sgpr_kernarg_preload_length 0
		.amdhsa_user_sgpr_kernarg_preload_offset 0
		.amdhsa_user_sgpr_private_segment_size 0
		.amdhsa_uses_dynamic_stack 0
		.amdhsa_enable_private_segment 0
		.amdhsa_system_sgpr_workgroup_id_x 1
		.amdhsa_system_sgpr_workgroup_id_y 0
		.amdhsa_system_sgpr_workgroup_id_z 0
		.amdhsa_system_sgpr_workgroup_info 0
		.amdhsa_system_vgpr_workitem_id 0
		.amdhsa_next_free_vgpr 1
		.amdhsa_next_free_sgpr 0
		.amdhsa_accum_offset 4
		.amdhsa_reserve_vcc 0
		.amdhsa_float_round_mode_32 0
		.amdhsa_float_round_mode_16_64 0
		.amdhsa_float_denorm_mode_32 3
		.amdhsa_float_denorm_mode_16_64 3
		.amdhsa_dx10_clamp 1
		.amdhsa_ieee_mode 1
		.amdhsa_fp16_overflow 0
		.amdhsa_tg_split 0
		.amdhsa_exception_fp_ieee_invalid_op 0
		.amdhsa_exception_fp_denorm_src 0
		.amdhsa_exception_fp_ieee_div_zero 0
		.amdhsa_exception_fp_ieee_overflow 0
		.amdhsa_exception_fp_ieee_underflow 0
		.amdhsa_exception_fp_ieee_inexact 0
		.amdhsa_exception_int_div_zero 0
	.end_amdhsa_kernel
	.section	.text._ZN7rocprim17ROCPRIM_400000_NS6detail17trampoline_kernelINS0_14default_configENS1_22reduce_config_selectorIlEEZNS1_11reduce_implILb1ES3_PlS7_lN6hipcub16HIPCUB_304000_NS6detail34convert_binary_result_type_wrapperINS9_3SumENS9_22TransformInputIteratorIb7NonZeroIfEPflEElEEEE10hipError_tPvRmT1_T2_T3_mT4_P12ihipStream_tbEUlT_E1_NS1_11comp_targetILNS1_3genE8ELNS1_11target_archE1030ELNS1_3gpuE2ELNS1_3repE0EEENS1_30default_config_static_selectorELNS0_4arch9wavefront6targetE1EEEvSM_,"axG",@progbits,_ZN7rocprim17ROCPRIM_400000_NS6detail17trampoline_kernelINS0_14default_configENS1_22reduce_config_selectorIlEEZNS1_11reduce_implILb1ES3_PlS7_lN6hipcub16HIPCUB_304000_NS6detail34convert_binary_result_type_wrapperINS9_3SumENS9_22TransformInputIteratorIb7NonZeroIfEPflEElEEEE10hipError_tPvRmT1_T2_T3_mT4_P12ihipStream_tbEUlT_E1_NS1_11comp_targetILNS1_3genE8ELNS1_11target_archE1030ELNS1_3gpuE2ELNS1_3repE0EEENS1_30default_config_static_selectorELNS0_4arch9wavefront6targetE1EEEvSM_,comdat
.Lfunc_end234:
	.size	_ZN7rocprim17ROCPRIM_400000_NS6detail17trampoline_kernelINS0_14default_configENS1_22reduce_config_selectorIlEEZNS1_11reduce_implILb1ES3_PlS7_lN6hipcub16HIPCUB_304000_NS6detail34convert_binary_result_type_wrapperINS9_3SumENS9_22TransformInputIteratorIb7NonZeroIfEPflEElEEEE10hipError_tPvRmT1_T2_T3_mT4_P12ihipStream_tbEUlT_E1_NS1_11comp_targetILNS1_3genE8ELNS1_11target_archE1030ELNS1_3gpuE2ELNS1_3repE0EEENS1_30default_config_static_selectorELNS0_4arch9wavefront6targetE1EEEvSM_, .Lfunc_end234-_ZN7rocprim17ROCPRIM_400000_NS6detail17trampoline_kernelINS0_14default_configENS1_22reduce_config_selectorIlEEZNS1_11reduce_implILb1ES3_PlS7_lN6hipcub16HIPCUB_304000_NS6detail34convert_binary_result_type_wrapperINS9_3SumENS9_22TransformInputIteratorIb7NonZeroIfEPflEElEEEE10hipError_tPvRmT1_T2_T3_mT4_P12ihipStream_tbEUlT_E1_NS1_11comp_targetILNS1_3genE8ELNS1_11target_archE1030ELNS1_3gpuE2ELNS1_3repE0EEENS1_30default_config_static_selectorELNS0_4arch9wavefront6targetE1EEEvSM_
                                        ; -- End function
	.set _ZN7rocprim17ROCPRIM_400000_NS6detail17trampoline_kernelINS0_14default_configENS1_22reduce_config_selectorIlEEZNS1_11reduce_implILb1ES3_PlS7_lN6hipcub16HIPCUB_304000_NS6detail34convert_binary_result_type_wrapperINS9_3SumENS9_22TransformInputIteratorIb7NonZeroIfEPflEElEEEE10hipError_tPvRmT1_T2_T3_mT4_P12ihipStream_tbEUlT_E1_NS1_11comp_targetILNS1_3genE8ELNS1_11target_archE1030ELNS1_3gpuE2ELNS1_3repE0EEENS1_30default_config_static_selectorELNS0_4arch9wavefront6targetE1EEEvSM_.num_vgpr, 0
	.set _ZN7rocprim17ROCPRIM_400000_NS6detail17trampoline_kernelINS0_14default_configENS1_22reduce_config_selectorIlEEZNS1_11reduce_implILb1ES3_PlS7_lN6hipcub16HIPCUB_304000_NS6detail34convert_binary_result_type_wrapperINS9_3SumENS9_22TransformInputIteratorIb7NonZeroIfEPflEElEEEE10hipError_tPvRmT1_T2_T3_mT4_P12ihipStream_tbEUlT_E1_NS1_11comp_targetILNS1_3genE8ELNS1_11target_archE1030ELNS1_3gpuE2ELNS1_3repE0EEENS1_30default_config_static_selectorELNS0_4arch9wavefront6targetE1EEEvSM_.num_agpr, 0
	.set _ZN7rocprim17ROCPRIM_400000_NS6detail17trampoline_kernelINS0_14default_configENS1_22reduce_config_selectorIlEEZNS1_11reduce_implILb1ES3_PlS7_lN6hipcub16HIPCUB_304000_NS6detail34convert_binary_result_type_wrapperINS9_3SumENS9_22TransformInputIteratorIb7NonZeroIfEPflEElEEEE10hipError_tPvRmT1_T2_T3_mT4_P12ihipStream_tbEUlT_E1_NS1_11comp_targetILNS1_3genE8ELNS1_11target_archE1030ELNS1_3gpuE2ELNS1_3repE0EEENS1_30default_config_static_selectorELNS0_4arch9wavefront6targetE1EEEvSM_.numbered_sgpr, 0
	.set _ZN7rocprim17ROCPRIM_400000_NS6detail17trampoline_kernelINS0_14default_configENS1_22reduce_config_selectorIlEEZNS1_11reduce_implILb1ES3_PlS7_lN6hipcub16HIPCUB_304000_NS6detail34convert_binary_result_type_wrapperINS9_3SumENS9_22TransformInputIteratorIb7NonZeroIfEPflEElEEEE10hipError_tPvRmT1_T2_T3_mT4_P12ihipStream_tbEUlT_E1_NS1_11comp_targetILNS1_3genE8ELNS1_11target_archE1030ELNS1_3gpuE2ELNS1_3repE0EEENS1_30default_config_static_selectorELNS0_4arch9wavefront6targetE1EEEvSM_.num_named_barrier, 0
	.set _ZN7rocprim17ROCPRIM_400000_NS6detail17trampoline_kernelINS0_14default_configENS1_22reduce_config_selectorIlEEZNS1_11reduce_implILb1ES3_PlS7_lN6hipcub16HIPCUB_304000_NS6detail34convert_binary_result_type_wrapperINS9_3SumENS9_22TransformInputIteratorIb7NonZeroIfEPflEElEEEE10hipError_tPvRmT1_T2_T3_mT4_P12ihipStream_tbEUlT_E1_NS1_11comp_targetILNS1_3genE8ELNS1_11target_archE1030ELNS1_3gpuE2ELNS1_3repE0EEENS1_30default_config_static_selectorELNS0_4arch9wavefront6targetE1EEEvSM_.private_seg_size, 0
	.set _ZN7rocprim17ROCPRIM_400000_NS6detail17trampoline_kernelINS0_14default_configENS1_22reduce_config_selectorIlEEZNS1_11reduce_implILb1ES3_PlS7_lN6hipcub16HIPCUB_304000_NS6detail34convert_binary_result_type_wrapperINS9_3SumENS9_22TransformInputIteratorIb7NonZeroIfEPflEElEEEE10hipError_tPvRmT1_T2_T3_mT4_P12ihipStream_tbEUlT_E1_NS1_11comp_targetILNS1_3genE8ELNS1_11target_archE1030ELNS1_3gpuE2ELNS1_3repE0EEENS1_30default_config_static_selectorELNS0_4arch9wavefront6targetE1EEEvSM_.uses_vcc, 0
	.set _ZN7rocprim17ROCPRIM_400000_NS6detail17trampoline_kernelINS0_14default_configENS1_22reduce_config_selectorIlEEZNS1_11reduce_implILb1ES3_PlS7_lN6hipcub16HIPCUB_304000_NS6detail34convert_binary_result_type_wrapperINS9_3SumENS9_22TransformInputIteratorIb7NonZeroIfEPflEElEEEE10hipError_tPvRmT1_T2_T3_mT4_P12ihipStream_tbEUlT_E1_NS1_11comp_targetILNS1_3genE8ELNS1_11target_archE1030ELNS1_3gpuE2ELNS1_3repE0EEENS1_30default_config_static_selectorELNS0_4arch9wavefront6targetE1EEEvSM_.uses_flat_scratch, 0
	.set _ZN7rocprim17ROCPRIM_400000_NS6detail17trampoline_kernelINS0_14default_configENS1_22reduce_config_selectorIlEEZNS1_11reduce_implILb1ES3_PlS7_lN6hipcub16HIPCUB_304000_NS6detail34convert_binary_result_type_wrapperINS9_3SumENS9_22TransformInputIteratorIb7NonZeroIfEPflEElEEEE10hipError_tPvRmT1_T2_T3_mT4_P12ihipStream_tbEUlT_E1_NS1_11comp_targetILNS1_3genE8ELNS1_11target_archE1030ELNS1_3gpuE2ELNS1_3repE0EEENS1_30default_config_static_selectorELNS0_4arch9wavefront6targetE1EEEvSM_.has_dyn_sized_stack, 0
	.set _ZN7rocprim17ROCPRIM_400000_NS6detail17trampoline_kernelINS0_14default_configENS1_22reduce_config_selectorIlEEZNS1_11reduce_implILb1ES3_PlS7_lN6hipcub16HIPCUB_304000_NS6detail34convert_binary_result_type_wrapperINS9_3SumENS9_22TransformInputIteratorIb7NonZeroIfEPflEElEEEE10hipError_tPvRmT1_T2_T3_mT4_P12ihipStream_tbEUlT_E1_NS1_11comp_targetILNS1_3genE8ELNS1_11target_archE1030ELNS1_3gpuE2ELNS1_3repE0EEENS1_30default_config_static_selectorELNS0_4arch9wavefront6targetE1EEEvSM_.has_recursion, 0
	.set _ZN7rocprim17ROCPRIM_400000_NS6detail17trampoline_kernelINS0_14default_configENS1_22reduce_config_selectorIlEEZNS1_11reduce_implILb1ES3_PlS7_lN6hipcub16HIPCUB_304000_NS6detail34convert_binary_result_type_wrapperINS9_3SumENS9_22TransformInputIteratorIb7NonZeroIfEPflEElEEEE10hipError_tPvRmT1_T2_T3_mT4_P12ihipStream_tbEUlT_E1_NS1_11comp_targetILNS1_3genE8ELNS1_11target_archE1030ELNS1_3gpuE2ELNS1_3repE0EEENS1_30default_config_static_selectorELNS0_4arch9wavefront6targetE1EEEvSM_.has_indirect_call, 0
	.section	.AMDGPU.csdata,"",@progbits
; Kernel info:
; codeLenInByte = 0
; TotalNumSgprs: 6
; NumVgprs: 0
; NumAgprs: 0
; TotalNumVgprs: 0
; ScratchSize: 0
; MemoryBound: 0
; FloatMode: 240
; IeeeMode: 1
; LDSByteSize: 0 bytes/workgroup (compile time only)
; SGPRBlocks: 0
; VGPRBlocks: 0
; NumSGPRsForWavesPerEU: 6
; NumVGPRsForWavesPerEU: 1
; AccumOffset: 4
; Occupancy: 8
; WaveLimiterHint : 0
; COMPUTE_PGM_RSRC2:SCRATCH_EN: 0
; COMPUTE_PGM_RSRC2:USER_SGPR: 2
; COMPUTE_PGM_RSRC2:TRAP_HANDLER: 0
; COMPUTE_PGM_RSRC2:TGID_X_EN: 1
; COMPUTE_PGM_RSRC2:TGID_Y_EN: 0
; COMPUTE_PGM_RSRC2:TGID_Z_EN: 0
; COMPUTE_PGM_RSRC2:TIDIG_COMP_CNT: 0
; COMPUTE_PGM_RSRC3_GFX90A:ACCUM_OFFSET: 0
; COMPUTE_PGM_RSRC3_GFX90A:TG_SPLIT: 0
	.section	.text._ZN7rocprim17ROCPRIM_400000_NS6detail17trampoline_kernelINS0_14default_configENS1_22reduce_config_selectorIbEEZNS1_11reduce_implILb1ES3_N6hipcub16HIPCUB_304000_NS22TransformInputIteratorIb7NonZeroIfEPflEEPllNS8_6detail34convert_binary_result_type_wrapperINS8_3SumESD_lEEEE10hipError_tPvRmT1_T2_T3_mT4_P12ihipStream_tbEUlT_E0_NS1_11comp_targetILNS1_3genE0ELNS1_11target_archE4294967295ELNS1_3gpuE0ELNS1_3repE0EEENS1_30default_config_static_selectorELNS0_4arch9wavefront6targetE1EEEvSM_,"axG",@progbits,_ZN7rocprim17ROCPRIM_400000_NS6detail17trampoline_kernelINS0_14default_configENS1_22reduce_config_selectorIbEEZNS1_11reduce_implILb1ES3_N6hipcub16HIPCUB_304000_NS22TransformInputIteratorIb7NonZeroIfEPflEEPllNS8_6detail34convert_binary_result_type_wrapperINS8_3SumESD_lEEEE10hipError_tPvRmT1_T2_T3_mT4_P12ihipStream_tbEUlT_E0_NS1_11comp_targetILNS1_3genE0ELNS1_11target_archE4294967295ELNS1_3gpuE0ELNS1_3repE0EEENS1_30default_config_static_selectorELNS0_4arch9wavefront6targetE1EEEvSM_,comdat
	.protected	_ZN7rocprim17ROCPRIM_400000_NS6detail17trampoline_kernelINS0_14default_configENS1_22reduce_config_selectorIbEEZNS1_11reduce_implILb1ES3_N6hipcub16HIPCUB_304000_NS22TransformInputIteratorIb7NonZeroIfEPflEEPllNS8_6detail34convert_binary_result_type_wrapperINS8_3SumESD_lEEEE10hipError_tPvRmT1_T2_T3_mT4_P12ihipStream_tbEUlT_E0_NS1_11comp_targetILNS1_3genE0ELNS1_11target_archE4294967295ELNS1_3gpuE0ELNS1_3repE0EEENS1_30default_config_static_selectorELNS0_4arch9wavefront6targetE1EEEvSM_ ; -- Begin function _ZN7rocprim17ROCPRIM_400000_NS6detail17trampoline_kernelINS0_14default_configENS1_22reduce_config_selectorIbEEZNS1_11reduce_implILb1ES3_N6hipcub16HIPCUB_304000_NS22TransformInputIteratorIb7NonZeroIfEPflEEPllNS8_6detail34convert_binary_result_type_wrapperINS8_3SumESD_lEEEE10hipError_tPvRmT1_T2_T3_mT4_P12ihipStream_tbEUlT_E0_NS1_11comp_targetILNS1_3genE0ELNS1_11target_archE4294967295ELNS1_3gpuE0ELNS1_3repE0EEENS1_30default_config_static_selectorELNS0_4arch9wavefront6targetE1EEEvSM_
	.globl	_ZN7rocprim17ROCPRIM_400000_NS6detail17trampoline_kernelINS0_14default_configENS1_22reduce_config_selectorIbEEZNS1_11reduce_implILb1ES3_N6hipcub16HIPCUB_304000_NS22TransformInputIteratorIb7NonZeroIfEPflEEPllNS8_6detail34convert_binary_result_type_wrapperINS8_3SumESD_lEEEE10hipError_tPvRmT1_T2_T3_mT4_P12ihipStream_tbEUlT_E0_NS1_11comp_targetILNS1_3genE0ELNS1_11target_archE4294967295ELNS1_3gpuE0ELNS1_3repE0EEENS1_30default_config_static_selectorELNS0_4arch9wavefront6targetE1EEEvSM_
	.p2align	8
	.type	_ZN7rocprim17ROCPRIM_400000_NS6detail17trampoline_kernelINS0_14default_configENS1_22reduce_config_selectorIbEEZNS1_11reduce_implILb1ES3_N6hipcub16HIPCUB_304000_NS22TransformInputIteratorIb7NonZeroIfEPflEEPllNS8_6detail34convert_binary_result_type_wrapperINS8_3SumESD_lEEEE10hipError_tPvRmT1_T2_T3_mT4_P12ihipStream_tbEUlT_E0_NS1_11comp_targetILNS1_3genE0ELNS1_11target_archE4294967295ELNS1_3gpuE0ELNS1_3repE0EEENS1_30default_config_static_selectorELNS0_4arch9wavefront6targetE1EEEvSM_,@function
_ZN7rocprim17ROCPRIM_400000_NS6detail17trampoline_kernelINS0_14default_configENS1_22reduce_config_selectorIbEEZNS1_11reduce_implILb1ES3_N6hipcub16HIPCUB_304000_NS22TransformInputIteratorIb7NonZeroIfEPflEEPllNS8_6detail34convert_binary_result_type_wrapperINS8_3SumESD_lEEEE10hipError_tPvRmT1_T2_T3_mT4_P12ihipStream_tbEUlT_E0_NS1_11comp_targetILNS1_3genE0ELNS1_11target_archE4294967295ELNS1_3gpuE0ELNS1_3repE0EEENS1_30default_config_static_selectorELNS0_4arch9wavefront6targetE1EEEvSM_: ; @_ZN7rocprim17ROCPRIM_400000_NS6detail17trampoline_kernelINS0_14default_configENS1_22reduce_config_selectorIbEEZNS1_11reduce_implILb1ES3_N6hipcub16HIPCUB_304000_NS22TransformInputIteratorIb7NonZeroIfEPflEEPllNS8_6detail34convert_binary_result_type_wrapperINS8_3SumESD_lEEEE10hipError_tPvRmT1_T2_T3_mT4_P12ihipStream_tbEUlT_E0_NS1_11comp_targetILNS1_3genE0ELNS1_11target_archE4294967295ELNS1_3gpuE0ELNS1_3repE0EEENS1_30default_config_static_selectorELNS0_4arch9wavefront6targetE1EEEvSM_
; %bb.0:
	s_load_dwordx8 s[36:43], s[0:1], 0x10
	s_load_dwordx2 s[4:5], s[0:1], 0x0
	s_load_dwordx4 s[44:47], s[0:1], 0x30
	s_mov_b32 s3, 0
	v_lshlrev_b32_e32 v34, 2, v0
	s_waitcnt lgkmcnt(0)
	s_lshl_b64 s[0:1], s[36:37], 2
	s_add_u32 s8, s4, s0
	s_addc_u32 s9, s5, s1
	s_lshl_b32 s0, s2, 12
	s_mov_b32 s1, s3
	s_lshr_b64 s[4:5], s[38:39], 12
	s_lshl_b64 s[6:7], s[0:1], 2
	s_add_u32 s30, s8, s6
	s_addc_u32 s31, s9, s7
	s_cmp_lg_u64 s[4:5], s[2:3]
	v_mbcnt_lo_u32_b32 v1, -1, 0
	s_cbranch_scc0 .LBB235_6
; %bb.1:
	global_load_dword v8, v34, s[30:31] offset:1024
	global_load_dword v10, v34, s[30:31] offset:2048
	;; [unrolled: 1-line block ×3, first 2 shown]
	v_mov_b32_e32 v35, 0
	v_lshl_add_u64 v[2:3], s[30:31], 0, v[34:35]
	global_load_dword v14, v34, s[30:31]
	s_movk_i32 s1, 0x3000
	v_add_co_u32_e32 v4, vcc, s1, v2
	s_movk_i32 s1, 0x2000
	s_nop 0
	v_addc_co_u32_e32 v5, vcc, 0, v3, vcc
	global_load_dword v16, v[4:5], off offset:-4096
	global_load_dword v18, v[4:5], off
	global_load_dword v20, v[4:5], off offset:1024
	global_load_dword v26, v[4:5], off offset:2048
	v_add_co_u32_e32 v6, vcc, 0x1000, v2
	v_mov_b32_e32 v31, v35
	s_nop 0
	v_addc_co_u32_e32 v7, vcc, 0, v3, vcc
	global_load_dword v28, v[4:5], off offset:3072
	global_load_dword v36, v[6:7], off
	global_load_dword v38, v[6:7], off offset:1024
	global_load_dword v39, v[6:7], off offset:2048
	;; [unrolled: 1-line block ×3, first 2 shown]
	v_add_co_u32_e32 v2, vcc, s1, v2
	v_mov_b32_e32 v7, s3
	s_nop 0
	v_addc_co_u32_e32 v3, vcc, 0, v3, vcc
	global_load_dword v5, v[2:3], off offset:1024
	global_load_dword v41, v[2:3], off offset:2048
	global_load_dword v42, v[2:3], off offset:3072
	v_mov_b32_e32 v3, s3
	v_mov_b32_e32 v9, s3
	;; [unrolled: 1-line block ×13, first 2 shown]
	v_mov_b32_dpp v33, v35 quad_perm:[1,0,3,2] row_mask:0xf bank_mask:0xf bound_ctrl:1
	v_mov_b32_e32 v32, v35
	v_mbcnt_hi_u32_b32 v4, -1, v1
	s_waitcnt vmcnt(13)
	v_cmp_neq_f32_e32 vcc, 0, v12
	s_nop 1
	v_cndmask_b32_e64 v2, 0, 1, vcc
	v_cmp_neq_f32_e32 vcc, 0, v8
	s_nop 1
	v_cndmask_b32_e64 v6, 0, 1, vcc
	s_waitcnt vmcnt(12)
	v_cmp_neq_f32_e32 vcc, 0, v14
	s_nop 1
	v_cndmask_b32_e64 v8, 0, 1, vcc
	v_cmp_neq_f32_e32 vcc, 0, v10
	s_nop 1
	v_addc_co_u32_e32 v30, vcc, v6, v8, vcc
	s_waitcnt vmcnt(11)
	v_cmp_neq_f32_e32 vcc, 0, v16
	v_lshl_add_u64 v[2:3], v[30:31], 0, v[2:3]
	s_nop 0
	v_cndmask_b32_e64 v14, 0, 1, vcc
	s_waitcnt vmcnt(10)
	v_cmp_neq_f32_e32 vcc, 0, v18
	s_nop 1
	v_cndmask_b32_e64 v22, 0, 1, vcc
	s_waitcnt vmcnt(9)
	v_cmp_neq_f32_e32 vcc, 0, v20
	;; [unrolled: 4-line block ×6, first 2 shown]
	v_lshl_add_u64 v[2:3], v[2:3], 0, v[6:7]
	s_nop 0
	v_cndmask_b32_e64 v8, 0, 1, vcc
	s_waitcnt vmcnt(4)
	v_cmp_neq_f32_e32 vcc, 0, v39
	v_lshl_add_u64 v[2:3], v[2:3], 0, v[8:9]
	v_mov_b32_e32 v8, v35
	v_cndmask_b32_e64 v10, 0, 1, vcc
	s_waitcnt vmcnt(3)
	v_cmp_neq_f32_e32 vcc, 0, v40
	v_lshl_add_u64 v[2:3], v[2:3], 0, v[10:11]
	s_nop 0
	v_cndmask_b32_e64 v12, 0, 1, vcc
	s_waitcnt vmcnt(2)
	v_cmp_neq_f32_e32 vcc, 0, v5
	v_lshl_add_u64 v[2:3], v[2:3], 0, v[12:13]
	v_lshl_add_u64 v[2:3], v[2:3], 0, v[14:15]
	v_cndmask_b32_e64 v16, 0, 1, vcc
	s_waitcnt vmcnt(1)
	v_cmp_neq_f32_e32 vcc, 0, v41
	v_lshl_add_u64 v[2:3], v[2:3], 0, v[16:17]
	v_lshlrev_b32_e32 v5, 2, v4
	v_cndmask_b32_e64 v18, 0, 1, vcc
	s_waitcnt vmcnt(0)
	v_cmp_neq_f32_e32 vcc, 0, v42
	v_lshl_add_u64 v[2:3], v[2:3], 0, v[18:19]
	s_nop 0
	v_cndmask_b32_e64 v20, 0, 1, vcc
	v_lshl_add_u64 v[2:3], v[2:3], 0, v[20:21]
	v_lshl_add_u64 v[2:3], v[2:3], 0, v[22:23]
	v_lshl_add_u64 v[2:3], v[2:3], 0, v[24:25]
	v_lshl_add_u64 v[2:3], v[2:3], 0, v[26:27]
	v_lshl_add_u64 v[2:3], v[2:3], 0, v[28:29]
	v_cmp_eq_u32_e32 vcc, 0, v4
	s_nop 0
	v_mov_b32_dpp v36, v2 quad_perm:[1,0,3,2] row_mask:0xf bank_mask:0xf bound_ctrl:1
	v_lshl_add_u64 v[2:3], v[2:3], 0, v[36:37]
	v_lshl_add_u64 v[6:7], v[32:33], 0, v[2:3]
	v_mov_b32_e32 v3, v35
	v_mov_b32_dpp v2, v2 quad_perm:[2,3,0,1] row_mask:0xf bank_mask:0xf bound_ctrl:1
	v_mov_b32_dpp v9, v7 quad_perm:[2,3,0,1] row_mask:0xf bank_mask:0xf bound_ctrl:1
	v_lshl_add_u64 v[2:3], v[6:7], 0, v[2:3]
	v_lshl_add_u64 v[6:7], v[2:3], 0, v[8:9]
	v_mov_b32_e32 v3, v35
	v_mov_b32_dpp v2, v2 row_ror:4 row_mask:0xf bank_mask:0xf bound_ctrl:1
	v_mov_b32_dpp v9, v7 row_ror:4 row_mask:0xf bank_mask:0xf bound_ctrl:1
	v_lshl_add_u64 v[2:3], v[6:7], 0, v[2:3]
	v_lshl_add_u64 v[6:7], v[2:3], 0, v[8:9]
	v_mov_b32_e32 v3, v35
	v_mov_b32_dpp v2, v2 row_ror:8 row_mask:0xf bank_mask:0xf bound_ctrl:1
	v_mov_b32_dpp v9, v7 row_ror:8 row_mask:0xf bank_mask:0xf bound_ctrl:1
	v_lshl_add_u64 v[2:3], v[6:7], 0, v[2:3]
	v_lshl_add_u64 v[6:7], v[2:3], 0, v[8:9]
	v_mov_b32_e32 v3, v35
	v_mov_b32_dpp v2, v2 row_bcast:15 row_mask:0xf bank_mask:0xf bound_ctrl:1
	v_mov_b32_dpp v9, v7 row_bcast:15 row_mask:0xf bank_mask:0xf bound_ctrl:1
	v_lshl_add_u64 v[2:3], v[6:7], 0, v[2:3]
	v_lshl_add_u64 v[6:7], v[2:3], 0, v[8:9]
	v_mov_b32_e32 v3, v35
	v_mov_b32_dpp v2, v2 row_bcast:31 row_mask:0xf bank_mask:0xf bound_ctrl:1
	v_lshl_add_u64 v[2:3], v[6:7], 0, v[2:3]
	v_or_b32_e32 v6, 0xfc, v5
	ds_bpermute_b32 v2, v6, v2
	v_add_u32_dpp v3, v7, v3 row_bcast:31 row_mask:0xf bank_mask:0xf bound_ctrl:1
	ds_bpermute_b32 v3, v6, v3
	s_and_saveexec_b64 s[4:5], vcc
	s_cbranch_execz .LBB235_3
; %bb.2:
	v_lshrrev_b32_e32 v6, 3, v0
	v_and_b32_e32 v6, 24, v6
	s_waitcnt lgkmcnt(0)
	ds_write_b64 v6, v[2:3]
.LBB235_3:
	s_or_b64 exec, exec, s[4:5]
	v_cmp_gt_u32_e32 vcc, 64, v0
	s_waitcnt lgkmcnt(0)
	s_barrier
	s_and_saveexec_b64 s[4:5], vcc
	s_cbranch_execz .LBB235_5
; %bb.4:
	v_and_b32_e32 v6, 3, v4
	v_lshlrev_b32_e32 v2, 3, v6
	ds_read_b64 v[2:3], v2
	v_cmp_ne_u32_e32 vcc, 3, v6
	v_or_b32_e32 v8, 8, v5
	s_nop 0
	v_addc_co_u32_e32 v4, vcc, 0, v4, vcc
	v_lshlrev_b32_e32 v6, 2, v4
	s_waitcnt lgkmcnt(0)
	ds_bpermute_b32 v4, v6, v2
	ds_bpermute_b32 v7, v6, v3
	v_mov_b32_e32 v6, 0
	v_mov_b32_e32 v5, v6
	s_waitcnt lgkmcnt(1)
	v_lshl_add_u64 v[2:3], v[2:3], 0, v[4:5]
	s_waitcnt lgkmcnt(0)
	v_lshl_add_u64 v[4:5], v[6:7], 0, v[2:3]
	ds_bpermute_b32 v2, v8, v2
	ds_bpermute_b32 v7, v8, v5
	v_mov_b32_e32 v3, v6
	s_waitcnt lgkmcnt(1)
	v_lshl_add_u64 v[2:3], v[4:5], 0, v[2:3]
	s_waitcnt lgkmcnt(0)
	v_lshl_add_u64 v[2:3], v[2:3], 0, v[6:7]
.LBB235_5:
	s_or_b64 exec, exec, s[4:5]
	s_branch .LBB235_48
.LBB235_6:
                                        ; implicit-def: $vgpr2_vgpr3
	s_cbranch_execz .LBB235_48
; %bb.7:
	s_sub_i32 s33, s38, s0
	v_mov_b32_e32 v2, 0
	v_cmp_gt_u32_e32 vcc, s33, v0
	v_mov_b32_e32 v3, v2
	v_mov_b32_e32 v4, v2
	v_mov_b32_e32 v5, v2
	v_mov_b32_e32 v6, v2
	v_mov_b32_e32 v7, v2
	v_mov_b32_e32 v8, v2
	v_mov_b32_e32 v9, v2
	v_mov_b32_e32 v10, v2
	v_mov_b32_e32 v11, v2
	v_mov_b32_e32 v12, v2
	v_mov_b32_e32 v13, v2
	v_mov_b32_e32 v14, v2
	v_mov_b32_e32 v15, v2
	v_mov_b32_e32 v16, v2
	v_mov_b32_e32 v17, v2
	v_mov_b32_e32 v18, v2
	v_mov_b32_e32 v19, v2
	v_mov_b32_e32 v20, v2
	v_mov_b32_e32 v21, v2
	v_mov_b32_e32 v22, v2
	v_mov_b32_e32 v23, v2
	v_mov_b32_e32 v24, v2
	v_mov_b32_e32 v25, v2
	v_mov_b32_e32 v26, v2
	v_mov_b32_e32 v27, v2
	v_mov_b32_e32 v28, v2
	v_mov_b32_e32 v29, v2
	v_mov_b32_e32 v30, v2
	v_mov_b32_e32 v31, v2
	v_mov_b32_e32 v32, v2
	v_mov_b32_e32 v33, v2
	s_and_saveexec_b64 s[0:1], vcc
	s_cbranch_execz .LBB235_9
; %bb.8:
	global_load_dword v35, v34, s[30:31]
	v_mov_b32_e32 v3, v2
	v_mov_b32_e32 v4, v2
	;; [unrolled: 1-line block ×31, first 2 shown]
	s_waitcnt vmcnt(0)
	v_cmp_neq_f32_e32 vcc, 0, v35
	s_nop 1
	v_cndmask_b32_e64 v2, 0, 1, vcc
.LBB235_9:
	s_or_b64 exec, exec, s[0:1]
	v_or_b32_e32 v35, 0x100, v0
	v_cmp_gt_u32_e32 vcc, s33, v35
	s_and_saveexec_b64 s[4:5], vcc
	s_cbranch_execz .LBB235_11
; %bb.10:
	global_load_dword v4, v34, s[30:31] offset:1024
	s_mov_b32 s6, 0
	v_mov_b32_e32 v5, s6
	s_waitcnt vmcnt(0)
	v_cmp_neq_f32_e64 s[0:1], 0, v4
	s_nop 1
	v_cndmask_b32_e64 v4, 0, 1, s[0:1]
.LBB235_11:
	s_or_b64 exec, exec, s[4:5]
	v_or_b32_e32 v35, 0x200, v0
	v_cmp_gt_u32_e64 s[0:1], s33, v35
	s_and_saveexec_b64 s[6:7], s[0:1]
	s_cbranch_execz .LBB235_13
; %bb.12:
	global_load_dword v6, v34, s[30:31] offset:2048
	s_mov_b32 s8, 0
	v_mov_b32_e32 v7, s8
	s_waitcnt vmcnt(0)
	v_cmp_neq_f32_e64 s[4:5], 0, v6
	s_nop 1
	v_cndmask_b32_e64 v6, 0, 1, s[4:5]
.LBB235_13:
	s_or_b64 exec, exec, s[6:7]
	v_or_b32_e32 v35, 0x300, v0
	v_cmp_gt_u32_e64 s[4:5], s33, v35
	s_and_saveexec_b64 s[8:9], s[4:5]
	;; [unrolled: 14-line block ×3, first 2 shown]
	s_cbranch_execz .LBB235_17
; %bb.16:
	v_lshlrev_b32_e32 v10, 2, v34
	global_load_dword v10, v10, s[30:31]
	s_mov_b32 s12, 0
	v_mov_b32_e32 v11, s12
	s_waitcnt vmcnt(0)
	v_cmp_neq_f32_e64 s[8:9], 0, v10
	s_nop 1
	v_cndmask_b32_e64 v10, 0, 1, s[8:9]
.LBB235_17:
	s_or_b64 exec, exec, s[10:11]
	v_or_b32_e32 v34, 0x500, v0
	v_cmp_gt_u32_e64 s[8:9], s33, v34
	s_and_saveexec_b64 s[12:13], s[8:9]
	s_cbranch_execz .LBB235_19
; %bb.18:
	v_lshlrev_b32_e32 v12, 2, v34
	global_load_dword v12, v12, s[30:31]
	s_mov_b32 s14, 0
	v_mov_b32_e32 v13, s14
	s_waitcnt vmcnt(0)
	v_cmp_neq_f32_e64 s[10:11], 0, v12
	s_nop 1
	v_cndmask_b32_e64 v12, 0, 1, s[10:11]
.LBB235_19:
	s_or_b64 exec, exec, s[12:13]
	v_or_b32_e32 v34, 0x600, v0
	v_cmp_gt_u32_e64 s[10:11], s33, v34
	s_and_saveexec_b64 s[14:15], s[10:11]
	;; [unrolled: 15-line block ×11, first 2 shown]
	s_cbranch_execz .LBB235_39
; %bb.38:
	v_lshlrev_b32_e32 v32, 2, v34
	global_load_dword v32, v32, s[30:31]
	s_mov_b32 s36, 0
	v_mov_b32_e32 v33, s36
	s_waitcnt vmcnt(0)
	v_cmp_neq_f32_e64 s[30:31], 0, v32
	s_nop 1
	v_cndmask_b32_e64 v32, 0, 1, s[30:31]
.LBB235_39:
	s_or_b64 exec, exec, s[34:35]
	v_cndmask_b32_e32 v5, 0, v5, vcc
	v_cndmask_b32_e32 v4, 0, v4, vcc
	v_lshl_add_u64 v[2:3], v[4:5], 0, v[2:3]
	v_cndmask_b32_e64 v5, 0, v7, s[0:1]
	v_cndmask_b32_e64 v4, 0, v6, s[0:1]
	v_lshl_add_u64 v[2:3], v[2:3], 0, v[4:5]
	v_cndmask_b32_e64 v5, 0, v9, s[4:5]
	v_cndmask_b32_e64 v4, 0, v8, s[4:5]
	;; [unrolled: 3-line block ×13, first 2 shown]
	v_mbcnt_hi_u32_b32 v1, -1, v1
	v_lshl_add_u64 v[2:3], v[2:3], 0, v[4:5]
	v_cndmask_b32_e64 v5, 0, v33, s[28:29]
	v_cndmask_b32_e64 v4, 0, v32, s[28:29]
	v_and_b32_e32 v9, 63, v1
	v_lshl_add_u64 v[2:3], v[2:3], 0, v[4:5]
	s_min_u32 s6, s33, 0x100
	v_and_b32_e32 v4, 0xc0, v0
	v_cmp_ne_u32_e32 vcc, 63, v9
	v_sub_u32_e64 v8, s6, v4 clamp
	v_mov_b32_e32 v6, 0
	v_addc_co_u32_e32 v4, vcc, 0, v1, vcc
	v_lshlrev_b32_e32 v5, 2, v4
	ds_bpermute_b32 v4, v5, v2
	ds_bpermute_b32 v7, v5, v3
	v_add_u32_e32 v10, 1, v9
	v_mov_b32_e32 v5, v6
	v_cmp_lt_u32_e64 s[0:1], v10, v8
	s_waitcnt lgkmcnt(1)
	v_lshl_add_u64 v[4:5], v[2:3], 0, v[4:5]
	v_cmp_gt_u32_e32 vcc, 62, v9
	s_waitcnt lgkmcnt(0)
	v_lshl_add_u64 v[6:7], v[4:5], 0, v[6:7]
	v_cndmask_b32_e64 v12, v2, v4, s[0:1]
	v_cndmask_b32_e64 v4, 0, 2, vcc
	v_cndmask_b32_e64 v5, v3, v7, s[0:1]
	v_add_lshl_u32 v4, v4, v1, 2
	ds_bpermute_b32 v10, v4, v12
	ds_bpermute_b32 v11, v4, v5
	v_cndmask_b32_e64 v4, v2, v6, s[0:1]
	v_add_u32_e32 v13, 2, v9
	v_cmp_lt_u32_e32 vcc, v13, v8
	v_cmp_gt_u32_e64 s[4:5], 60, v9
	s_waitcnt lgkmcnt(0)
	v_lshl_add_u64 v[6:7], v[10:11], 0, v[4:5]
	v_cndmask_b32_e32 v5, v5, v7, vcc
	v_cndmask_b32_e64 v7, 0, 4, s[4:5]
	v_cndmask_b32_e32 v12, v12, v6, vcc
	v_add_lshl_u32 v7, v7, v1, 2
	ds_bpermute_b32 v10, v7, v12
	ds_bpermute_b32 v11, v7, v5
	v_cndmask_b32_e32 v4, v4, v6, vcc
	v_add_u32_e32 v13, 4, v9
	v_cmp_lt_u32_e32 vcc, v13, v8
	v_cmp_gt_u32_e64 s[4:5], 56, v9
	s_waitcnt lgkmcnt(0)
	v_lshl_add_u64 v[6:7], v[10:11], 0, v[4:5]
	v_cndmask_b32_e32 v5, v5, v7, vcc
	v_cndmask_b32_e64 v7, 0, 8, s[4:5]
	v_cndmask_b32_e32 v12, v12, v6, vcc
	v_add_lshl_u32 v7, v7, v1, 2
	ds_bpermute_b32 v10, v7, v12
	ds_bpermute_b32 v11, v7, v5
	v_cndmask_b32_e32 v4, v4, v6, vcc
	;; [unrolled: 12-line block ×3, first 2 shown]
	v_add_u32_e32 v13, 16, v9
	v_cmp_lt_u32_e32 vcc, v13, v8
	s_waitcnt lgkmcnt(0)
	v_lshl_add_u64 v[6:7], v[10:11], 0, v[4:5]
	v_lshlrev_b32_e32 v10, 2, v1
	v_cndmask_b32_e32 v13, v5, v7, vcc
	v_cndmask_b32_e32 v11, v12, v6, vcc
	v_or_b32_e32 v12, 0x80, v10
	ds_bpermute_b32 v11, v12, v11
	ds_bpermute_b32 v12, v12, v13
	s_and_saveexec_b64 s[4:5], s[0:1]
	s_cbranch_execz .LBB235_41
; %bb.40:
	v_add_u32_e32 v9, 32, v9
	v_cndmask_b32_e32 v3, v5, v7, vcc
	v_cndmask_b32_e32 v2, v4, v6, vcc
	v_cmp_lt_u32_e32 vcc, v9, v8
	s_waitcnt lgkmcnt(0)
	s_nop 0
	v_cndmask_b32_e32 v5, 0, v12, vcc
	v_cndmask_b32_e32 v4, 0, v11, vcc
	v_lshl_add_u64 v[2:3], v[2:3], 0, v[4:5]
.LBB235_41:
	s_or_b64 exec, exec, s[4:5]
	v_cmp_eq_u32_e32 vcc, 0, v1
	s_and_saveexec_b64 s[0:1], vcc
; %bb.42:
	v_lshrrev_b32_e32 v4, 3, v0
	v_and_b32_e32 v4, 24, v4
	ds_write_b64 v4, v[2:3] offset:32
; %bb.43:
	s_or_b64 exec, exec, s[0:1]
	v_cmp_gt_u32_e32 vcc, 4, v0
	s_waitcnt lgkmcnt(0)
	s_barrier
	s_and_saveexec_b64 s[0:1], vcc
	s_cbranch_execz .LBB235_47
; %bb.44:
	v_lshlrev_b32_e32 v2, 3, v1
	ds_read_b64 v[2:3], v2 offset:32
	v_and_b32_e32 v6, 3, v1
	v_cmp_ne_u32_e32 vcc, 3, v6
	v_mov_b32_e32 v8, 0
	s_add_i32 s6, s6, 63
	v_addc_co_u32_e32 v1, vcc, 0, v1, vcc
	v_lshlrev_b32_e32 v1, 2, v1
	s_waitcnt lgkmcnt(0)
	ds_bpermute_b32 v4, v1, v2
	ds_bpermute_b32 v9, v1, v3
	v_mov_b32_e32 v5, v8
	s_lshr_b32 s6, s6, 6
	v_add_u32_e32 v1, 1, v6
	s_waitcnt lgkmcnt(1)
	v_lshl_add_u64 v[12:13], v[2:3], 0, v[4:5]
	s_waitcnt lgkmcnt(0)
	v_lshl_add_u64 v[4:5], v[8:9], 0, v[12:13]
	v_cmp_gt_u32_e32 vcc, s6, v1
	v_or_b32_e32 v8, 8, v10
	s_nop 0
	v_cndmask_b32_e32 v7, v3, v5, vcc
	v_cndmask_b32_e32 v1, v2, v12, vcc
	ds_bpermute_b32 v1, v8, v1
	ds_bpermute_b32 v7, v8, v7
	s_and_saveexec_b64 s[4:5], vcc
	s_cbranch_execz .LBB235_46
; %bb.45:
	v_add_u32_e32 v2, 2, v6
	v_cmp_gt_u32_e32 vcc, s6, v2
	s_waitcnt lgkmcnt(0)
	s_nop 0
	v_cndmask_b32_e32 v3, 0, v7, vcc
	v_cndmask_b32_e32 v2, 0, v1, vcc
	v_lshl_add_u64 v[2:3], v[2:3], 0, v[4:5]
.LBB235_46:
	s_or_b64 exec, exec, s[4:5]
.LBB235_47:
	s_or_b64 exec, exec, s[0:1]
.LBB235_48:
	v_cmp_eq_u32_e32 vcc, 0, v0
	s_and_saveexec_b64 s[0:1], vcc
	s_cbranch_execnz .LBB235_50
; %bb.49:
	s_endpgm
.LBB235_50:
	s_mul_i32 s0, s44, s43
	s_mul_hi_u32 s1, s44, s42
	s_add_i32 s0, s1, s0
	s_mul_i32 s1, s45, s42
	s_add_i32 s1, s0, s1
	s_mul_i32 s0, s44, s42
	s_lshl_b64 s[0:1], s[0:1], 3
	s_add_u32 s4, s40, s0
	s_addc_u32 s5, s41, s1
	s_cmp_eq_u64 s[38:39], 0
	v_mov_b32_e32 v0, s47
	s_cselect_b64 vcc, -1, 0
	s_lshl_b64 s[0:1], s[2:3], 3
	s_waitcnt lgkmcnt(1)
	v_cndmask_b32_e32 v1, v3, v0, vcc
	v_mov_b32_e32 v0, s46
	s_add_u32 s0, s4, s0
	v_cndmask_b32_e32 v0, v2, v0, vcc
	s_addc_u32 s1, s5, s1
	v_mov_b32_e32 v2, 0
	global_store_dwordx2 v2, v[0:1], s[0:1]
	s_endpgm
	.section	.rodata,"a",@progbits
	.p2align	6, 0x0
	.amdhsa_kernel _ZN7rocprim17ROCPRIM_400000_NS6detail17trampoline_kernelINS0_14default_configENS1_22reduce_config_selectorIbEEZNS1_11reduce_implILb1ES3_N6hipcub16HIPCUB_304000_NS22TransformInputIteratorIb7NonZeroIfEPflEEPllNS8_6detail34convert_binary_result_type_wrapperINS8_3SumESD_lEEEE10hipError_tPvRmT1_T2_T3_mT4_P12ihipStream_tbEUlT_E0_NS1_11comp_targetILNS1_3genE0ELNS1_11target_archE4294967295ELNS1_3gpuE0ELNS1_3repE0EEENS1_30default_config_static_selectorELNS0_4arch9wavefront6targetE1EEEvSM_
		.amdhsa_group_segment_fixed_size 64
		.amdhsa_private_segment_fixed_size 0
		.amdhsa_kernarg_size 72
		.amdhsa_user_sgpr_count 2
		.amdhsa_user_sgpr_dispatch_ptr 0
		.amdhsa_user_sgpr_queue_ptr 0
		.amdhsa_user_sgpr_kernarg_segment_ptr 1
		.amdhsa_user_sgpr_dispatch_id 0
		.amdhsa_user_sgpr_kernarg_preload_length 0
		.amdhsa_user_sgpr_kernarg_preload_offset 0
		.amdhsa_user_sgpr_private_segment_size 0
		.amdhsa_uses_dynamic_stack 0
		.amdhsa_enable_private_segment 0
		.amdhsa_system_sgpr_workgroup_id_x 1
		.amdhsa_system_sgpr_workgroup_id_y 0
		.amdhsa_system_sgpr_workgroup_id_z 0
		.amdhsa_system_sgpr_workgroup_info 0
		.amdhsa_system_vgpr_workitem_id 0
		.amdhsa_next_free_vgpr 43
		.amdhsa_next_free_sgpr 48
		.amdhsa_accum_offset 44
		.amdhsa_reserve_vcc 1
		.amdhsa_float_round_mode_32 0
		.amdhsa_float_round_mode_16_64 0
		.amdhsa_float_denorm_mode_32 3
		.amdhsa_float_denorm_mode_16_64 3
		.amdhsa_dx10_clamp 1
		.amdhsa_ieee_mode 1
		.amdhsa_fp16_overflow 0
		.amdhsa_tg_split 0
		.amdhsa_exception_fp_ieee_invalid_op 0
		.amdhsa_exception_fp_denorm_src 0
		.amdhsa_exception_fp_ieee_div_zero 0
		.amdhsa_exception_fp_ieee_overflow 0
		.amdhsa_exception_fp_ieee_underflow 0
		.amdhsa_exception_fp_ieee_inexact 0
		.amdhsa_exception_int_div_zero 0
	.end_amdhsa_kernel
	.section	.text._ZN7rocprim17ROCPRIM_400000_NS6detail17trampoline_kernelINS0_14default_configENS1_22reduce_config_selectorIbEEZNS1_11reduce_implILb1ES3_N6hipcub16HIPCUB_304000_NS22TransformInputIteratorIb7NonZeroIfEPflEEPllNS8_6detail34convert_binary_result_type_wrapperINS8_3SumESD_lEEEE10hipError_tPvRmT1_T2_T3_mT4_P12ihipStream_tbEUlT_E0_NS1_11comp_targetILNS1_3genE0ELNS1_11target_archE4294967295ELNS1_3gpuE0ELNS1_3repE0EEENS1_30default_config_static_selectorELNS0_4arch9wavefront6targetE1EEEvSM_,"axG",@progbits,_ZN7rocprim17ROCPRIM_400000_NS6detail17trampoline_kernelINS0_14default_configENS1_22reduce_config_selectorIbEEZNS1_11reduce_implILb1ES3_N6hipcub16HIPCUB_304000_NS22TransformInputIteratorIb7NonZeroIfEPflEEPllNS8_6detail34convert_binary_result_type_wrapperINS8_3SumESD_lEEEE10hipError_tPvRmT1_T2_T3_mT4_P12ihipStream_tbEUlT_E0_NS1_11comp_targetILNS1_3genE0ELNS1_11target_archE4294967295ELNS1_3gpuE0ELNS1_3repE0EEENS1_30default_config_static_selectorELNS0_4arch9wavefront6targetE1EEEvSM_,comdat
.Lfunc_end235:
	.size	_ZN7rocprim17ROCPRIM_400000_NS6detail17trampoline_kernelINS0_14default_configENS1_22reduce_config_selectorIbEEZNS1_11reduce_implILb1ES3_N6hipcub16HIPCUB_304000_NS22TransformInputIteratorIb7NonZeroIfEPflEEPllNS8_6detail34convert_binary_result_type_wrapperINS8_3SumESD_lEEEE10hipError_tPvRmT1_T2_T3_mT4_P12ihipStream_tbEUlT_E0_NS1_11comp_targetILNS1_3genE0ELNS1_11target_archE4294967295ELNS1_3gpuE0ELNS1_3repE0EEENS1_30default_config_static_selectorELNS0_4arch9wavefront6targetE1EEEvSM_, .Lfunc_end235-_ZN7rocprim17ROCPRIM_400000_NS6detail17trampoline_kernelINS0_14default_configENS1_22reduce_config_selectorIbEEZNS1_11reduce_implILb1ES3_N6hipcub16HIPCUB_304000_NS22TransformInputIteratorIb7NonZeroIfEPflEEPllNS8_6detail34convert_binary_result_type_wrapperINS8_3SumESD_lEEEE10hipError_tPvRmT1_T2_T3_mT4_P12ihipStream_tbEUlT_E0_NS1_11comp_targetILNS1_3genE0ELNS1_11target_archE4294967295ELNS1_3gpuE0ELNS1_3repE0EEENS1_30default_config_static_selectorELNS0_4arch9wavefront6targetE1EEEvSM_
                                        ; -- End function
	.set _ZN7rocprim17ROCPRIM_400000_NS6detail17trampoline_kernelINS0_14default_configENS1_22reduce_config_selectorIbEEZNS1_11reduce_implILb1ES3_N6hipcub16HIPCUB_304000_NS22TransformInputIteratorIb7NonZeroIfEPflEEPllNS8_6detail34convert_binary_result_type_wrapperINS8_3SumESD_lEEEE10hipError_tPvRmT1_T2_T3_mT4_P12ihipStream_tbEUlT_E0_NS1_11comp_targetILNS1_3genE0ELNS1_11target_archE4294967295ELNS1_3gpuE0ELNS1_3repE0EEENS1_30default_config_static_selectorELNS0_4arch9wavefront6targetE1EEEvSM_.num_vgpr, 43
	.set _ZN7rocprim17ROCPRIM_400000_NS6detail17trampoline_kernelINS0_14default_configENS1_22reduce_config_selectorIbEEZNS1_11reduce_implILb1ES3_N6hipcub16HIPCUB_304000_NS22TransformInputIteratorIb7NonZeroIfEPflEEPllNS8_6detail34convert_binary_result_type_wrapperINS8_3SumESD_lEEEE10hipError_tPvRmT1_T2_T3_mT4_P12ihipStream_tbEUlT_E0_NS1_11comp_targetILNS1_3genE0ELNS1_11target_archE4294967295ELNS1_3gpuE0ELNS1_3repE0EEENS1_30default_config_static_selectorELNS0_4arch9wavefront6targetE1EEEvSM_.num_agpr, 0
	.set _ZN7rocprim17ROCPRIM_400000_NS6detail17trampoline_kernelINS0_14default_configENS1_22reduce_config_selectorIbEEZNS1_11reduce_implILb1ES3_N6hipcub16HIPCUB_304000_NS22TransformInputIteratorIb7NonZeroIfEPflEEPllNS8_6detail34convert_binary_result_type_wrapperINS8_3SumESD_lEEEE10hipError_tPvRmT1_T2_T3_mT4_P12ihipStream_tbEUlT_E0_NS1_11comp_targetILNS1_3genE0ELNS1_11target_archE4294967295ELNS1_3gpuE0ELNS1_3repE0EEENS1_30default_config_static_selectorELNS0_4arch9wavefront6targetE1EEEvSM_.numbered_sgpr, 48
	.set _ZN7rocprim17ROCPRIM_400000_NS6detail17trampoline_kernelINS0_14default_configENS1_22reduce_config_selectorIbEEZNS1_11reduce_implILb1ES3_N6hipcub16HIPCUB_304000_NS22TransformInputIteratorIb7NonZeroIfEPflEEPllNS8_6detail34convert_binary_result_type_wrapperINS8_3SumESD_lEEEE10hipError_tPvRmT1_T2_T3_mT4_P12ihipStream_tbEUlT_E0_NS1_11comp_targetILNS1_3genE0ELNS1_11target_archE4294967295ELNS1_3gpuE0ELNS1_3repE0EEENS1_30default_config_static_selectorELNS0_4arch9wavefront6targetE1EEEvSM_.num_named_barrier, 0
	.set _ZN7rocprim17ROCPRIM_400000_NS6detail17trampoline_kernelINS0_14default_configENS1_22reduce_config_selectorIbEEZNS1_11reduce_implILb1ES3_N6hipcub16HIPCUB_304000_NS22TransformInputIteratorIb7NonZeroIfEPflEEPllNS8_6detail34convert_binary_result_type_wrapperINS8_3SumESD_lEEEE10hipError_tPvRmT1_T2_T3_mT4_P12ihipStream_tbEUlT_E0_NS1_11comp_targetILNS1_3genE0ELNS1_11target_archE4294967295ELNS1_3gpuE0ELNS1_3repE0EEENS1_30default_config_static_selectorELNS0_4arch9wavefront6targetE1EEEvSM_.private_seg_size, 0
	.set _ZN7rocprim17ROCPRIM_400000_NS6detail17trampoline_kernelINS0_14default_configENS1_22reduce_config_selectorIbEEZNS1_11reduce_implILb1ES3_N6hipcub16HIPCUB_304000_NS22TransformInputIteratorIb7NonZeroIfEPflEEPllNS8_6detail34convert_binary_result_type_wrapperINS8_3SumESD_lEEEE10hipError_tPvRmT1_T2_T3_mT4_P12ihipStream_tbEUlT_E0_NS1_11comp_targetILNS1_3genE0ELNS1_11target_archE4294967295ELNS1_3gpuE0ELNS1_3repE0EEENS1_30default_config_static_selectorELNS0_4arch9wavefront6targetE1EEEvSM_.uses_vcc, 1
	.set _ZN7rocprim17ROCPRIM_400000_NS6detail17trampoline_kernelINS0_14default_configENS1_22reduce_config_selectorIbEEZNS1_11reduce_implILb1ES3_N6hipcub16HIPCUB_304000_NS22TransformInputIteratorIb7NonZeroIfEPflEEPllNS8_6detail34convert_binary_result_type_wrapperINS8_3SumESD_lEEEE10hipError_tPvRmT1_T2_T3_mT4_P12ihipStream_tbEUlT_E0_NS1_11comp_targetILNS1_3genE0ELNS1_11target_archE4294967295ELNS1_3gpuE0ELNS1_3repE0EEENS1_30default_config_static_selectorELNS0_4arch9wavefront6targetE1EEEvSM_.uses_flat_scratch, 0
	.set _ZN7rocprim17ROCPRIM_400000_NS6detail17trampoline_kernelINS0_14default_configENS1_22reduce_config_selectorIbEEZNS1_11reduce_implILb1ES3_N6hipcub16HIPCUB_304000_NS22TransformInputIteratorIb7NonZeroIfEPflEEPllNS8_6detail34convert_binary_result_type_wrapperINS8_3SumESD_lEEEE10hipError_tPvRmT1_T2_T3_mT4_P12ihipStream_tbEUlT_E0_NS1_11comp_targetILNS1_3genE0ELNS1_11target_archE4294967295ELNS1_3gpuE0ELNS1_3repE0EEENS1_30default_config_static_selectorELNS0_4arch9wavefront6targetE1EEEvSM_.has_dyn_sized_stack, 0
	.set _ZN7rocprim17ROCPRIM_400000_NS6detail17trampoline_kernelINS0_14default_configENS1_22reduce_config_selectorIbEEZNS1_11reduce_implILb1ES3_N6hipcub16HIPCUB_304000_NS22TransformInputIteratorIb7NonZeroIfEPflEEPllNS8_6detail34convert_binary_result_type_wrapperINS8_3SumESD_lEEEE10hipError_tPvRmT1_T2_T3_mT4_P12ihipStream_tbEUlT_E0_NS1_11comp_targetILNS1_3genE0ELNS1_11target_archE4294967295ELNS1_3gpuE0ELNS1_3repE0EEENS1_30default_config_static_selectorELNS0_4arch9wavefront6targetE1EEEvSM_.has_recursion, 0
	.set _ZN7rocprim17ROCPRIM_400000_NS6detail17trampoline_kernelINS0_14default_configENS1_22reduce_config_selectorIbEEZNS1_11reduce_implILb1ES3_N6hipcub16HIPCUB_304000_NS22TransformInputIteratorIb7NonZeroIfEPflEEPllNS8_6detail34convert_binary_result_type_wrapperINS8_3SumESD_lEEEE10hipError_tPvRmT1_T2_T3_mT4_P12ihipStream_tbEUlT_E0_NS1_11comp_targetILNS1_3genE0ELNS1_11target_archE4294967295ELNS1_3gpuE0ELNS1_3repE0EEENS1_30default_config_static_selectorELNS0_4arch9wavefront6targetE1EEEvSM_.has_indirect_call, 0
	.section	.AMDGPU.csdata,"",@progbits
; Kernel info:
; codeLenInByte = 3728
; TotalNumSgprs: 54
; NumVgprs: 43
; NumAgprs: 0
; TotalNumVgprs: 43
; ScratchSize: 0
; MemoryBound: 0
; FloatMode: 240
; IeeeMode: 1
; LDSByteSize: 64 bytes/workgroup (compile time only)
; SGPRBlocks: 6
; VGPRBlocks: 5
; NumSGPRsForWavesPerEU: 54
; NumVGPRsForWavesPerEU: 43
; AccumOffset: 44
; Occupancy: 8
; WaveLimiterHint : 1
; COMPUTE_PGM_RSRC2:SCRATCH_EN: 0
; COMPUTE_PGM_RSRC2:USER_SGPR: 2
; COMPUTE_PGM_RSRC2:TRAP_HANDLER: 0
; COMPUTE_PGM_RSRC2:TGID_X_EN: 1
; COMPUTE_PGM_RSRC2:TGID_Y_EN: 0
; COMPUTE_PGM_RSRC2:TGID_Z_EN: 0
; COMPUTE_PGM_RSRC2:TIDIG_COMP_CNT: 0
; COMPUTE_PGM_RSRC3_GFX90A:ACCUM_OFFSET: 10
; COMPUTE_PGM_RSRC3_GFX90A:TG_SPLIT: 0
	.section	.text._ZN7rocprim17ROCPRIM_400000_NS6detail17trampoline_kernelINS0_14default_configENS1_22reduce_config_selectorIbEEZNS1_11reduce_implILb1ES3_N6hipcub16HIPCUB_304000_NS22TransformInputIteratorIb7NonZeroIfEPflEEPllNS8_6detail34convert_binary_result_type_wrapperINS8_3SumESD_lEEEE10hipError_tPvRmT1_T2_T3_mT4_P12ihipStream_tbEUlT_E0_NS1_11comp_targetILNS1_3genE5ELNS1_11target_archE942ELNS1_3gpuE9ELNS1_3repE0EEENS1_30default_config_static_selectorELNS0_4arch9wavefront6targetE1EEEvSM_,"axG",@progbits,_ZN7rocprim17ROCPRIM_400000_NS6detail17trampoline_kernelINS0_14default_configENS1_22reduce_config_selectorIbEEZNS1_11reduce_implILb1ES3_N6hipcub16HIPCUB_304000_NS22TransformInputIteratorIb7NonZeroIfEPflEEPllNS8_6detail34convert_binary_result_type_wrapperINS8_3SumESD_lEEEE10hipError_tPvRmT1_T2_T3_mT4_P12ihipStream_tbEUlT_E0_NS1_11comp_targetILNS1_3genE5ELNS1_11target_archE942ELNS1_3gpuE9ELNS1_3repE0EEENS1_30default_config_static_selectorELNS0_4arch9wavefront6targetE1EEEvSM_,comdat
	.protected	_ZN7rocprim17ROCPRIM_400000_NS6detail17trampoline_kernelINS0_14default_configENS1_22reduce_config_selectorIbEEZNS1_11reduce_implILb1ES3_N6hipcub16HIPCUB_304000_NS22TransformInputIteratorIb7NonZeroIfEPflEEPllNS8_6detail34convert_binary_result_type_wrapperINS8_3SumESD_lEEEE10hipError_tPvRmT1_T2_T3_mT4_P12ihipStream_tbEUlT_E0_NS1_11comp_targetILNS1_3genE5ELNS1_11target_archE942ELNS1_3gpuE9ELNS1_3repE0EEENS1_30default_config_static_selectorELNS0_4arch9wavefront6targetE1EEEvSM_ ; -- Begin function _ZN7rocprim17ROCPRIM_400000_NS6detail17trampoline_kernelINS0_14default_configENS1_22reduce_config_selectorIbEEZNS1_11reduce_implILb1ES3_N6hipcub16HIPCUB_304000_NS22TransformInputIteratorIb7NonZeroIfEPflEEPllNS8_6detail34convert_binary_result_type_wrapperINS8_3SumESD_lEEEE10hipError_tPvRmT1_T2_T3_mT4_P12ihipStream_tbEUlT_E0_NS1_11comp_targetILNS1_3genE5ELNS1_11target_archE942ELNS1_3gpuE9ELNS1_3repE0EEENS1_30default_config_static_selectorELNS0_4arch9wavefront6targetE1EEEvSM_
	.globl	_ZN7rocprim17ROCPRIM_400000_NS6detail17trampoline_kernelINS0_14default_configENS1_22reduce_config_selectorIbEEZNS1_11reduce_implILb1ES3_N6hipcub16HIPCUB_304000_NS22TransformInputIteratorIb7NonZeroIfEPflEEPllNS8_6detail34convert_binary_result_type_wrapperINS8_3SumESD_lEEEE10hipError_tPvRmT1_T2_T3_mT4_P12ihipStream_tbEUlT_E0_NS1_11comp_targetILNS1_3genE5ELNS1_11target_archE942ELNS1_3gpuE9ELNS1_3repE0EEENS1_30default_config_static_selectorELNS0_4arch9wavefront6targetE1EEEvSM_
	.p2align	8
	.type	_ZN7rocprim17ROCPRIM_400000_NS6detail17trampoline_kernelINS0_14default_configENS1_22reduce_config_selectorIbEEZNS1_11reduce_implILb1ES3_N6hipcub16HIPCUB_304000_NS22TransformInputIteratorIb7NonZeroIfEPflEEPllNS8_6detail34convert_binary_result_type_wrapperINS8_3SumESD_lEEEE10hipError_tPvRmT1_T2_T3_mT4_P12ihipStream_tbEUlT_E0_NS1_11comp_targetILNS1_3genE5ELNS1_11target_archE942ELNS1_3gpuE9ELNS1_3repE0EEENS1_30default_config_static_selectorELNS0_4arch9wavefront6targetE1EEEvSM_,@function
_ZN7rocprim17ROCPRIM_400000_NS6detail17trampoline_kernelINS0_14default_configENS1_22reduce_config_selectorIbEEZNS1_11reduce_implILb1ES3_N6hipcub16HIPCUB_304000_NS22TransformInputIteratorIb7NonZeroIfEPflEEPllNS8_6detail34convert_binary_result_type_wrapperINS8_3SumESD_lEEEE10hipError_tPvRmT1_T2_T3_mT4_P12ihipStream_tbEUlT_E0_NS1_11comp_targetILNS1_3genE5ELNS1_11target_archE942ELNS1_3gpuE9ELNS1_3repE0EEENS1_30default_config_static_selectorELNS0_4arch9wavefront6targetE1EEEvSM_: ; @_ZN7rocprim17ROCPRIM_400000_NS6detail17trampoline_kernelINS0_14default_configENS1_22reduce_config_selectorIbEEZNS1_11reduce_implILb1ES3_N6hipcub16HIPCUB_304000_NS22TransformInputIteratorIb7NonZeroIfEPflEEPllNS8_6detail34convert_binary_result_type_wrapperINS8_3SumESD_lEEEE10hipError_tPvRmT1_T2_T3_mT4_P12ihipStream_tbEUlT_E0_NS1_11comp_targetILNS1_3genE5ELNS1_11target_archE942ELNS1_3gpuE9ELNS1_3repE0EEENS1_30default_config_static_selectorELNS0_4arch9wavefront6targetE1EEEvSM_
; %bb.0:
	.section	.rodata,"a",@progbits
	.p2align	6, 0x0
	.amdhsa_kernel _ZN7rocprim17ROCPRIM_400000_NS6detail17trampoline_kernelINS0_14default_configENS1_22reduce_config_selectorIbEEZNS1_11reduce_implILb1ES3_N6hipcub16HIPCUB_304000_NS22TransformInputIteratorIb7NonZeroIfEPflEEPllNS8_6detail34convert_binary_result_type_wrapperINS8_3SumESD_lEEEE10hipError_tPvRmT1_T2_T3_mT4_P12ihipStream_tbEUlT_E0_NS1_11comp_targetILNS1_3genE5ELNS1_11target_archE942ELNS1_3gpuE9ELNS1_3repE0EEENS1_30default_config_static_selectorELNS0_4arch9wavefront6targetE1EEEvSM_
		.amdhsa_group_segment_fixed_size 0
		.amdhsa_private_segment_fixed_size 0
		.amdhsa_kernarg_size 72
		.amdhsa_user_sgpr_count 2
		.amdhsa_user_sgpr_dispatch_ptr 0
		.amdhsa_user_sgpr_queue_ptr 0
		.amdhsa_user_sgpr_kernarg_segment_ptr 1
		.amdhsa_user_sgpr_dispatch_id 0
		.amdhsa_user_sgpr_kernarg_preload_length 0
		.amdhsa_user_sgpr_kernarg_preload_offset 0
		.amdhsa_user_sgpr_private_segment_size 0
		.amdhsa_uses_dynamic_stack 0
		.amdhsa_enable_private_segment 0
		.amdhsa_system_sgpr_workgroup_id_x 1
		.amdhsa_system_sgpr_workgroup_id_y 0
		.amdhsa_system_sgpr_workgroup_id_z 0
		.amdhsa_system_sgpr_workgroup_info 0
		.amdhsa_system_vgpr_workitem_id 0
		.amdhsa_next_free_vgpr 1
		.amdhsa_next_free_sgpr 0
		.amdhsa_accum_offset 4
		.amdhsa_reserve_vcc 0
		.amdhsa_float_round_mode_32 0
		.amdhsa_float_round_mode_16_64 0
		.amdhsa_float_denorm_mode_32 3
		.amdhsa_float_denorm_mode_16_64 3
		.amdhsa_dx10_clamp 1
		.amdhsa_ieee_mode 1
		.amdhsa_fp16_overflow 0
		.amdhsa_tg_split 0
		.amdhsa_exception_fp_ieee_invalid_op 0
		.amdhsa_exception_fp_denorm_src 0
		.amdhsa_exception_fp_ieee_div_zero 0
		.amdhsa_exception_fp_ieee_overflow 0
		.amdhsa_exception_fp_ieee_underflow 0
		.amdhsa_exception_fp_ieee_inexact 0
		.amdhsa_exception_int_div_zero 0
	.end_amdhsa_kernel
	.section	.text._ZN7rocprim17ROCPRIM_400000_NS6detail17trampoline_kernelINS0_14default_configENS1_22reduce_config_selectorIbEEZNS1_11reduce_implILb1ES3_N6hipcub16HIPCUB_304000_NS22TransformInputIteratorIb7NonZeroIfEPflEEPllNS8_6detail34convert_binary_result_type_wrapperINS8_3SumESD_lEEEE10hipError_tPvRmT1_T2_T3_mT4_P12ihipStream_tbEUlT_E0_NS1_11comp_targetILNS1_3genE5ELNS1_11target_archE942ELNS1_3gpuE9ELNS1_3repE0EEENS1_30default_config_static_selectorELNS0_4arch9wavefront6targetE1EEEvSM_,"axG",@progbits,_ZN7rocprim17ROCPRIM_400000_NS6detail17trampoline_kernelINS0_14default_configENS1_22reduce_config_selectorIbEEZNS1_11reduce_implILb1ES3_N6hipcub16HIPCUB_304000_NS22TransformInputIteratorIb7NonZeroIfEPflEEPllNS8_6detail34convert_binary_result_type_wrapperINS8_3SumESD_lEEEE10hipError_tPvRmT1_T2_T3_mT4_P12ihipStream_tbEUlT_E0_NS1_11comp_targetILNS1_3genE5ELNS1_11target_archE942ELNS1_3gpuE9ELNS1_3repE0EEENS1_30default_config_static_selectorELNS0_4arch9wavefront6targetE1EEEvSM_,comdat
.Lfunc_end236:
	.size	_ZN7rocprim17ROCPRIM_400000_NS6detail17trampoline_kernelINS0_14default_configENS1_22reduce_config_selectorIbEEZNS1_11reduce_implILb1ES3_N6hipcub16HIPCUB_304000_NS22TransformInputIteratorIb7NonZeroIfEPflEEPllNS8_6detail34convert_binary_result_type_wrapperINS8_3SumESD_lEEEE10hipError_tPvRmT1_T2_T3_mT4_P12ihipStream_tbEUlT_E0_NS1_11comp_targetILNS1_3genE5ELNS1_11target_archE942ELNS1_3gpuE9ELNS1_3repE0EEENS1_30default_config_static_selectorELNS0_4arch9wavefront6targetE1EEEvSM_, .Lfunc_end236-_ZN7rocprim17ROCPRIM_400000_NS6detail17trampoline_kernelINS0_14default_configENS1_22reduce_config_selectorIbEEZNS1_11reduce_implILb1ES3_N6hipcub16HIPCUB_304000_NS22TransformInputIteratorIb7NonZeroIfEPflEEPllNS8_6detail34convert_binary_result_type_wrapperINS8_3SumESD_lEEEE10hipError_tPvRmT1_T2_T3_mT4_P12ihipStream_tbEUlT_E0_NS1_11comp_targetILNS1_3genE5ELNS1_11target_archE942ELNS1_3gpuE9ELNS1_3repE0EEENS1_30default_config_static_selectorELNS0_4arch9wavefront6targetE1EEEvSM_
                                        ; -- End function
	.set _ZN7rocprim17ROCPRIM_400000_NS6detail17trampoline_kernelINS0_14default_configENS1_22reduce_config_selectorIbEEZNS1_11reduce_implILb1ES3_N6hipcub16HIPCUB_304000_NS22TransformInputIteratorIb7NonZeroIfEPflEEPllNS8_6detail34convert_binary_result_type_wrapperINS8_3SumESD_lEEEE10hipError_tPvRmT1_T2_T3_mT4_P12ihipStream_tbEUlT_E0_NS1_11comp_targetILNS1_3genE5ELNS1_11target_archE942ELNS1_3gpuE9ELNS1_3repE0EEENS1_30default_config_static_selectorELNS0_4arch9wavefront6targetE1EEEvSM_.num_vgpr, 0
	.set _ZN7rocprim17ROCPRIM_400000_NS6detail17trampoline_kernelINS0_14default_configENS1_22reduce_config_selectorIbEEZNS1_11reduce_implILb1ES3_N6hipcub16HIPCUB_304000_NS22TransformInputIteratorIb7NonZeroIfEPflEEPllNS8_6detail34convert_binary_result_type_wrapperINS8_3SumESD_lEEEE10hipError_tPvRmT1_T2_T3_mT4_P12ihipStream_tbEUlT_E0_NS1_11comp_targetILNS1_3genE5ELNS1_11target_archE942ELNS1_3gpuE9ELNS1_3repE0EEENS1_30default_config_static_selectorELNS0_4arch9wavefront6targetE1EEEvSM_.num_agpr, 0
	.set _ZN7rocprim17ROCPRIM_400000_NS6detail17trampoline_kernelINS0_14default_configENS1_22reduce_config_selectorIbEEZNS1_11reduce_implILb1ES3_N6hipcub16HIPCUB_304000_NS22TransformInputIteratorIb7NonZeroIfEPflEEPllNS8_6detail34convert_binary_result_type_wrapperINS8_3SumESD_lEEEE10hipError_tPvRmT1_T2_T3_mT4_P12ihipStream_tbEUlT_E0_NS1_11comp_targetILNS1_3genE5ELNS1_11target_archE942ELNS1_3gpuE9ELNS1_3repE0EEENS1_30default_config_static_selectorELNS0_4arch9wavefront6targetE1EEEvSM_.numbered_sgpr, 0
	.set _ZN7rocprim17ROCPRIM_400000_NS6detail17trampoline_kernelINS0_14default_configENS1_22reduce_config_selectorIbEEZNS1_11reduce_implILb1ES3_N6hipcub16HIPCUB_304000_NS22TransformInputIteratorIb7NonZeroIfEPflEEPllNS8_6detail34convert_binary_result_type_wrapperINS8_3SumESD_lEEEE10hipError_tPvRmT1_T2_T3_mT4_P12ihipStream_tbEUlT_E0_NS1_11comp_targetILNS1_3genE5ELNS1_11target_archE942ELNS1_3gpuE9ELNS1_3repE0EEENS1_30default_config_static_selectorELNS0_4arch9wavefront6targetE1EEEvSM_.num_named_barrier, 0
	.set _ZN7rocprim17ROCPRIM_400000_NS6detail17trampoline_kernelINS0_14default_configENS1_22reduce_config_selectorIbEEZNS1_11reduce_implILb1ES3_N6hipcub16HIPCUB_304000_NS22TransformInputIteratorIb7NonZeroIfEPflEEPllNS8_6detail34convert_binary_result_type_wrapperINS8_3SumESD_lEEEE10hipError_tPvRmT1_T2_T3_mT4_P12ihipStream_tbEUlT_E0_NS1_11comp_targetILNS1_3genE5ELNS1_11target_archE942ELNS1_3gpuE9ELNS1_3repE0EEENS1_30default_config_static_selectorELNS0_4arch9wavefront6targetE1EEEvSM_.private_seg_size, 0
	.set _ZN7rocprim17ROCPRIM_400000_NS6detail17trampoline_kernelINS0_14default_configENS1_22reduce_config_selectorIbEEZNS1_11reduce_implILb1ES3_N6hipcub16HIPCUB_304000_NS22TransformInputIteratorIb7NonZeroIfEPflEEPllNS8_6detail34convert_binary_result_type_wrapperINS8_3SumESD_lEEEE10hipError_tPvRmT1_T2_T3_mT4_P12ihipStream_tbEUlT_E0_NS1_11comp_targetILNS1_3genE5ELNS1_11target_archE942ELNS1_3gpuE9ELNS1_3repE0EEENS1_30default_config_static_selectorELNS0_4arch9wavefront6targetE1EEEvSM_.uses_vcc, 0
	.set _ZN7rocprim17ROCPRIM_400000_NS6detail17trampoline_kernelINS0_14default_configENS1_22reduce_config_selectorIbEEZNS1_11reduce_implILb1ES3_N6hipcub16HIPCUB_304000_NS22TransformInputIteratorIb7NonZeroIfEPflEEPllNS8_6detail34convert_binary_result_type_wrapperINS8_3SumESD_lEEEE10hipError_tPvRmT1_T2_T3_mT4_P12ihipStream_tbEUlT_E0_NS1_11comp_targetILNS1_3genE5ELNS1_11target_archE942ELNS1_3gpuE9ELNS1_3repE0EEENS1_30default_config_static_selectorELNS0_4arch9wavefront6targetE1EEEvSM_.uses_flat_scratch, 0
	.set _ZN7rocprim17ROCPRIM_400000_NS6detail17trampoline_kernelINS0_14default_configENS1_22reduce_config_selectorIbEEZNS1_11reduce_implILb1ES3_N6hipcub16HIPCUB_304000_NS22TransformInputIteratorIb7NonZeroIfEPflEEPllNS8_6detail34convert_binary_result_type_wrapperINS8_3SumESD_lEEEE10hipError_tPvRmT1_T2_T3_mT4_P12ihipStream_tbEUlT_E0_NS1_11comp_targetILNS1_3genE5ELNS1_11target_archE942ELNS1_3gpuE9ELNS1_3repE0EEENS1_30default_config_static_selectorELNS0_4arch9wavefront6targetE1EEEvSM_.has_dyn_sized_stack, 0
	.set _ZN7rocprim17ROCPRIM_400000_NS6detail17trampoline_kernelINS0_14default_configENS1_22reduce_config_selectorIbEEZNS1_11reduce_implILb1ES3_N6hipcub16HIPCUB_304000_NS22TransformInputIteratorIb7NonZeroIfEPflEEPllNS8_6detail34convert_binary_result_type_wrapperINS8_3SumESD_lEEEE10hipError_tPvRmT1_T2_T3_mT4_P12ihipStream_tbEUlT_E0_NS1_11comp_targetILNS1_3genE5ELNS1_11target_archE942ELNS1_3gpuE9ELNS1_3repE0EEENS1_30default_config_static_selectorELNS0_4arch9wavefront6targetE1EEEvSM_.has_recursion, 0
	.set _ZN7rocprim17ROCPRIM_400000_NS6detail17trampoline_kernelINS0_14default_configENS1_22reduce_config_selectorIbEEZNS1_11reduce_implILb1ES3_N6hipcub16HIPCUB_304000_NS22TransformInputIteratorIb7NonZeroIfEPflEEPllNS8_6detail34convert_binary_result_type_wrapperINS8_3SumESD_lEEEE10hipError_tPvRmT1_T2_T3_mT4_P12ihipStream_tbEUlT_E0_NS1_11comp_targetILNS1_3genE5ELNS1_11target_archE942ELNS1_3gpuE9ELNS1_3repE0EEENS1_30default_config_static_selectorELNS0_4arch9wavefront6targetE1EEEvSM_.has_indirect_call, 0
	.section	.AMDGPU.csdata,"",@progbits
; Kernel info:
; codeLenInByte = 0
; TotalNumSgprs: 6
; NumVgprs: 0
; NumAgprs: 0
; TotalNumVgprs: 0
; ScratchSize: 0
; MemoryBound: 0
; FloatMode: 240
; IeeeMode: 1
; LDSByteSize: 0 bytes/workgroup (compile time only)
; SGPRBlocks: 0
; VGPRBlocks: 0
; NumSGPRsForWavesPerEU: 6
; NumVGPRsForWavesPerEU: 1
; AccumOffset: 4
; Occupancy: 8
; WaveLimiterHint : 0
; COMPUTE_PGM_RSRC2:SCRATCH_EN: 0
; COMPUTE_PGM_RSRC2:USER_SGPR: 2
; COMPUTE_PGM_RSRC2:TRAP_HANDLER: 0
; COMPUTE_PGM_RSRC2:TGID_X_EN: 1
; COMPUTE_PGM_RSRC2:TGID_Y_EN: 0
; COMPUTE_PGM_RSRC2:TGID_Z_EN: 0
; COMPUTE_PGM_RSRC2:TIDIG_COMP_CNT: 0
; COMPUTE_PGM_RSRC3_GFX90A:ACCUM_OFFSET: 0
; COMPUTE_PGM_RSRC3_GFX90A:TG_SPLIT: 0
	.section	.text._ZN7rocprim17ROCPRIM_400000_NS6detail17trampoline_kernelINS0_14default_configENS1_22reduce_config_selectorIbEEZNS1_11reduce_implILb1ES3_N6hipcub16HIPCUB_304000_NS22TransformInputIteratorIb7NonZeroIfEPflEEPllNS8_6detail34convert_binary_result_type_wrapperINS8_3SumESD_lEEEE10hipError_tPvRmT1_T2_T3_mT4_P12ihipStream_tbEUlT_E0_NS1_11comp_targetILNS1_3genE4ELNS1_11target_archE910ELNS1_3gpuE8ELNS1_3repE0EEENS1_30default_config_static_selectorELNS0_4arch9wavefront6targetE1EEEvSM_,"axG",@progbits,_ZN7rocprim17ROCPRIM_400000_NS6detail17trampoline_kernelINS0_14default_configENS1_22reduce_config_selectorIbEEZNS1_11reduce_implILb1ES3_N6hipcub16HIPCUB_304000_NS22TransformInputIteratorIb7NonZeroIfEPflEEPllNS8_6detail34convert_binary_result_type_wrapperINS8_3SumESD_lEEEE10hipError_tPvRmT1_T2_T3_mT4_P12ihipStream_tbEUlT_E0_NS1_11comp_targetILNS1_3genE4ELNS1_11target_archE910ELNS1_3gpuE8ELNS1_3repE0EEENS1_30default_config_static_selectorELNS0_4arch9wavefront6targetE1EEEvSM_,comdat
	.protected	_ZN7rocprim17ROCPRIM_400000_NS6detail17trampoline_kernelINS0_14default_configENS1_22reduce_config_selectorIbEEZNS1_11reduce_implILb1ES3_N6hipcub16HIPCUB_304000_NS22TransformInputIteratorIb7NonZeroIfEPflEEPllNS8_6detail34convert_binary_result_type_wrapperINS8_3SumESD_lEEEE10hipError_tPvRmT1_T2_T3_mT4_P12ihipStream_tbEUlT_E0_NS1_11comp_targetILNS1_3genE4ELNS1_11target_archE910ELNS1_3gpuE8ELNS1_3repE0EEENS1_30default_config_static_selectorELNS0_4arch9wavefront6targetE1EEEvSM_ ; -- Begin function _ZN7rocprim17ROCPRIM_400000_NS6detail17trampoline_kernelINS0_14default_configENS1_22reduce_config_selectorIbEEZNS1_11reduce_implILb1ES3_N6hipcub16HIPCUB_304000_NS22TransformInputIteratorIb7NonZeroIfEPflEEPllNS8_6detail34convert_binary_result_type_wrapperINS8_3SumESD_lEEEE10hipError_tPvRmT1_T2_T3_mT4_P12ihipStream_tbEUlT_E0_NS1_11comp_targetILNS1_3genE4ELNS1_11target_archE910ELNS1_3gpuE8ELNS1_3repE0EEENS1_30default_config_static_selectorELNS0_4arch9wavefront6targetE1EEEvSM_
	.globl	_ZN7rocprim17ROCPRIM_400000_NS6detail17trampoline_kernelINS0_14default_configENS1_22reduce_config_selectorIbEEZNS1_11reduce_implILb1ES3_N6hipcub16HIPCUB_304000_NS22TransformInputIteratorIb7NonZeroIfEPflEEPllNS8_6detail34convert_binary_result_type_wrapperINS8_3SumESD_lEEEE10hipError_tPvRmT1_T2_T3_mT4_P12ihipStream_tbEUlT_E0_NS1_11comp_targetILNS1_3genE4ELNS1_11target_archE910ELNS1_3gpuE8ELNS1_3repE0EEENS1_30default_config_static_selectorELNS0_4arch9wavefront6targetE1EEEvSM_
	.p2align	8
	.type	_ZN7rocprim17ROCPRIM_400000_NS6detail17trampoline_kernelINS0_14default_configENS1_22reduce_config_selectorIbEEZNS1_11reduce_implILb1ES3_N6hipcub16HIPCUB_304000_NS22TransformInputIteratorIb7NonZeroIfEPflEEPllNS8_6detail34convert_binary_result_type_wrapperINS8_3SumESD_lEEEE10hipError_tPvRmT1_T2_T3_mT4_P12ihipStream_tbEUlT_E0_NS1_11comp_targetILNS1_3genE4ELNS1_11target_archE910ELNS1_3gpuE8ELNS1_3repE0EEENS1_30default_config_static_selectorELNS0_4arch9wavefront6targetE1EEEvSM_,@function
_ZN7rocprim17ROCPRIM_400000_NS6detail17trampoline_kernelINS0_14default_configENS1_22reduce_config_selectorIbEEZNS1_11reduce_implILb1ES3_N6hipcub16HIPCUB_304000_NS22TransformInputIteratorIb7NonZeroIfEPflEEPllNS8_6detail34convert_binary_result_type_wrapperINS8_3SumESD_lEEEE10hipError_tPvRmT1_T2_T3_mT4_P12ihipStream_tbEUlT_E0_NS1_11comp_targetILNS1_3genE4ELNS1_11target_archE910ELNS1_3gpuE8ELNS1_3repE0EEENS1_30default_config_static_selectorELNS0_4arch9wavefront6targetE1EEEvSM_: ; @_ZN7rocprim17ROCPRIM_400000_NS6detail17trampoline_kernelINS0_14default_configENS1_22reduce_config_selectorIbEEZNS1_11reduce_implILb1ES3_N6hipcub16HIPCUB_304000_NS22TransformInputIteratorIb7NonZeroIfEPflEEPllNS8_6detail34convert_binary_result_type_wrapperINS8_3SumESD_lEEEE10hipError_tPvRmT1_T2_T3_mT4_P12ihipStream_tbEUlT_E0_NS1_11comp_targetILNS1_3genE4ELNS1_11target_archE910ELNS1_3gpuE8ELNS1_3repE0EEENS1_30default_config_static_selectorELNS0_4arch9wavefront6targetE1EEEvSM_
; %bb.0:
	.section	.rodata,"a",@progbits
	.p2align	6, 0x0
	.amdhsa_kernel _ZN7rocprim17ROCPRIM_400000_NS6detail17trampoline_kernelINS0_14default_configENS1_22reduce_config_selectorIbEEZNS1_11reduce_implILb1ES3_N6hipcub16HIPCUB_304000_NS22TransformInputIteratorIb7NonZeroIfEPflEEPllNS8_6detail34convert_binary_result_type_wrapperINS8_3SumESD_lEEEE10hipError_tPvRmT1_T2_T3_mT4_P12ihipStream_tbEUlT_E0_NS1_11comp_targetILNS1_3genE4ELNS1_11target_archE910ELNS1_3gpuE8ELNS1_3repE0EEENS1_30default_config_static_selectorELNS0_4arch9wavefront6targetE1EEEvSM_
		.amdhsa_group_segment_fixed_size 0
		.amdhsa_private_segment_fixed_size 0
		.amdhsa_kernarg_size 72
		.amdhsa_user_sgpr_count 2
		.amdhsa_user_sgpr_dispatch_ptr 0
		.amdhsa_user_sgpr_queue_ptr 0
		.amdhsa_user_sgpr_kernarg_segment_ptr 1
		.amdhsa_user_sgpr_dispatch_id 0
		.amdhsa_user_sgpr_kernarg_preload_length 0
		.amdhsa_user_sgpr_kernarg_preload_offset 0
		.amdhsa_user_sgpr_private_segment_size 0
		.amdhsa_uses_dynamic_stack 0
		.amdhsa_enable_private_segment 0
		.amdhsa_system_sgpr_workgroup_id_x 1
		.amdhsa_system_sgpr_workgroup_id_y 0
		.amdhsa_system_sgpr_workgroup_id_z 0
		.amdhsa_system_sgpr_workgroup_info 0
		.amdhsa_system_vgpr_workitem_id 0
		.amdhsa_next_free_vgpr 1
		.amdhsa_next_free_sgpr 0
		.amdhsa_accum_offset 4
		.amdhsa_reserve_vcc 0
		.amdhsa_float_round_mode_32 0
		.amdhsa_float_round_mode_16_64 0
		.amdhsa_float_denorm_mode_32 3
		.amdhsa_float_denorm_mode_16_64 3
		.amdhsa_dx10_clamp 1
		.amdhsa_ieee_mode 1
		.amdhsa_fp16_overflow 0
		.amdhsa_tg_split 0
		.amdhsa_exception_fp_ieee_invalid_op 0
		.amdhsa_exception_fp_denorm_src 0
		.amdhsa_exception_fp_ieee_div_zero 0
		.amdhsa_exception_fp_ieee_overflow 0
		.amdhsa_exception_fp_ieee_underflow 0
		.amdhsa_exception_fp_ieee_inexact 0
		.amdhsa_exception_int_div_zero 0
	.end_amdhsa_kernel
	.section	.text._ZN7rocprim17ROCPRIM_400000_NS6detail17trampoline_kernelINS0_14default_configENS1_22reduce_config_selectorIbEEZNS1_11reduce_implILb1ES3_N6hipcub16HIPCUB_304000_NS22TransformInputIteratorIb7NonZeroIfEPflEEPllNS8_6detail34convert_binary_result_type_wrapperINS8_3SumESD_lEEEE10hipError_tPvRmT1_T2_T3_mT4_P12ihipStream_tbEUlT_E0_NS1_11comp_targetILNS1_3genE4ELNS1_11target_archE910ELNS1_3gpuE8ELNS1_3repE0EEENS1_30default_config_static_selectorELNS0_4arch9wavefront6targetE1EEEvSM_,"axG",@progbits,_ZN7rocprim17ROCPRIM_400000_NS6detail17trampoline_kernelINS0_14default_configENS1_22reduce_config_selectorIbEEZNS1_11reduce_implILb1ES3_N6hipcub16HIPCUB_304000_NS22TransformInputIteratorIb7NonZeroIfEPflEEPllNS8_6detail34convert_binary_result_type_wrapperINS8_3SumESD_lEEEE10hipError_tPvRmT1_T2_T3_mT4_P12ihipStream_tbEUlT_E0_NS1_11comp_targetILNS1_3genE4ELNS1_11target_archE910ELNS1_3gpuE8ELNS1_3repE0EEENS1_30default_config_static_selectorELNS0_4arch9wavefront6targetE1EEEvSM_,comdat
.Lfunc_end237:
	.size	_ZN7rocprim17ROCPRIM_400000_NS6detail17trampoline_kernelINS0_14default_configENS1_22reduce_config_selectorIbEEZNS1_11reduce_implILb1ES3_N6hipcub16HIPCUB_304000_NS22TransformInputIteratorIb7NonZeroIfEPflEEPllNS8_6detail34convert_binary_result_type_wrapperINS8_3SumESD_lEEEE10hipError_tPvRmT1_T2_T3_mT4_P12ihipStream_tbEUlT_E0_NS1_11comp_targetILNS1_3genE4ELNS1_11target_archE910ELNS1_3gpuE8ELNS1_3repE0EEENS1_30default_config_static_selectorELNS0_4arch9wavefront6targetE1EEEvSM_, .Lfunc_end237-_ZN7rocprim17ROCPRIM_400000_NS6detail17trampoline_kernelINS0_14default_configENS1_22reduce_config_selectorIbEEZNS1_11reduce_implILb1ES3_N6hipcub16HIPCUB_304000_NS22TransformInputIteratorIb7NonZeroIfEPflEEPllNS8_6detail34convert_binary_result_type_wrapperINS8_3SumESD_lEEEE10hipError_tPvRmT1_T2_T3_mT4_P12ihipStream_tbEUlT_E0_NS1_11comp_targetILNS1_3genE4ELNS1_11target_archE910ELNS1_3gpuE8ELNS1_3repE0EEENS1_30default_config_static_selectorELNS0_4arch9wavefront6targetE1EEEvSM_
                                        ; -- End function
	.set _ZN7rocprim17ROCPRIM_400000_NS6detail17trampoline_kernelINS0_14default_configENS1_22reduce_config_selectorIbEEZNS1_11reduce_implILb1ES3_N6hipcub16HIPCUB_304000_NS22TransformInputIteratorIb7NonZeroIfEPflEEPllNS8_6detail34convert_binary_result_type_wrapperINS8_3SumESD_lEEEE10hipError_tPvRmT1_T2_T3_mT4_P12ihipStream_tbEUlT_E0_NS1_11comp_targetILNS1_3genE4ELNS1_11target_archE910ELNS1_3gpuE8ELNS1_3repE0EEENS1_30default_config_static_selectorELNS0_4arch9wavefront6targetE1EEEvSM_.num_vgpr, 0
	.set _ZN7rocprim17ROCPRIM_400000_NS6detail17trampoline_kernelINS0_14default_configENS1_22reduce_config_selectorIbEEZNS1_11reduce_implILb1ES3_N6hipcub16HIPCUB_304000_NS22TransformInputIteratorIb7NonZeroIfEPflEEPllNS8_6detail34convert_binary_result_type_wrapperINS8_3SumESD_lEEEE10hipError_tPvRmT1_T2_T3_mT4_P12ihipStream_tbEUlT_E0_NS1_11comp_targetILNS1_3genE4ELNS1_11target_archE910ELNS1_3gpuE8ELNS1_3repE0EEENS1_30default_config_static_selectorELNS0_4arch9wavefront6targetE1EEEvSM_.num_agpr, 0
	.set _ZN7rocprim17ROCPRIM_400000_NS6detail17trampoline_kernelINS0_14default_configENS1_22reduce_config_selectorIbEEZNS1_11reduce_implILb1ES3_N6hipcub16HIPCUB_304000_NS22TransformInputIteratorIb7NonZeroIfEPflEEPllNS8_6detail34convert_binary_result_type_wrapperINS8_3SumESD_lEEEE10hipError_tPvRmT1_T2_T3_mT4_P12ihipStream_tbEUlT_E0_NS1_11comp_targetILNS1_3genE4ELNS1_11target_archE910ELNS1_3gpuE8ELNS1_3repE0EEENS1_30default_config_static_selectorELNS0_4arch9wavefront6targetE1EEEvSM_.numbered_sgpr, 0
	.set _ZN7rocprim17ROCPRIM_400000_NS6detail17trampoline_kernelINS0_14default_configENS1_22reduce_config_selectorIbEEZNS1_11reduce_implILb1ES3_N6hipcub16HIPCUB_304000_NS22TransformInputIteratorIb7NonZeroIfEPflEEPllNS8_6detail34convert_binary_result_type_wrapperINS8_3SumESD_lEEEE10hipError_tPvRmT1_T2_T3_mT4_P12ihipStream_tbEUlT_E0_NS1_11comp_targetILNS1_3genE4ELNS1_11target_archE910ELNS1_3gpuE8ELNS1_3repE0EEENS1_30default_config_static_selectorELNS0_4arch9wavefront6targetE1EEEvSM_.num_named_barrier, 0
	.set _ZN7rocprim17ROCPRIM_400000_NS6detail17trampoline_kernelINS0_14default_configENS1_22reduce_config_selectorIbEEZNS1_11reduce_implILb1ES3_N6hipcub16HIPCUB_304000_NS22TransformInputIteratorIb7NonZeroIfEPflEEPllNS8_6detail34convert_binary_result_type_wrapperINS8_3SumESD_lEEEE10hipError_tPvRmT1_T2_T3_mT4_P12ihipStream_tbEUlT_E0_NS1_11comp_targetILNS1_3genE4ELNS1_11target_archE910ELNS1_3gpuE8ELNS1_3repE0EEENS1_30default_config_static_selectorELNS0_4arch9wavefront6targetE1EEEvSM_.private_seg_size, 0
	.set _ZN7rocprim17ROCPRIM_400000_NS6detail17trampoline_kernelINS0_14default_configENS1_22reduce_config_selectorIbEEZNS1_11reduce_implILb1ES3_N6hipcub16HIPCUB_304000_NS22TransformInputIteratorIb7NonZeroIfEPflEEPllNS8_6detail34convert_binary_result_type_wrapperINS8_3SumESD_lEEEE10hipError_tPvRmT1_T2_T3_mT4_P12ihipStream_tbEUlT_E0_NS1_11comp_targetILNS1_3genE4ELNS1_11target_archE910ELNS1_3gpuE8ELNS1_3repE0EEENS1_30default_config_static_selectorELNS0_4arch9wavefront6targetE1EEEvSM_.uses_vcc, 0
	.set _ZN7rocprim17ROCPRIM_400000_NS6detail17trampoline_kernelINS0_14default_configENS1_22reduce_config_selectorIbEEZNS1_11reduce_implILb1ES3_N6hipcub16HIPCUB_304000_NS22TransformInputIteratorIb7NonZeroIfEPflEEPllNS8_6detail34convert_binary_result_type_wrapperINS8_3SumESD_lEEEE10hipError_tPvRmT1_T2_T3_mT4_P12ihipStream_tbEUlT_E0_NS1_11comp_targetILNS1_3genE4ELNS1_11target_archE910ELNS1_3gpuE8ELNS1_3repE0EEENS1_30default_config_static_selectorELNS0_4arch9wavefront6targetE1EEEvSM_.uses_flat_scratch, 0
	.set _ZN7rocprim17ROCPRIM_400000_NS6detail17trampoline_kernelINS0_14default_configENS1_22reduce_config_selectorIbEEZNS1_11reduce_implILb1ES3_N6hipcub16HIPCUB_304000_NS22TransformInputIteratorIb7NonZeroIfEPflEEPllNS8_6detail34convert_binary_result_type_wrapperINS8_3SumESD_lEEEE10hipError_tPvRmT1_T2_T3_mT4_P12ihipStream_tbEUlT_E0_NS1_11comp_targetILNS1_3genE4ELNS1_11target_archE910ELNS1_3gpuE8ELNS1_3repE0EEENS1_30default_config_static_selectorELNS0_4arch9wavefront6targetE1EEEvSM_.has_dyn_sized_stack, 0
	.set _ZN7rocprim17ROCPRIM_400000_NS6detail17trampoline_kernelINS0_14default_configENS1_22reduce_config_selectorIbEEZNS1_11reduce_implILb1ES3_N6hipcub16HIPCUB_304000_NS22TransformInputIteratorIb7NonZeroIfEPflEEPllNS8_6detail34convert_binary_result_type_wrapperINS8_3SumESD_lEEEE10hipError_tPvRmT1_T2_T3_mT4_P12ihipStream_tbEUlT_E0_NS1_11comp_targetILNS1_3genE4ELNS1_11target_archE910ELNS1_3gpuE8ELNS1_3repE0EEENS1_30default_config_static_selectorELNS0_4arch9wavefront6targetE1EEEvSM_.has_recursion, 0
	.set _ZN7rocprim17ROCPRIM_400000_NS6detail17trampoline_kernelINS0_14default_configENS1_22reduce_config_selectorIbEEZNS1_11reduce_implILb1ES3_N6hipcub16HIPCUB_304000_NS22TransformInputIteratorIb7NonZeroIfEPflEEPllNS8_6detail34convert_binary_result_type_wrapperINS8_3SumESD_lEEEE10hipError_tPvRmT1_T2_T3_mT4_P12ihipStream_tbEUlT_E0_NS1_11comp_targetILNS1_3genE4ELNS1_11target_archE910ELNS1_3gpuE8ELNS1_3repE0EEENS1_30default_config_static_selectorELNS0_4arch9wavefront6targetE1EEEvSM_.has_indirect_call, 0
	.section	.AMDGPU.csdata,"",@progbits
; Kernel info:
; codeLenInByte = 0
; TotalNumSgprs: 6
; NumVgprs: 0
; NumAgprs: 0
; TotalNumVgprs: 0
; ScratchSize: 0
; MemoryBound: 0
; FloatMode: 240
; IeeeMode: 1
; LDSByteSize: 0 bytes/workgroup (compile time only)
; SGPRBlocks: 0
; VGPRBlocks: 0
; NumSGPRsForWavesPerEU: 6
; NumVGPRsForWavesPerEU: 1
; AccumOffset: 4
; Occupancy: 8
; WaveLimiterHint : 0
; COMPUTE_PGM_RSRC2:SCRATCH_EN: 0
; COMPUTE_PGM_RSRC2:USER_SGPR: 2
; COMPUTE_PGM_RSRC2:TRAP_HANDLER: 0
; COMPUTE_PGM_RSRC2:TGID_X_EN: 1
; COMPUTE_PGM_RSRC2:TGID_Y_EN: 0
; COMPUTE_PGM_RSRC2:TGID_Z_EN: 0
; COMPUTE_PGM_RSRC2:TIDIG_COMP_CNT: 0
; COMPUTE_PGM_RSRC3_GFX90A:ACCUM_OFFSET: 0
; COMPUTE_PGM_RSRC3_GFX90A:TG_SPLIT: 0
	.section	.text._ZN7rocprim17ROCPRIM_400000_NS6detail17trampoline_kernelINS0_14default_configENS1_22reduce_config_selectorIbEEZNS1_11reduce_implILb1ES3_N6hipcub16HIPCUB_304000_NS22TransformInputIteratorIb7NonZeroIfEPflEEPllNS8_6detail34convert_binary_result_type_wrapperINS8_3SumESD_lEEEE10hipError_tPvRmT1_T2_T3_mT4_P12ihipStream_tbEUlT_E0_NS1_11comp_targetILNS1_3genE3ELNS1_11target_archE908ELNS1_3gpuE7ELNS1_3repE0EEENS1_30default_config_static_selectorELNS0_4arch9wavefront6targetE1EEEvSM_,"axG",@progbits,_ZN7rocprim17ROCPRIM_400000_NS6detail17trampoline_kernelINS0_14default_configENS1_22reduce_config_selectorIbEEZNS1_11reduce_implILb1ES3_N6hipcub16HIPCUB_304000_NS22TransformInputIteratorIb7NonZeroIfEPflEEPllNS8_6detail34convert_binary_result_type_wrapperINS8_3SumESD_lEEEE10hipError_tPvRmT1_T2_T3_mT4_P12ihipStream_tbEUlT_E0_NS1_11comp_targetILNS1_3genE3ELNS1_11target_archE908ELNS1_3gpuE7ELNS1_3repE0EEENS1_30default_config_static_selectorELNS0_4arch9wavefront6targetE1EEEvSM_,comdat
	.protected	_ZN7rocprim17ROCPRIM_400000_NS6detail17trampoline_kernelINS0_14default_configENS1_22reduce_config_selectorIbEEZNS1_11reduce_implILb1ES3_N6hipcub16HIPCUB_304000_NS22TransformInputIteratorIb7NonZeroIfEPflEEPllNS8_6detail34convert_binary_result_type_wrapperINS8_3SumESD_lEEEE10hipError_tPvRmT1_T2_T3_mT4_P12ihipStream_tbEUlT_E0_NS1_11comp_targetILNS1_3genE3ELNS1_11target_archE908ELNS1_3gpuE7ELNS1_3repE0EEENS1_30default_config_static_selectorELNS0_4arch9wavefront6targetE1EEEvSM_ ; -- Begin function _ZN7rocprim17ROCPRIM_400000_NS6detail17trampoline_kernelINS0_14default_configENS1_22reduce_config_selectorIbEEZNS1_11reduce_implILb1ES3_N6hipcub16HIPCUB_304000_NS22TransformInputIteratorIb7NonZeroIfEPflEEPllNS8_6detail34convert_binary_result_type_wrapperINS8_3SumESD_lEEEE10hipError_tPvRmT1_T2_T3_mT4_P12ihipStream_tbEUlT_E0_NS1_11comp_targetILNS1_3genE3ELNS1_11target_archE908ELNS1_3gpuE7ELNS1_3repE0EEENS1_30default_config_static_selectorELNS0_4arch9wavefront6targetE1EEEvSM_
	.globl	_ZN7rocprim17ROCPRIM_400000_NS6detail17trampoline_kernelINS0_14default_configENS1_22reduce_config_selectorIbEEZNS1_11reduce_implILb1ES3_N6hipcub16HIPCUB_304000_NS22TransformInputIteratorIb7NonZeroIfEPflEEPllNS8_6detail34convert_binary_result_type_wrapperINS8_3SumESD_lEEEE10hipError_tPvRmT1_T2_T3_mT4_P12ihipStream_tbEUlT_E0_NS1_11comp_targetILNS1_3genE3ELNS1_11target_archE908ELNS1_3gpuE7ELNS1_3repE0EEENS1_30default_config_static_selectorELNS0_4arch9wavefront6targetE1EEEvSM_
	.p2align	8
	.type	_ZN7rocprim17ROCPRIM_400000_NS6detail17trampoline_kernelINS0_14default_configENS1_22reduce_config_selectorIbEEZNS1_11reduce_implILb1ES3_N6hipcub16HIPCUB_304000_NS22TransformInputIteratorIb7NonZeroIfEPflEEPllNS8_6detail34convert_binary_result_type_wrapperINS8_3SumESD_lEEEE10hipError_tPvRmT1_T2_T3_mT4_P12ihipStream_tbEUlT_E0_NS1_11comp_targetILNS1_3genE3ELNS1_11target_archE908ELNS1_3gpuE7ELNS1_3repE0EEENS1_30default_config_static_selectorELNS0_4arch9wavefront6targetE1EEEvSM_,@function
_ZN7rocprim17ROCPRIM_400000_NS6detail17trampoline_kernelINS0_14default_configENS1_22reduce_config_selectorIbEEZNS1_11reduce_implILb1ES3_N6hipcub16HIPCUB_304000_NS22TransformInputIteratorIb7NonZeroIfEPflEEPllNS8_6detail34convert_binary_result_type_wrapperINS8_3SumESD_lEEEE10hipError_tPvRmT1_T2_T3_mT4_P12ihipStream_tbEUlT_E0_NS1_11comp_targetILNS1_3genE3ELNS1_11target_archE908ELNS1_3gpuE7ELNS1_3repE0EEENS1_30default_config_static_selectorELNS0_4arch9wavefront6targetE1EEEvSM_: ; @_ZN7rocprim17ROCPRIM_400000_NS6detail17trampoline_kernelINS0_14default_configENS1_22reduce_config_selectorIbEEZNS1_11reduce_implILb1ES3_N6hipcub16HIPCUB_304000_NS22TransformInputIteratorIb7NonZeroIfEPflEEPllNS8_6detail34convert_binary_result_type_wrapperINS8_3SumESD_lEEEE10hipError_tPvRmT1_T2_T3_mT4_P12ihipStream_tbEUlT_E0_NS1_11comp_targetILNS1_3genE3ELNS1_11target_archE908ELNS1_3gpuE7ELNS1_3repE0EEENS1_30default_config_static_selectorELNS0_4arch9wavefront6targetE1EEEvSM_
; %bb.0:
	.section	.rodata,"a",@progbits
	.p2align	6, 0x0
	.amdhsa_kernel _ZN7rocprim17ROCPRIM_400000_NS6detail17trampoline_kernelINS0_14default_configENS1_22reduce_config_selectorIbEEZNS1_11reduce_implILb1ES3_N6hipcub16HIPCUB_304000_NS22TransformInputIteratorIb7NonZeroIfEPflEEPllNS8_6detail34convert_binary_result_type_wrapperINS8_3SumESD_lEEEE10hipError_tPvRmT1_T2_T3_mT4_P12ihipStream_tbEUlT_E0_NS1_11comp_targetILNS1_3genE3ELNS1_11target_archE908ELNS1_3gpuE7ELNS1_3repE0EEENS1_30default_config_static_selectorELNS0_4arch9wavefront6targetE1EEEvSM_
		.amdhsa_group_segment_fixed_size 0
		.amdhsa_private_segment_fixed_size 0
		.amdhsa_kernarg_size 72
		.amdhsa_user_sgpr_count 2
		.amdhsa_user_sgpr_dispatch_ptr 0
		.amdhsa_user_sgpr_queue_ptr 0
		.amdhsa_user_sgpr_kernarg_segment_ptr 1
		.amdhsa_user_sgpr_dispatch_id 0
		.amdhsa_user_sgpr_kernarg_preload_length 0
		.amdhsa_user_sgpr_kernarg_preload_offset 0
		.amdhsa_user_sgpr_private_segment_size 0
		.amdhsa_uses_dynamic_stack 0
		.amdhsa_enable_private_segment 0
		.amdhsa_system_sgpr_workgroup_id_x 1
		.amdhsa_system_sgpr_workgroup_id_y 0
		.amdhsa_system_sgpr_workgroup_id_z 0
		.amdhsa_system_sgpr_workgroup_info 0
		.amdhsa_system_vgpr_workitem_id 0
		.amdhsa_next_free_vgpr 1
		.amdhsa_next_free_sgpr 0
		.amdhsa_accum_offset 4
		.amdhsa_reserve_vcc 0
		.amdhsa_float_round_mode_32 0
		.amdhsa_float_round_mode_16_64 0
		.amdhsa_float_denorm_mode_32 3
		.amdhsa_float_denorm_mode_16_64 3
		.amdhsa_dx10_clamp 1
		.amdhsa_ieee_mode 1
		.amdhsa_fp16_overflow 0
		.amdhsa_tg_split 0
		.amdhsa_exception_fp_ieee_invalid_op 0
		.amdhsa_exception_fp_denorm_src 0
		.amdhsa_exception_fp_ieee_div_zero 0
		.amdhsa_exception_fp_ieee_overflow 0
		.amdhsa_exception_fp_ieee_underflow 0
		.amdhsa_exception_fp_ieee_inexact 0
		.amdhsa_exception_int_div_zero 0
	.end_amdhsa_kernel
	.section	.text._ZN7rocprim17ROCPRIM_400000_NS6detail17trampoline_kernelINS0_14default_configENS1_22reduce_config_selectorIbEEZNS1_11reduce_implILb1ES3_N6hipcub16HIPCUB_304000_NS22TransformInputIteratorIb7NonZeroIfEPflEEPllNS8_6detail34convert_binary_result_type_wrapperINS8_3SumESD_lEEEE10hipError_tPvRmT1_T2_T3_mT4_P12ihipStream_tbEUlT_E0_NS1_11comp_targetILNS1_3genE3ELNS1_11target_archE908ELNS1_3gpuE7ELNS1_3repE0EEENS1_30default_config_static_selectorELNS0_4arch9wavefront6targetE1EEEvSM_,"axG",@progbits,_ZN7rocprim17ROCPRIM_400000_NS6detail17trampoline_kernelINS0_14default_configENS1_22reduce_config_selectorIbEEZNS1_11reduce_implILb1ES3_N6hipcub16HIPCUB_304000_NS22TransformInputIteratorIb7NonZeroIfEPflEEPllNS8_6detail34convert_binary_result_type_wrapperINS8_3SumESD_lEEEE10hipError_tPvRmT1_T2_T3_mT4_P12ihipStream_tbEUlT_E0_NS1_11comp_targetILNS1_3genE3ELNS1_11target_archE908ELNS1_3gpuE7ELNS1_3repE0EEENS1_30default_config_static_selectorELNS0_4arch9wavefront6targetE1EEEvSM_,comdat
.Lfunc_end238:
	.size	_ZN7rocprim17ROCPRIM_400000_NS6detail17trampoline_kernelINS0_14default_configENS1_22reduce_config_selectorIbEEZNS1_11reduce_implILb1ES3_N6hipcub16HIPCUB_304000_NS22TransformInputIteratorIb7NonZeroIfEPflEEPllNS8_6detail34convert_binary_result_type_wrapperINS8_3SumESD_lEEEE10hipError_tPvRmT1_T2_T3_mT4_P12ihipStream_tbEUlT_E0_NS1_11comp_targetILNS1_3genE3ELNS1_11target_archE908ELNS1_3gpuE7ELNS1_3repE0EEENS1_30default_config_static_selectorELNS0_4arch9wavefront6targetE1EEEvSM_, .Lfunc_end238-_ZN7rocprim17ROCPRIM_400000_NS6detail17trampoline_kernelINS0_14default_configENS1_22reduce_config_selectorIbEEZNS1_11reduce_implILb1ES3_N6hipcub16HIPCUB_304000_NS22TransformInputIteratorIb7NonZeroIfEPflEEPllNS8_6detail34convert_binary_result_type_wrapperINS8_3SumESD_lEEEE10hipError_tPvRmT1_T2_T3_mT4_P12ihipStream_tbEUlT_E0_NS1_11comp_targetILNS1_3genE3ELNS1_11target_archE908ELNS1_3gpuE7ELNS1_3repE0EEENS1_30default_config_static_selectorELNS0_4arch9wavefront6targetE1EEEvSM_
                                        ; -- End function
	.set _ZN7rocprim17ROCPRIM_400000_NS6detail17trampoline_kernelINS0_14default_configENS1_22reduce_config_selectorIbEEZNS1_11reduce_implILb1ES3_N6hipcub16HIPCUB_304000_NS22TransformInputIteratorIb7NonZeroIfEPflEEPllNS8_6detail34convert_binary_result_type_wrapperINS8_3SumESD_lEEEE10hipError_tPvRmT1_T2_T3_mT4_P12ihipStream_tbEUlT_E0_NS1_11comp_targetILNS1_3genE3ELNS1_11target_archE908ELNS1_3gpuE7ELNS1_3repE0EEENS1_30default_config_static_selectorELNS0_4arch9wavefront6targetE1EEEvSM_.num_vgpr, 0
	.set _ZN7rocprim17ROCPRIM_400000_NS6detail17trampoline_kernelINS0_14default_configENS1_22reduce_config_selectorIbEEZNS1_11reduce_implILb1ES3_N6hipcub16HIPCUB_304000_NS22TransformInputIteratorIb7NonZeroIfEPflEEPllNS8_6detail34convert_binary_result_type_wrapperINS8_3SumESD_lEEEE10hipError_tPvRmT1_T2_T3_mT4_P12ihipStream_tbEUlT_E0_NS1_11comp_targetILNS1_3genE3ELNS1_11target_archE908ELNS1_3gpuE7ELNS1_3repE0EEENS1_30default_config_static_selectorELNS0_4arch9wavefront6targetE1EEEvSM_.num_agpr, 0
	.set _ZN7rocprim17ROCPRIM_400000_NS6detail17trampoline_kernelINS0_14default_configENS1_22reduce_config_selectorIbEEZNS1_11reduce_implILb1ES3_N6hipcub16HIPCUB_304000_NS22TransformInputIteratorIb7NonZeroIfEPflEEPllNS8_6detail34convert_binary_result_type_wrapperINS8_3SumESD_lEEEE10hipError_tPvRmT1_T2_T3_mT4_P12ihipStream_tbEUlT_E0_NS1_11comp_targetILNS1_3genE3ELNS1_11target_archE908ELNS1_3gpuE7ELNS1_3repE0EEENS1_30default_config_static_selectorELNS0_4arch9wavefront6targetE1EEEvSM_.numbered_sgpr, 0
	.set _ZN7rocprim17ROCPRIM_400000_NS6detail17trampoline_kernelINS0_14default_configENS1_22reduce_config_selectorIbEEZNS1_11reduce_implILb1ES3_N6hipcub16HIPCUB_304000_NS22TransformInputIteratorIb7NonZeroIfEPflEEPllNS8_6detail34convert_binary_result_type_wrapperINS8_3SumESD_lEEEE10hipError_tPvRmT1_T2_T3_mT4_P12ihipStream_tbEUlT_E0_NS1_11comp_targetILNS1_3genE3ELNS1_11target_archE908ELNS1_3gpuE7ELNS1_3repE0EEENS1_30default_config_static_selectorELNS0_4arch9wavefront6targetE1EEEvSM_.num_named_barrier, 0
	.set _ZN7rocprim17ROCPRIM_400000_NS6detail17trampoline_kernelINS0_14default_configENS1_22reduce_config_selectorIbEEZNS1_11reduce_implILb1ES3_N6hipcub16HIPCUB_304000_NS22TransformInputIteratorIb7NonZeroIfEPflEEPllNS8_6detail34convert_binary_result_type_wrapperINS8_3SumESD_lEEEE10hipError_tPvRmT1_T2_T3_mT4_P12ihipStream_tbEUlT_E0_NS1_11comp_targetILNS1_3genE3ELNS1_11target_archE908ELNS1_3gpuE7ELNS1_3repE0EEENS1_30default_config_static_selectorELNS0_4arch9wavefront6targetE1EEEvSM_.private_seg_size, 0
	.set _ZN7rocprim17ROCPRIM_400000_NS6detail17trampoline_kernelINS0_14default_configENS1_22reduce_config_selectorIbEEZNS1_11reduce_implILb1ES3_N6hipcub16HIPCUB_304000_NS22TransformInputIteratorIb7NonZeroIfEPflEEPllNS8_6detail34convert_binary_result_type_wrapperINS8_3SumESD_lEEEE10hipError_tPvRmT1_T2_T3_mT4_P12ihipStream_tbEUlT_E0_NS1_11comp_targetILNS1_3genE3ELNS1_11target_archE908ELNS1_3gpuE7ELNS1_3repE0EEENS1_30default_config_static_selectorELNS0_4arch9wavefront6targetE1EEEvSM_.uses_vcc, 0
	.set _ZN7rocprim17ROCPRIM_400000_NS6detail17trampoline_kernelINS0_14default_configENS1_22reduce_config_selectorIbEEZNS1_11reduce_implILb1ES3_N6hipcub16HIPCUB_304000_NS22TransformInputIteratorIb7NonZeroIfEPflEEPllNS8_6detail34convert_binary_result_type_wrapperINS8_3SumESD_lEEEE10hipError_tPvRmT1_T2_T3_mT4_P12ihipStream_tbEUlT_E0_NS1_11comp_targetILNS1_3genE3ELNS1_11target_archE908ELNS1_3gpuE7ELNS1_3repE0EEENS1_30default_config_static_selectorELNS0_4arch9wavefront6targetE1EEEvSM_.uses_flat_scratch, 0
	.set _ZN7rocprim17ROCPRIM_400000_NS6detail17trampoline_kernelINS0_14default_configENS1_22reduce_config_selectorIbEEZNS1_11reduce_implILb1ES3_N6hipcub16HIPCUB_304000_NS22TransformInputIteratorIb7NonZeroIfEPflEEPllNS8_6detail34convert_binary_result_type_wrapperINS8_3SumESD_lEEEE10hipError_tPvRmT1_T2_T3_mT4_P12ihipStream_tbEUlT_E0_NS1_11comp_targetILNS1_3genE3ELNS1_11target_archE908ELNS1_3gpuE7ELNS1_3repE0EEENS1_30default_config_static_selectorELNS0_4arch9wavefront6targetE1EEEvSM_.has_dyn_sized_stack, 0
	.set _ZN7rocprim17ROCPRIM_400000_NS6detail17trampoline_kernelINS0_14default_configENS1_22reduce_config_selectorIbEEZNS1_11reduce_implILb1ES3_N6hipcub16HIPCUB_304000_NS22TransformInputIteratorIb7NonZeroIfEPflEEPllNS8_6detail34convert_binary_result_type_wrapperINS8_3SumESD_lEEEE10hipError_tPvRmT1_T2_T3_mT4_P12ihipStream_tbEUlT_E0_NS1_11comp_targetILNS1_3genE3ELNS1_11target_archE908ELNS1_3gpuE7ELNS1_3repE0EEENS1_30default_config_static_selectorELNS0_4arch9wavefront6targetE1EEEvSM_.has_recursion, 0
	.set _ZN7rocprim17ROCPRIM_400000_NS6detail17trampoline_kernelINS0_14default_configENS1_22reduce_config_selectorIbEEZNS1_11reduce_implILb1ES3_N6hipcub16HIPCUB_304000_NS22TransformInputIteratorIb7NonZeroIfEPflEEPllNS8_6detail34convert_binary_result_type_wrapperINS8_3SumESD_lEEEE10hipError_tPvRmT1_T2_T3_mT4_P12ihipStream_tbEUlT_E0_NS1_11comp_targetILNS1_3genE3ELNS1_11target_archE908ELNS1_3gpuE7ELNS1_3repE0EEENS1_30default_config_static_selectorELNS0_4arch9wavefront6targetE1EEEvSM_.has_indirect_call, 0
	.section	.AMDGPU.csdata,"",@progbits
; Kernel info:
; codeLenInByte = 0
; TotalNumSgprs: 6
; NumVgprs: 0
; NumAgprs: 0
; TotalNumVgprs: 0
; ScratchSize: 0
; MemoryBound: 0
; FloatMode: 240
; IeeeMode: 1
; LDSByteSize: 0 bytes/workgroup (compile time only)
; SGPRBlocks: 0
; VGPRBlocks: 0
; NumSGPRsForWavesPerEU: 6
; NumVGPRsForWavesPerEU: 1
; AccumOffset: 4
; Occupancy: 8
; WaveLimiterHint : 0
; COMPUTE_PGM_RSRC2:SCRATCH_EN: 0
; COMPUTE_PGM_RSRC2:USER_SGPR: 2
; COMPUTE_PGM_RSRC2:TRAP_HANDLER: 0
; COMPUTE_PGM_RSRC2:TGID_X_EN: 1
; COMPUTE_PGM_RSRC2:TGID_Y_EN: 0
; COMPUTE_PGM_RSRC2:TGID_Z_EN: 0
; COMPUTE_PGM_RSRC2:TIDIG_COMP_CNT: 0
; COMPUTE_PGM_RSRC3_GFX90A:ACCUM_OFFSET: 0
; COMPUTE_PGM_RSRC3_GFX90A:TG_SPLIT: 0
	.section	.text._ZN7rocprim17ROCPRIM_400000_NS6detail17trampoline_kernelINS0_14default_configENS1_22reduce_config_selectorIbEEZNS1_11reduce_implILb1ES3_N6hipcub16HIPCUB_304000_NS22TransformInputIteratorIb7NonZeroIfEPflEEPllNS8_6detail34convert_binary_result_type_wrapperINS8_3SumESD_lEEEE10hipError_tPvRmT1_T2_T3_mT4_P12ihipStream_tbEUlT_E0_NS1_11comp_targetILNS1_3genE2ELNS1_11target_archE906ELNS1_3gpuE6ELNS1_3repE0EEENS1_30default_config_static_selectorELNS0_4arch9wavefront6targetE1EEEvSM_,"axG",@progbits,_ZN7rocprim17ROCPRIM_400000_NS6detail17trampoline_kernelINS0_14default_configENS1_22reduce_config_selectorIbEEZNS1_11reduce_implILb1ES3_N6hipcub16HIPCUB_304000_NS22TransformInputIteratorIb7NonZeroIfEPflEEPllNS8_6detail34convert_binary_result_type_wrapperINS8_3SumESD_lEEEE10hipError_tPvRmT1_T2_T3_mT4_P12ihipStream_tbEUlT_E0_NS1_11comp_targetILNS1_3genE2ELNS1_11target_archE906ELNS1_3gpuE6ELNS1_3repE0EEENS1_30default_config_static_selectorELNS0_4arch9wavefront6targetE1EEEvSM_,comdat
	.protected	_ZN7rocprim17ROCPRIM_400000_NS6detail17trampoline_kernelINS0_14default_configENS1_22reduce_config_selectorIbEEZNS1_11reduce_implILb1ES3_N6hipcub16HIPCUB_304000_NS22TransformInputIteratorIb7NonZeroIfEPflEEPllNS8_6detail34convert_binary_result_type_wrapperINS8_3SumESD_lEEEE10hipError_tPvRmT1_T2_T3_mT4_P12ihipStream_tbEUlT_E0_NS1_11comp_targetILNS1_3genE2ELNS1_11target_archE906ELNS1_3gpuE6ELNS1_3repE0EEENS1_30default_config_static_selectorELNS0_4arch9wavefront6targetE1EEEvSM_ ; -- Begin function _ZN7rocprim17ROCPRIM_400000_NS6detail17trampoline_kernelINS0_14default_configENS1_22reduce_config_selectorIbEEZNS1_11reduce_implILb1ES3_N6hipcub16HIPCUB_304000_NS22TransformInputIteratorIb7NonZeroIfEPflEEPllNS8_6detail34convert_binary_result_type_wrapperINS8_3SumESD_lEEEE10hipError_tPvRmT1_T2_T3_mT4_P12ihipStream_tbEUlT_E0_NS1_11comp_targetILNS1_3genE2ELNS1_11target_archE906ELNS1_3gpuE6ELNS1_3repE0EEENS1_30default_config_static_selectorELNS0_4arch9wavefront6targetE1EEEvSM_
	.globl	_ZN7rocprim17ROCPRIM_400000_NS6detail17trampoline_kernelINS0_14default_configENS1_22reduce_config_selectorIbEEZNS1_11reduce_implILb1ES3_N6hipcub16HIPCUB_304000_NS22TransformInputIteratorIb7NonZeroIfEPflEEPllNS8_6detail34convert_binary_result_type_wrapperINS8_3SumESD_lEEEE10hipError_tPvRmT1_T2_T3_mT4_P12ihipStream_tbEUlT_E0_NS1_11comp_targetILNS1_3genE2ELNS1_11target_archE906ELNS1_3gpuE6ELNS1_3repE0EEENS1_30default_config_static_selectorELNS0_4arch9wavefront6targetE1EEEvSM_
	.p2align	8
	.type	_ZN7rocprim17ROCPRIM_400000_NS6detail17trampoline_kernelINS0_14default_configENS1_22reduce_config_selectorIbEEZNS1_11reduce_implILb1ES3_N6hipcub16HIPCUB_304000_NS22TransformInputIteratorIb7NonZeroIfEPflEEPllNS8_6detail34convert_binary_result_type_wrapperINS8_3SumESD_lEEEE10hipError_tPvRmT1_T2_T3_mT4_P12ihipStream_tbEUlT_E0_NS1_11comp_targetILNS1_3genE2ELNS1_11target_archE906ELNS1_3gpuE6ELNS1_3repE0EEENS1_30default_config_static_selectorELNS0_4arch9wavefront6targetE1EEEvSM_,@function
_ZN7rocprim17ROCPRIM_400000_NS6detail17trampoline_kernelINS0_14default_configENS1_22reduce_config_selectorIbEEZNS1_11reduce_implILb1ES3_N6hipcub16HIPCUB_304000_NS22TransformInputIteratorIb7NonZeroIfEPflEEPllNS8_6detail34convert_binary_result_type_wrapperINS8_3SumESD_lEEEE10hipError_tPvRmT1_T2_T3_mT4_P12ihipStream_tbEUlT_E0_NS1_11comp_targetILNS1_3genE2ELNS1_11target_archE906ELNS1_3gpuE6ELNS1_3repE0EEENS1_30default_config_static_selectorELNS0_4arch9wavefront6targetE1EEEvSM_: ; @_ZN7rocprim17ROCPRIM_400000_NS6detail17trampoline_kernelINS0_14default_configENS1_22reduce_config_selectorIbEEZNS1_11reduce_implILb1ES3_N6hipcub16HIPCUB_304000_NS22TransformInputIteratorIb7NonZeroIfEPflEEPllNS8_6detail34convert_binary_result_type_wrapperINS8_3SumESD_lEEEE10hipError_tPvRmT1_T2_T3_mT4_P12ihipStream_tbEUlT_E0_NS1_11comp_targetILNS1_3genE2ELNS1_11target_archE906ELNS1_3gpuE6ELNS1_3repE0EEENS1_30default_config_static_selectorELNS0_4arch9wavefront6targetE1EEEvSM_
; %bb.0:
	.section	.rodata,"a",@progbits
	.p2align	6, 0x0
	.amdhsa_kernel _ZN7rocprim17ROCPRIM_400000_NS6detail17trampoline_kernelINS0_14default_configENS1_22reduce_config_selectorIbEEZNS1_11reduce_implILb1ES3_N6hipcub16HIPCUB_304000_NS22TransformInputIteratorIb7NonZeroIfEPflEEPllNS8_6detail34convert_binary_result_type_wrapperINS8_3SumESD_lEEEE10hipError_tPvRmT1_T2_T3_mT4_P12ihipStream_tbEUlT_E0_NS1_11comp_targetILNS1_3genE2ELNS1_11target_archE906ELNS1_3gpuE6ELNS1_3repE0EEENS1_30default_config_static_selectorELNS0_4arch9wavefront6targetE1EEEvSM_
		.amdhsa_group_segment_fixed_size 0
		.amdhsa_private_segment_fixed_size 0
		.amdhsa_kernarg_size 72
		.amdhsa_user_sgpr_count 2
		.amdhsa_user_sgpr_dispatch_ptr 0
		.amdhsa_user_sgpr_queue_ptr 0
		.amdhsa_user_sgpr_kernarg_segment_ptr 1
		.amdhsa_user_sgpr_dispatch_id 0
		.amdhsa_user_sgpr_kernarg_preload_length 0
		.amdhsa_user_sgpr_kernarg_preload_offset 0
		.amdhsa_user_sgpr_private_segment_size 0
		.amdhsa_uses_dynamic_stack 0
		.amdhsa_enable_private_segment 0
		.amdhsa_system_sgpr_workgroup_id_x 1
		.amdhsa_system_sgpr_workgroup_id_y 0
		.amdhsa_system_sgpr_workgroup_id_z 0
		.amdhsa_system_sgpr_workgroup_info 0
		.amdhsa_system_vgpr_workitem_id 0
		.amdhsa_next_free_vgpr 1
		.amdhsa_next_free_sgpr 0
		.amdhsa_accum_offset 4
		.amdhsa_reserve_vcc 0
		.amdhsa_float_round_mode_32 0
		.amdhsa_float_round_mode_16_64 0
		.amdhsa_float_denorm_mode_32 3
		.amdhsa_float_denorm_mode_16_64 3
		.amdhsa_dx10_clamp 1
		.amdhsa_ieee_mode 1
		.amdhsa_fp16_overflow 0
		.amdhsa_tg_split 0
		.amdhsa_exception_fp_ieee_invalid_op 0
		.amdhsa_exception_fp_denorm_src 0
		.amdhsa_exception_fp_ieee_div_zero 0
		.amdhsa_exception_fp_ieee_overflow 0
		.amdhsa_exception_fp_ieee_underflow 0
		.amdhsa_exception_fp_ieee_inexact 0
		.amdhsa_exception_int_div_zero 0
	.end_amdhsa_kernel
	.section	.text._ZN7rocprim17ROCPRIM_400000_NS6detail17trampoline_kernelINS0_14default_configENS1_22reduce_config_selectorIbEEZNS1_11reduce_implILb1ES3_N6hipcub16HIPCUB_304000_NS22TransformInputIteratorIb7NonZeroIfEPflEEPllNS8_6detail34convert_binary_result_type_wrapperINS8_3SumESD_lEEEE10hipError_tPvRmT1_T2_T3_mT4_P12ihipStream_tbEUlT_E0_NS1_11comp_targetILNS1_3genE2ELNS1_11target_archE906ELNS1_3gpuE6ELNS1_3repE0EEENS1_30default_config_static_selectorELNS0_4arch9wavefront6targetE1EEEvSM_,"axG",@progbits,_ZN7rocprim17ROCPRIM_400000_NS6detail17trampoline_kernelINS0_14default_configENS1_22reduce_config_selectorIbEEZNS1_11reduce_implILb1ES3_N6hipcub16HIPCUB_304000_NS22TransformInputIteratorIb7NonZeroIfEPflEEPllNS8_6detail34convert_binary_result_type_wrapperINS8_3SumESD_lEEEE10hipError_tPvRmT1_T2_T3_mT4_P12ihipStream_tbEUlT_E0_NS1_11comp_targetILNS1_3genE2ELNS1_11target_archE906ELNS1_3gpuE6ELNS1_3repE0EEENS1_30default_config_static_selectorELNS0_4arch9wavefront6targetE1EEEvSM_,comdat
.Lfunc_end239:
	.size	_ZN7rocprim17ROCPRIM_400000_NS6detail17trampoline_kernelINS0_14default_configENS1_22reduce_config_selectorIbEEZNS1_11reduce_implILb1ES3_N6hipcub16HIPCUB_304000_NS22TransformInputIteratorIb7NonZeroIfEPflEEPllNS8_6detail34convert_binary_result_type_wrapperINS8_3SumESD_lEEEE10hipError_tPvRmT1_T2_T3_mT4_P12ihipStream_tbEUlT_E0_NS1_11comp_targetILNS1_3genE2ELNS1_11target_archE906ELNS1_3gpuE6ELNS1_3repE0EEENS1_30default_config_static_selectorELNS0_4arch9wavefront6targetE1EEEvSM_, .Lfunc_end239-_ZN7rocprim17ROCPRIM_400000_NS6detail17trampoline_kernelINS0_14default_configENS1_22reduce_config_selectorIbEEZNS1_11reduce_implILb1ES3_N6hipcub16HIPCUB_304000_NS22TransformInputIteratorIb7NonZeroIfEPflEEPllNS8_6detail34convert_binary_result_type_wrapperINS8_3SumESD_lEEEE10hipError_tPvRmT1_T2_T3_mT4_P12ihipStream_tbEUlT_E0_NS1_11comp_targetILNS1_3genE2ELNS1_11target_archE906ELNS1_3gpuE6ELNS1_3repE0EEENS1_30default_config_static_selectorELNS0_4arch9wavefront6targetE1EEEvSM_
                                        ; -- End function
	.set _ZN7rocprim17ROCPRIM_400000_NS6detail17trampoline_kernelINS0_14default_configENS1_22reduce_config_selectorIbEEZNS1_11reduce_implILb1ES3_N6hipcub16HIPCUB_304000_NS22TransformInputIteratorIb7NonZeroIfEPflEEPllNS8_6detail34convert_binary_result_type_wrapperINS8_3SumESD_lEEEE10hipError_tPvRmT1_T2_T3_mT4_P12ihipStream_tbEUlT_E0_NS1_11comp_targetILNS1_3genE2ELNS1_11target_archE906ELNS1_3gpuE6ELNS1_3repE0EEENS1_30default_config_static_selectorELNS0_4arch9wavefront6targetE1EEEvSM_.num_vgpr, 0
	.set _ZN7rocprim17ROCPRIM_400000_NS6detail17trampoline_kernelINS0_14default_configENS1_22reduce_config_selectorIbEEZNS1_11reduce_implILb1ES3_N6hipcub16HIPCUB_304000_NS22TransformInputIteratorIb7NonZeroIfEPflEEPllNS8_6detail34convert_binary_result_type_wrapperINS8_3SumESD_lEEEE10hipError_tPvRmT1_T2_T3_mT4_P12ihipStream_tbEUlT_E0_NS1_11comp_targetILNS1_3genE2ELNS1_11target_archE906ELNS1_3gpuE6ELNS1_3repE0EEENS1_30default_config_static_selectorELNS0_4arch9wavefront6targetE1EEEvSM_.num_agpr, 0
	.set _ZN7rocprim17ROCPRIM_400000_NS6detail17trampoline_kernelINS0_14default_configENS1_22reduce_config_selectorIbEEZNS1_11reduce_implILb1ES3_N6hipcub16HIPCUB_304000_NS22TransformInputIteratorIb7NonZeroIfEPflEEPllNS8_6detail34convert_binary_result_type_wrapperINS8_3SumESD_lEEEE10hipError_tPvRmT1_T2_T3_mT4_P12ihipStream_tbEUlT_E0_NS1_11comp_targetILNS1_3genE2ELNS1_11target_archE906ELNS1_3gpuE6ELNS1_3repE0EEENS1_30default_config_static_selectorELNS0_4arch9wavefront6targetE1EEEvSM_.numbered_sgpr, 0
	.set _ZN7rocprim17ROCPRIM_400000_NS6detail17trampoline_kernelINS0_14default_configENS1_22reduce_config_selectorIbEEZNS1_11reduce_implILb1ES3_N6hipcub16HIPCUB_304000_NS22TransformInputIteratorIb7NonZeroIfEPflEEPllNS8_6detail34convert_binary_result_type_wrapperINS8_3SumESD_lEEEE10hipError_tPvRmT1_T2_T3_mT4_P12ihipStream_tbEUlT_E0_NS1_11comp_targetILNS1_3genE2ELNS1_11target_archE906ELNS1_3gpuE6ELNS1_3repE0EEENS1_30default_config_static_selectorELNS0_4arch9wavefront6targetE1EEEvSM_.num_named_barrier, 0
	.set _ZN7rocprim17ROCPRIM_400000_NS6detail17trampoline_kernelINS0_14default_configENS1_22reduce_config_selectorIbEEZNS1_11reduce_implILb1ES3_N6hipcub16HIPCUB_304000_NS22TransformInputIteratorIb7NonZeroIfEPflEEPllNS8_6detail34convert_binary_result_type_wrapperINS8_3SumESD_lEEEE10hipError_tPvRmT1_T2_T3_mT4_P12ihipStream_tbEUlT_E0_NS1_11comp_targetILNS1_3genE2ELNS1_11target_archE906ELNS1_3gpuE6ELNS1_3repE0EEENS1_30default_config_static_selectorELNS0_4arch9wavefront6targetE1EEEvSM_.private_seg_size, 0
	.set _ZN7rocprim17ROCPRIM_400000_NS6detail17trampoline_kernelINS0_14default_configENS1_22reduce_config_selectorIbEEZNS1_11reduce_implILb1ES3_N6hipcub16HIPCUB_304000_NS22TransformInputIteratorIb7NonZeroIfEPflEEPllNS8_6detail34convert_binary_result_type_wrapperINS8_3SumESD_lEEEE10hipError_tPvRmT1_T2_T3_mT4_P12ihipStream_tbEUlT_E0_NS1_11comp_targetILNS1_3genE2ELNS1_11target_archE906ELNS1_3gpuE6ELNS1_3repE0EEENS1_30default_config_static_selectorELNS0_4arch9wavefront6targetE1EEEvSM_.uses_vcc, 0
	.set _ZN7rocprim17ROCPRIM_400000_NS6detail17trampoline_kernelINS0_14default_configENS1_22reduce_config_selectorIbEEZNS1_11reduce_implILb1ES3_N6hipcub16HIPCUB_304000_NS22TransformInputIteratorIb7NonZeroIfEPflEEPllNS8_6detail34convert_binary_result_type_wrapperINS8_3SumESD_lEEEE10hipError_tPvRmT1_T2_T3_mT4_P12ihipStream_tbEUlT_E0_NS1_11comp_targetILNS1_3genE2ELNS1_11target_archE906ELNS1_3gpuE6ELNS1_3repE0EEENS1_30default_config_static_selectorELNS0_4arch9wavefront6targetE1EEEvSM_.uses_flat_scratch, 0
	.set _ZN7rocprim17ROCPRIM_400000_NS6detail17trampoline_kernelINS0_14default_configENS1_22reduce_config_selectorIbEEZNS1_11reduce_implILb1ES3_N6hipcub16HIPCUB_304000_NS22TransformInputIteratorIb7NonZeroIfEPflEEPllNS8_6detail34convert_binary_result_type_wrapperINS8_3SumESD_lEEEE10hipError_tPvRmT1_T2_T3_mT4_P12ihipStream_tbEUlT_E0_NS1_11comp_targetILNS1_3genE2ELNS1_11target_archE906ELNS1_3gpuE6ELNS1_3repE0EEENS1_30default_config_static_selectorELNS0_4arch9wavefront6targetE1EEEvSM_.has_dyn_sized_stack, 0
	.set _ZN7rocprim17ROCPRIM_400000_NS6detail17trampoline_kernelINS0_14default_configENS1_22reduce_config_selectorIbEEZNS1_11reduce_implILb1ES3_N6hipcub16HIPCUB_304000_NS22TransformInputIteratorIb7NonZeroIfEPflEEPllNS8_6detail34convert_binary_result_type_wrapperINS8_3SumESD_lEEEE10hipError_tPvRmT1_T2_T3_mT4_P12ihipStream_tbEUlT_E0_NS1_11comp_targetILNS1_3genE2ELNS1_11target_archE906ELNS1_3gpuE6ELNS1_3repE0EEENS1_30default_config_static_selectorELNS0_4arch9wavefront6targetE1EEEvSM_.has_recursion, 0
	.set _ZN7rocprim17ROCPRIM_400000_NS6detail17trampoline_kernelINS0_14default_configENS1_22reduce_config_selectorIbEEZNS1_11reduce_implILb1ES3_N6hipcub16HIPCUB_304000_NS22TransformInputIteratorIb7NonZeroIfEPflEEPllNS8_6detail34convert_binary_result_type_wrapperINS8_3SumESD_lEEEE10hipError_tPvRmT1_T2_T3_mT4_P12ihipStream_tbEUlT_E0_NS1_11comp_targetILNS1_3genE2ELNS1_11target_archE906ELNS1_3gpuE6ELNS1_3repE0EEENS1_30default_config_static_selectorELNS0_4arch9wavefront6targetE1EEEvSM_.has_indirect_call, 0
	.section	.AMDGPU.csdata,"",@progbits
; Kernel info:
; codeLenInByte = 0
; TotalNumSgprs: 6
; NumVgprs: 0
; NumAgprs: 0
; TotalNumVgprs: 0
; ScratchSize: 0
; MemoryBound: 0
; FloatMode: 240
; IeeeMode: 1
; LDSByteSize: 0 bytes/workgroup (compile time only)
; SGPRBlocks: 0
; VGPRBlocks: 0
; NumSGPRsForWavesPerEU: 6
; NumVGPRsForWavesPerEU: 1
; AccumOffset: 4
; Occupancy: 8
; WaveLimiterHint : 0
; COMPUTE_PGM_RSRC2:SCRATCH_EN: 0
; COMPUTE_PGM_RSRC2:USER_SGPR: 2
; COMPUTE_PGM_RSRC2:TRAP_HANDLER: 0
; COMPUTE_PGM_RSRC2:TGID_X_EN: 1
; COMPUTE_PGM_RSRC2:TGID_Y_EN: 0
; COMPUTE_PGM_RSRC2:TGID_Z_EN: 0
; COMPUTE_PGM_RSRC2:TIDIG_COMP_CNT: 0
; COMPUTE_PGM_RSRC3_GFX90A:ACCUM_OFFSET: 0
; COMPUTE_PGM_RSRC3_GFX90A:TG_SPLIT: 0
	.section	.text._ZN7rocprim17ROCPRIM_400000_NS6detail17trampoline_kernelINS0_14default_configENS1_22reduce_config_selectorIbEEZNS1_11reduce_implILb1ES3_N6hipcub16HIPCUB_304000_NS22TransformInputIteratorIb7NonZeroIfEPflEEPllNS8_6detail34convert_binary_result_type_wrapperINS8_3SumESD_lEEEE10hipError_tPvRmT1_T2_T3_mT4_P12ihipStream_tbEUlT_E0_NS1_11comp_targetILNS1_3genE10ELNS1_11target_archE1201ELNS1_3gpuE5ELNS1_3repE0EEENS1_30default_config_static_selectorELNS0_4arch9wavefront6targetE1EEEvSM_,"axG",@progbits,_ZN7rocprim17ROCPRIM_400000_NS6detail17trampoline_kernelINS0_14default_configENS1_22reduce_config_selectorIbEEZNS1_11reduce_implILb1ES3_N6hipcub16HIPCUB_304000_NS22TransformInputIteratorIb7NonZeroIfEPflEEPllNS8_6detail34convert_binary_result_type_wrapperINS8_3SumESD_lEEEE10hipError_tPvRmT1_T2_T3_mT4_P12ihipStream_tbEUlT_E0_NS1_11comp_targetILNS1_3genE10ELNS1_11target_archE1201ELNS1_3gpuE5ELNS1_3repE0EEENS1_30default_config_static_selectorELNS0_4arch9wavefront6targetE1EEEvSM_,comdat
	.protected	_ZN7rocprim17ROCPRIM_400000_NS6detail17trampoline_kernelINS0_14default_configENS1_22reduce_config_selectorIbEEZNS1_11reduce_implILb1ES3_N6hipcub16HIPCUB_304000_NS22TransformInputIteratorIb7NonZeroIfEPflEEPllNS8_6detail34convert_binary_result_type_wrapperINS8_3SumESD_lEEEE10hipError_tPvRmT1_T2_T3_mT4_P12ihipStream_tbEUlT_E0_NS1_11comp_targetILNS1_3genE10ELNS1_11target_archE1201ELNS1_3gpuE5ELNS1_3repE0EEENS1_30default_config_static_selectorELNS0_4arch9wavefront6targetE1EEEvSM_ ; -- Begin function _ZN7rocprim17ROCPRIM_400000_NS6detail17trampoline_kernelINS0_14default_configENS1_22reduce_config_selectorIbEEZNS1_11reduce_implILb1ES3_N6hipcub16HIPCUB_304000_NS22TransformInputIteratorIb7NonZeroIfEPflEEPllNS8_6detail34convert_binary_result_type_wrapperINS8_3SumESD_lEEEE10hipError_tPvRmT1_T2_T3_mT4_P12ihipStream_tbEUlT_E0_NS1_11comp_targetILNS1_3genE10ELNS1_11target_archE1201ELNS1_3gpuE5ELNS1_3repE0EEENS1_30default_config_static_selectorELNS0_4arch9wavefront6targetE1EEEvSM_
	.globl	_ZN7rocprim17ROCPRIM_400000_NS6detail17trampoline_kernelINS0_14default_configENS1_22reduce_config_selectorIbEEZNS1_11reduce_implILb1ES3_N6hipcub16HIPCUB_304000_NS22TransformInputIteratorIb7NonZeroIfEPflEEPllNS8_6detail34convert_binary_result_type_wrapperINS8_3SumESD_lEEEE10hipError_tPvRmT1_T2_T3_mT4_P12ihipStream_tbEUlT_E0_NS1_11comp_targetILNS1_3genE10ELNS1_11target_archE1201ELNS1_3gpuE5ELNS1_3repE0EEENS1_30default_config_static_selectorELNS0_4arch9wavefront6targetE1EEEvSM_
	.p2align	8
	.type	_ZN7rocprim17ROCPRIM_400000_NS6detail17trampoline_kernelINS0_14default_configENS1_22reduce_config_selectorIbEEZNS1_11reduce_implILb1ES3_N6hipcub16HIPCUB_304000_NS22TransformInputIteratorIb7NonZeroIfEPflEEPllNS8_6detail34convert_binary_result_type_wrapperINS8_3SumESD_lEEEE10hipError_tPvRmT1_T2_T3_mT4_P12ihipStream_tbEUlT_E0_NS1_11comp_targetILNS1_3genE10ELNS1_11target_archE1201ELNS1_3gpuE5ELNS1_3repE0EEENS1_30default_config_static_selectorELNS0_4arch9wavefront6targetE1EEEvSM_,@function
_ZN7rocprim17ROCPRIM_400000_NS6detail17trampoline_kernelINS0_14default_configENS1_22reduce_config_selectorIbEEZNS1_11reduce_implILb1ES3_N6hipcub16HIPCUB_304000_NS22TransformInputIteratorIb7NonZeroIfEPflEEPllNS8_6detail34convert_binary_result_type_wrapperINS8_3SumESD_lEEEE10hipError_tPvRmT1_T2_T3_mT4_P12ihipStream_tbEUlT_E0_NS1_11comp_targetILNS1_3genE10ELNS1_11target_archE1201ELNS1_3gpuE5ELNS1_3repE0EEENS1_30default_config_static_selectorELNS0_4arch9wavefront6targetE1EEEvSM_: ; @_ZN7rocprim17ROCPRIM_400000_NS6detail17trampoline_kernelINS0_14default_configENS1_22reduce_config_selectorIbEEZNS1_11reduce_implILb1ES3_N6hipcub16HIPCUB_304000_NS22TransformInputIteratorIb7NonZeroIfEPflEEPllNS8_6detail34convert_binary_result_type_wrapperINS8_3SumESD_lEEEE10hipError_tPvRmT1_T2_T3_mT4_P12ihipStream_tbEUlT_E0_NS1_11comp_targetILNS1_3genE10ELNS1_11target_archE1201ELNS1_3gpuE5ELNS1_3repE0EEENS1_30default_config_static_selectorELNS0_4arch9wavefront6targetE1EEEvSM_
; %bb.0:
	.section	.rodata,"a",@progbits
	.p2align	6, 0x0
	.amdhsa_kernel _ZN7rocprim17ROCPRIM_400000_NS6detail17trampoline_kernelINS0_14default_configENS1_22reduce_config_selectorIbEEZNS1_11reduce_implILb1ES3_N6hipcub16HIPCUB_304000_NS22TransformInputIteratorIb7NonZeroIfEPflEEPllNS8_6detail34convert_binary_result_type_wrapperINS8_3SumESD_lEEEE10hipError_tPvRmT1_T2_T3_mT4_P12ihipStream_tbEUlT_E0_NS1_11comp_targetILNS1_3genE10ELNS1_11target_archE1201ELNS1_3gpuE5ELNS1_3repE0EEENS1_30default_config_static_selectorELNS0_4arch9wavefront6targetE1EEEvSM_
		.amdhsa_group_segment_fixed_size 0
		.amdhsa_private_segment_fixed_size 0
		.amdhsa_kernarg_size 72
		.amdhsa_user_sgpr_count 2
		.amdhsa_user_sgpr_dispatch_ptr 0
		.amdhsa_user_sgpr_queue_ptr 0
		.amdhsa_user_sgpr_kernarg_segment_ptr 1
		.amdhsa_user_sgpr_dispatch_id 0
		.amdhsa_user_sgpr_kernarg_preload_length 0
		.amdhsa_user_sgpr_kernarg_preload_offset 0
		.amdhsa_user_sgpr_private_segment_size 0
		.amdhsa_uses_dynamic_stack 0
		.amdhsa_enable_private_segment 0
		.amdhsa_system_sgpr_workgroup_id_x 1
		.amdhsa_system_sgpr_workgroup_id_y 0
		.amdhsa_system_sgpr_workgroup_id_z 0
		.amdhsa_system_sgpr_workgroup_info 0
		.amdhsa_system_vgpr_workitem_id 0
		.amdhsa_next_free_vgpr 1
		.amdhsa_next_free_sgpr 0
		.amdhsa_accum_offset 4
		.amdhsa_reserve_vcc 0
		.amdhsa_float_round_mode_32 0
		.amdhsa_float_round_mode_16_64 0
		.amdhsa_float_denorm_mode_32 3
		.amdhsa_float_denorm_mode_16_64 3
		.amdhsa_dx10_clamp 1
		.amdhsa_ieee_mode 1
		.amdhsa_fp16_overflow 0
		.amdhsa_tg_split 0
		.amdhsa_exception_fp_ieee_invalid_op 0
		.amdhsa_exception_fp_denorm_src 0
		.amdhsa_exception_fp_ieee_div_zero 0
		.amdhsa_exception_fp_ieee_overflow 0
		.amdhsa_exception_fp_ieee_underflow 0
		.amdhsa_exception_fp_ieee_inexact 0
		.amdhsa_exception_int_div_zero 0
	.end_amdhsa_kernel
	.section	.text._ZN7rocprim17ROCPRIM_400000_NS6detail17trampoline_kernelINS0_14default_configENS1_22reduce_config_selectorIbEEZNS1_11reduce_implILb1ES3_N6hipcub16HIPCUB_304000_NS22TransformInputIteratorIb7NonZeroIfEPflEEPllNS8_6detail34convert_binary_result_type_wrapperINS8_3SumESD_lEEEE10hipError_tPvRmT1_T2_T3_mT4_P12ihipStream_tbEUlT_E0_NS1_11comp_targetILNS1_3genE10ELNS1_11target_archE1201ELNS1_3gpuE5ELNS1_3repE0EEENS1_30default_config_static_selectorELNS0_4arch9wavefront6targetE1EEEvSM_,"axG",@progbits,_ZN7rocprim17ROCPRIM_400000_NS6detail17trampoline_kernelINS0_14default_configENS1_22reduce_config_selectorIbEEZNS1_11reduce_implILb1ES3_N6hipcub16HIPCUB_304000_NS22TransformInputIteratorIb7NonZeroIfEPflEEPllNS8_6detail34convert_binary_result_type_wrapperINS8_3SumESD_lEEEE10hipError_tPvRmT1_T2_T3_mT4_P12ihipStream_tbEUlT_E0_NS1_11comp_targetILNS1_3genE10ELNS1_11target_archE1201ELNS1_3gpuE5ELNS1_3repE0EEENS1_30default_config_static_selectorELNS0_4arch9wavefront6targetE1EEEvSM_,comdat
.Lfunc_end240:
	.size	_ZN7rocprim17ROCPRIM_400000_NS6detail17trampoline_kernelINS0_14default_configENS1_22reduce_config_selectorIbEEZNS1_11reduce_implILb1ES3_N6hipcub16HIPCUB_304000_NS22TransformInputIteratorIb7NonZeroIfEPflEEPllNS8_6detail34convert_binary_result_type_wrapperINS8_3SumESD_lEEEE10hipError_tPvRmT1_T2_T3_mT4_P12ihipStream_tbEUlT_E0_NS1_11comp_targetILNS1_3genE10ELNS1_11target_archE1201ELNS1_3gpuE5ELNS1_3repE0EEENS1_30default_config_static_selectorELNS0_4arch9wavefront6targetE1EEEvSM_, .Lfunc_end240-_ZN7rocprim17ROCPRIM_400000_NS6detail17trampoline_kernelINS0_14default_configENS1_22reduce_config_selectorIbEEZNS1_11reduce_implILb1ES3_N6hipcub16HIPCUB_304000_NS22TransformInputIteratorIb7NonZeroIfEPflEEPllNS8_6detail34convert_binary_result_type_wrapperINS8_3SumESD_lEEEE10hipError_tPvRmT1_T2_T3_mT4_P12ihipStream_tbEUlT_E0_NS1_11comp_targetILNS1_3genE10ELNS1_11target_archE1201ELNS1_3gpuE5ELNS1_3repE0EEENS1_30default_config_static_selectorELNS0_4arch9wavefront6targetE1EEEvSM_
                                        ; -- End function
	.set _ZN7rocprim17ROCPRIM_400000_NS6detail17trampoline_kernelINS0_14default_configENS1_22reduce_config_selectorIbEEZNS1_11reduce_implILb1ES3_N6hipcub16HIPCUB_304000_NS22TransformInputIteratorIb7NonZeroIfEPflEEPllNS8_6detail34convert_binary_result_type_wrapperINS8_3SumESD_lEEEE10hipError_tPvRmT1_T2_T3_mT4_P12ihipStream_tbEUlT_E0_NS1_11comp_targetILNS1_3genE10ELNS1_11target_archE1201ELNS1_3gpuE5ELNS1_3repE0EEENS1_30default_config_static_selectorELNS0_4arch9wavefront6targetE1EEEvSM_.num_vgpr, 0
	.set _ZN7rocprim17ROCPRIM_400000_NS6detail17trampoline_kernelINS0_14default_configENS1_22reduce_config_selectorIbEEZNS1_11reduce_implILb1ES3_N6hipcub16HIPCUB_304000_NS22TransformInputIteratorIb7NonZeroIfEPflEEPllNS8_6detail34convert_binary_result_type_wrapperINS8_3SumESD_lEEEE10hipError_tPvRmT1_T2_T3_mT4_P12ihipStream_tbEUlT_E0_NS1_11comp_targetILNS1_3genE10ELNS1_11target_archE1201ELNS1_3gpuE5ELNS1_3repE0EEENS1_30default_config_static_selectorELNS0_4arch9wavefront6targetE1EEEvSM_.num_agpr, 0
	.set _ZN7rocprim17ROCPRIM_400000_NS6detail17trampoline_kernelINS0_14default_configENS1_22reduce_config_selectorIbEEZNS1_11reduce_implILb1ES3_N6hipcub16HIPCUB_304000_NS22TransformInputIteratorIb7NonZeroIfEPflEEPllNS8_6detail34convert_binary_result_type_wrapperINS8_3SumESD_lEEEE10hipError_tPvRmT1_T2_T3_mT4_P12ihipStream_tbEUlT_E0_NS1_11comp_targetILNS1_3genE10ELNS1_11target_archE1201ELNS1_3gpuE5ELNS1_3repE0EEENS1_30default_config_static_selectorELNS0_4arch9wavefront6targetE1EEEvSM_.numbered_sgpr, 0
	.set _ZN7rocprim17ROCPRIM_400000_NS6detail17trampoline_kernelINS0_14default_configENS1_22reduce_config_selectorIbEEZNS1_11reduce_implILb1ES3_N6hipcub16HIPCUB_304000_NS22TransformInputIteratorIb7NonZeroIfEPflEEPllNS8_6detail34convert_binary_result_type_wrapperINS8_3SumESD_lEEEE10hipError_tPvRmT1_T2_T3_mT4_P12ihipStream_tbEUlT_E0_NS1_11comp_targetILNS1_3genE10ELNS1_11target_archE1201ELNS1_3gpuE5ELNS1_3repE0EEENS1_30default_config_static_selectorELNS0_4arch9wavefront6targetE1EEEvSM_.num_named_barrier, 0
	.set _ZN7rocprim17ROCPRIM_400000_NS6detail17trampoline_kernelINS0_14default_configENS1_22reduce_config_selectorIbEEZNS1_11reduce_implILb1ES3_N6hipcub16HIPCUB_304000_NS22TransformInputIteratorIb7NonZeroIfEPflEEPllNS8_6detail34convert_binary_result_type_wrapperINS8_3SumESD_lEEEE10hipError_tPvRmT1_T2_T3_mT4_P12ihipStream_tbEUlT_E0_NS1_11comp_targetILNS1_3genE10ELNS1_11target_archE1201ELNS1_3gpuE5ELNS1_3repE0EEENS1_30default_config_static_selectorELNS0_4arch9wavefront6targetE1EEEvSM_.private_seg_size, 0
	.set _ZN7rocprim17ROCPRIM_400000_NS6detail17trampoline_kernelINS0_14default_configENS1_22reduce_config_selectorIbEEZNS1_11reduce_implILb1ES3_N6hipcub16HIPCUB_304000_NS22TransformInputIteratorIb7NonZeroIfEPflEEPllNS8_6detail34convert_binary_result_type_wrapperINS8_3SumESD_lEEEE10hipError_tPvRmT1_T2_T3_mT4_P12ihipStream_tbEUlT_E0_NS1_11comp_targetILNS1_3genE10ELNS1_11target_archE1201ELNS1_3gpuE5ELNS1_3repE0EEENS1_30default_config_static_selectorELNS0_4arch9wavefront6targetE1EEEvSM_.uses_vcc, 0
	.set _ZN7rocprim17ROCPRIM_400000_NS6detail17trampoline_kernelINS0_14default_configENS1_22reduce_config_selectorIbEEZNS1_11reduce_implILb1ES3_N6hipcub16HIPCUB_304000_NS22TransformInputIteratorIb7NonZeroIfEPflEEPllNS8_6detail34convert_binary_result_type_wrapperINS8_3SumESD_lEEEE10hipError_tPvRmT1_T2_T3_mT4_P12ihipStream_tbEUlT_E0_NS1_11comp_targetILNS1_3genE10ELNS1_11target_archE1201ELNS1_3gpuE5ELNS1_3repE0EEENS1_30default_config_static_selectorELNS0_4arch9wavefront6targetE1EEEvSM_.uses_flat_scratch, 0
	.set _ZN7rocprim17ROCPRIM_400000_NS6detail17trampoline_kernelINS0_14default_configENS1_22reduce_config_selectorIbEEZNS1_11reduce_implILb1ES3_N6hipcub16HIPCUB_304000_NS22TransformInputIteratorIb7NonZeroIfEPflEEPllNS8_6detail34convert_binary_result_type_wrapperINS8_3SumESD_lEEEE10hipError_tPvRmT1_T2_T3_mT4_P12ihipStream_tbEUlT_E0_NS1_11comp_targetILNS1_3genE10ELNS1_11target_archE1201ELNS1_3gpuE5ELNS1_3repE0EEENS1_30default_config_static_selectorELNS0_4arch9wavefront6targetE1EEEvSM_.has_dyn_sized_stack, 0
	.set _ZN7rocprim17ROCPRIM_400000_NS6detail17trampoline_kernelINS0_14default_configENS1_22reduce_config_selectorIbEEZNS1_11reduce_implILb1ES3_N6hipcub16HIPCUB_304000_NS22TransformInputIteratorIb7NonZeroIfEPflEEPllNS8_6detail34convert_binary_result_type_wrapperINS8_3SumESD_lEEEE10hipError_tPvRmT1_T2_T3_mT4_P12ihipStream_tbEUlT_E0_NS1_11comp_targetILNS1_3genE10ELNS1_11target_archE1201ELNS1_3gpuE5ELNS1_3repE0EEENS1_30default_config_static_selectorELNS0_4arch9wavefront6targetE1EEEvSM_.has_recursion, 0
	.set _ZN7rocprim17ROCPRIM_400000_NS6detail17trampoline_kernelINS0_14default_configENS1_22reduce_config_selectorIbEEZNS1_11reduce_implILb1ES3_N6hipcub16HIPCUB_304000_NS22TransformInputIteratorIb7NonZeroIfEPflEEPllNS8_6detail34convert_binary_result_type_wrapperINS8_3SumESD_lEEEE10hipError_tPvRmT1_T2_T3_mT4_P12ihipStream_tbEUlT_E0_NS1_11comp_targetILNS1_3genE10ELNS1_11target_archE1201ELNS1_3gpuE5ELNS1_3repE0EEENS1_30default_config_static_selectorELNS0_4arch9wavefront6targetE1EEEvSM_.has_indirect_call, 0
	.section	.AMDGPU.csdata,"",@progbits
; Kernel info:
; codeLenInByte = 0
; TotalNumSgprs: 6
; NumVgprs: 0
; NumAgprs: 0
; TotalNumVgprs: 0
; ScratchSize: 0
; MemoryBound: 0
; FloatMode: 240
; IeeeMode: 1
; LDSByteSize: 0 bytes/workgroup (compile time only)
; SGPRBlocks: 0
; VGPRBlocks: 0
; NumSGPRsForWavesPerEU: 6
; NumVGPRsForWavesPerEU: 1
; AccumOffset: 4
; Occupancy: 8
; WaveLimiterHint : 0
; COMPUTE_PGM_RSRC2:SCRATCH_EN: 0
; COMPUTE_PGM_RSRC2:USER_SGPR: 2
; COMPUTE_PGM_RSRC2:TRAP_HANDLER: 0
; COMPUTE_PGM_RSRC2:TGID_X_EN: 1
; COMPUTE_PGM_RSRC2:TGID_Y_EN: 0
; COMPUTE_PGM_RSRC2:TGID_Z_EN: 0
; COMPUTE_PGM_RSRC2:TIDIG_COMP_CNT: 0
; COMPUTE_PGM_RSRC3_GFX90A:ACCUM_OFFSET: 0
; COMPUTE_PGM_RSRC3_GFX90A:TG_SPLIT: 0
	.section	.text._ZN7rocprim17ROCPRIM_400000_NS6detail17trampoline_kernelINS0_14default_configENS1_22reduce_config_selectorIbEEZNS1_11reduce_implILb1ES3_N6hipcub16HIPCUB_304000_NS22TransformInputIteratorIb7NonZeroIfEPflEEPllNS8_6detail34convert_binary_result_type_wrapperINS8_3SumESD_lEEEE10hipError_tPvRmT1_T2_T3_mT4_P12ihipStream_tbEUlT_E0_NS1_11comp_targetILNS1_3genE10ELNS1_11target_archE1200ELNS1_3gpuE4ELNS1_3repE0EEENS1_30default_config_static_selectorELNS0_4arch9wavefront6targetE1EEEvSM_,"axG",@progbits,_ZN7rocprim17ROCPRIM_400000_NS6detail17trampoline_kernelINS0_14default_configENS1_22reduce_config_selectorIbEEZNS1_11reduce_implILb1ES3_N6hipcub16HIPCUB_304000_NS22TransformInputIteratorIb7NonZeroIfEPflEEPllNS8_6detail34convert_binary_result_type_wrapperINS8_3SumESD_lEEEE10hipError_tPvRmT1_T2_T3_mT4_P12ihipStream_tbEUlT_E0_NS1_11comp_targetILNS1_3genE10ELNS1_11target_archE1200ELNS1_3gpuE4ELNS1_3repE0EEENS1_30default_config_static_selectorELNS0_4arch9wavefront6targetE1EEEvSM_,comdat
	.protected	_ZN7rocprim17ROCPRIM_400000_NS6detail17trampoline_kernelINS0_14default_configENS1_22reduce_config_selectorIbEEZNS1_11reduce_implILb1ES3_N6hipcub16HIPCUB_304000_NS22TransformInputIteratorIb7NonZeroIfEPflEEPllNS8_6detail34convert_binary_result_type_wrapperINS8_3SumESD_lEEEE10hipError_tPvRmT1_T2_T3_mT4_P12ihipStream_tbEUlT_E0_NS1_11comp_targetILNS1_3genE10ELNS1_11target_archE1200ELNS1_3gpuE4ELNS1_3repE0EEENS1_30default_config_static_selectorELNS0_4arch9wavefront6targetE1EEEvSM_ ; -- Begin function _ZN7rocprim17ROCPRIM_400000_NS6detail17trampoline_kernelINS0_14default_configENS1_22reduce_config_selectorIbEEZNS1_11reduce_implILb1ES3_N6hipcub16HIPCUB_304000_NS22TransformInputIteratorIb7NonZeroIfEPflEEPllNS8_6detail34convert_binary_result_type_wrapperINS8_3SumESD_lEEEE10hipError_tPvRmT1_T2_T3_mT4_P12ihipStream_tbEUlT_E0_NS1_11comp_targetILNS1_3genE10ELNS1_11target_archE1200ELNS1_3gpuE4ELNS1_3repE0EEENS1_30default_config_static_selectorELNS0_4arch9wavefront6targetE1EEEvSM_
	.globl	_ZN7rocprim17ROCPRIM_400000_NS6detail17trampoline_kernelINS0_14default_configENS1_22reduce_config_selectorIbEEZNS1_11reduce_implILb1ES3_N6hipcub16HIPCUB_304000_NS22TransformInputIteratorIb7NonZeroIfEPflEEPllNS8_6detail34convert_binary_result_type_wrapperINS8_3SumESD_lEEEE10hipError_tPvRmT1_T2_T3_mT4_P12ihipStream_tbEUlT_E0_NS1_11comp_targetILNS1_3genE10ELNS1_11target_archE1200ELNS1_3gpuE4ELNS1_3repE0EEENS1_30default_config_static_selectorELNS0_4arch9wavefront6targetE1EEEvSM_
	.p2align	8
	.type	_ZN7rocprim17ROCPRIM_400000_NS6detail17trampoline_kernelINS0_14default_configENS1_22reduce_config_selectorIbEEZNS1_11reduce_implILb1ES3_N6hipcub16HIPCUB_304000_NS22TransformInputIteratorIb7NonZeroIfEPflEEPllNS8_6detail34convert_binary_result_type_wrapperINS8_3SumESD_lEEEE10hipError_tPvRmT1_T2_T3_mT4_P12ihipStream_tbEUlT_E0_NS1_11comp_targetILNS1_3genE10ELNS1_11target_archE1200ELNS1_3gpuE4ELNS1_3repE0EEENS1_30default_config_static_selectorELNS0_4arch9wavefront6targetE1EEEvSM_,@function
_ZN7rocprim17ROCPRIM_400000_NS6detail17trampoline_kernelINS0_14default_configENS1_22reduce_config_selectorIbEEZNS1_11reduce_implILb1ES3_N6hipcub16HIPCUB_304000_NS22TransformInputIteratorIb7NonZeroIfEPflEEPllNS8_6detail34convert_binary_result_type_wrapperINS8_3SumESD_lEEEE10hipError_tPvRmT1_T2_T3_mT4_P12ihipStream_tbEUlT_E0_NS1_11comp_targetILNS1_3genE10ELNS1_11target_archE1200ELNS1_3gpuE4ELNS1_3repE0EEENS1_30default_config_static_selectorELNS0_4arch9wavefront6targetE1EEEvSM_: ; @_ZN7rocprim17ROCPRIM_400000_NS6detail17trampoline_kernelINS0_14default_configENS1_22reduce_config_selectorIbEEZNS1_11reduce_implILb1ES3_N6hipcub16HIPCUB_304000_NS22TransformInputIteratorIb7NonZeroIfEPflEEPllNS8_6detail34convert_binary_result_type_wrapperINS8_3SumESD_lEEEE10hipError_tPvRmT1_T2_T3_mT4_P12ihipStream_tbEUlT_E0_NS1_11comp_targetILNS1_3genE10ELNS1_11target_archE1200ELNS1_3gpuE4ELNS1_3repE0EEENS1_30default_config_static_selectorELNS0_4arch9wavefront6targetE1EEEvSM_
; %bb.0:
	.section	.rodata,"a",@progbits
	.p2align	6, 0x0
	.amdhsa_kernel _ZN7rocprim17ROCPRIM_400000_NS6detail17trampoline_kernelINS0_14default_configENS1_22reduce_config_selectorIbEEZNS1_11reduce_implILb1ES3_N6hipcub16HIPCUB_304000_NS22TransformInputIteratorIb7NonZeroIfEPflEEPllNS8_6detail34convert_binary_result_type_wrapperINS8_3SumESD_lEEEE10hipError_tPvRmT1_T2_T3_mT4_P12ihipStream_tbEUlT_E0_NS1_11comp_targetILNS1_3genE10ELNS1_11target_archE1200ELNS1_3gpuE4ELNS1_3repE0EEENS1_30default_config_static_selectorELNS0_4arch9wavefront6targetE1EEEvSM_
		.amdhsa_group_segment_fixed_size 0
		.amdhsa_private_segment_fixed_size 0
		.amdhsa_kernarg_size 72
		.amdhsa_user_sgpr_count 2
		.amdhsa_user_sgpr_dispatch_ptr 0
		.amdhsa_user_sgpr_queue_ptr 0
		.amdhsa_user_sgpr_kernarg_segment_ptr 1
		.amdhsa_user_sgpr_dispatch_id 0
		.amdhsa_user_sgpr_kernarg_preload_length 0
		.amdhsa_user_sgpr_kernarg_preload_offset 0
		.amdhsa_user_sgpr_private_segment_size 0
		.amdhsa_uses_dynamic_stack 0
		.amdhsa_enable_private_segment 0
		.amdhsa_system_sgpr_workgroup_id_x 1
		.amdhsa_system_sgpr_workgroup_id_y 0
		.amdhsa_system_sgpr_workgroup_id_z 0
		.amdhsa_system_sgpr_workgroup_info 0
		.amdhsa_system_vgpr_workitem_id 0
		.amdhsa_next_free_vgpr 1
		.amdhsa_next_free_sgpr 0
		.amdhsa_accum_offset 4
		.amdhsa_reserve_vcc 0
		.amdhsa_float_round_mode_32 0
		.amdhsa_float_round_mode_16_64 0
		.amdhsa_float_denorm_mode_32 3
		.amdhsa_float_denorm_mode_16_64 3
		.amdhsa_dx10_clamp 1
		.amdhsa_ieee_mode 1
		.amdhsa_fp16_overflow 0
		.amdhsa_tg_split 0
		.amdhsa_exception_fp_ieee_invalid_op 0
		.amdhsa_exception_fp_denorm_src 0
		.amdhsa_exception_fp_ieee_div_zero 0
		.amdhsa_exception_fp_ieee_overflow 0
		.amdhsa_exception_fp_ieee_underflow 0
		.amdhsa_exception_fp_ieee_inexact 0
		.amdhsa_exception_int_div_zero 0
	.end_amdhsa_kernel
	.section	.text._ZN7rocprim17ROCPRIM_400000_NS6detail17trampoline_kernelINS0_14default_configENS1_22reduce_config_selectorIbEEZNS1_11reduce_implILb1ES3_N6hipcub16HIPCUB_304000_NS22TransformInputIteratorIb7NonZeroIfEPflEEPllNS8_6detail34convert_binary_result_type_wrapperINS8_3SumESD_lEEEE10hipError_tPvRmT1_T2_T3_mT4_P12ihipStream_tbEUlT_E0_NS1_11comp_targetILNS1_3genE10ELNS1_11target_archE1200ELNS1_3gpuE4ELNS1_3repE0EEENS1_30default_config_static_selectorELNS0_4arch9wavefront6targetE1EEEvSM_,"axG",@progbits,_ZN7rocprim17ROCPRIM_400000_NS6detail17trampoline_kernelINS0_14default_configENS1_22reduce_config_selectorIbEEZNS1_11reduce_implILb1ES3_N6hipcub16HIPCUB_304000_NS22TransformInputIteratorIb7NonZeroIfEPflEEPllNS8_6detail34convert_binary_result_type_wrapperINS8_3SumESD_lEEEE10hipError_tPvRmT1_T2_T3_mT4_P12ihipStream_tbEUlT_E0_NS1_11comp_targetILNS1_3genE10ELNS1_11target_archE1200ELNS1_3gpuE4ELNS1_3repE0EEENS1_30default_config_static_selectorELNS0_4arch9wavefront6targetE1EEEvSM_,comdat
.Lfunc_end241:
	.size	_ZN7rocprim17ROCPRIM_400000_NS6detail17trampoline_kernelINS0_14default_configENS1_22reduce_config_selectorIbEEZNS1_11reduce_implILb1ES3_N6hipcub16HIPCUB_304000_NS22TransformInputIteratorIb7NonZeroIfEPflEEPllNS8_6detail34convert_binary_result_type_wrapperINS8_3SumESD_lEEEE10hipError_tPvRmT1_T2_T3_mT4_P12ihipStream_tbEUlT_E0_NS1_11comp_targetILNS1_3genE10ELNS1_11target_archE1200ELNS1_3gpuE4ELNS1_3repE0EEENS1_30default_config_static_selectorELNS0_4arch9wavefront6targetE1EEEvSM_, .Lfunc_end241-_ZN7rocprim17ROCPRIM_400000_NS6detail17trampoline_kernelINS0_14default_configENS1_22reduce_config_selectorIbEEZNS1_11reduce_implILb1ES3_N6hipcub16HIPCUB_304000_NS22TransformInputIteratorIb7NonZeroIfEPflEEPllNS8_6detail34convert_binary_result_type_wrapperINS8_3SumESD_lEEEE10hipError_tPvRmT1_T2_T3_mT4_P12ihipStream_tbEUlT_E0_NS1_11comp_targetILNS1_3genE10ELNS1_11target_archE1200ELNS1_3gpuE4ELNS1_3repE0EEENS1_30default_config_static_selectorELNS0_4arch9wavefront6targetE1EEEvSM_
                                        ; -- End function
	.set _ZN7rocprim17ROCPRIM_400000_NS6detail17trampoline_kernelINS0_14default_configENS1_22reduce_config_selectorIbEEZNS1_11reduce_implILb1ES3_N6hipcub16HIPCUB_304000_NS22TransformInputIteratorIb7NonZeroIfEPflEEPllNS8_6detail34convert_binary_result_type_wrapperINS8_3SumESD_lEEEE10hipError_tPvRmT1_T2_T3_mT4_P12ihipStream_tbEUlT_E0_NS1_11comp_targetILNS1_3genE10ELNS1_11target_archE1200ELNS1_3gpuE4ELNS1_3repE0EEENS1_30default_config_static_selectorELNS0_4arch9wavefront6targetE1EEEvSM_.num_vgpr, 0
	.set _ZN7rocprim17ROCPRIM_400000_NS6detail17trampoline_kernelINS0_14default_configENS1_22reduce_config_selectorIbEEZNS1_11reduce_implILb1ES3_N6hipcub16HIPCUB_304000_NS22TransformInputIteratorIb7NonZeroIfEPflEEPllNS8_6detail34convert_binary_result_type_wrapperINS8_3SumESD_lEEEE10hipError_tPvRmT1_T2_T3_mT4_P12ihipStream_tbEUlT_E0_NS1_11comp_targetILNS1_3genE10ELNS1_11target_archE1200ELNS1_3gpuE4ELNS1_3repE0EEENS1_30default_config_static_selectorELNS0_4arch9wavefront6targetE1EEEvSM_.num_agpr, 0
	.set _ZN7rocprim17ROCPRIM_400000_NS6detail17trampoline_kernelINS0_14default_configENS1_22reduce_config_selectorIbEEZNS1_11reduce_implILb1ES3_N6hipcub16HIPCUB_304000_NS22TransformInputIteratorIb7NonZeroIfEPflEEPllNS8_6detail34convert_binary_result_type_wrapperINS8_3SumESD_lEEEE10hipError_tPvRmT1_T2_T3_mT4_P12ihipStream_tbEUlT_E0_NS1_11comp_targetILNS1_3genE10ELNS1_11target_archE1200ELNS1_3gpuE4ELNS1_3repE0EEENS1_30default_config_static_selectorELNS0_4arch9wavefront6targetE1EEEvSM_.numbered_sgpr, 0
	.set _ZN7rocprim17ROCPRIM_400000_NS6detail17trampoline_kernelINS0_14default_configENS1_22reduce_config_selectorIbEEZNS1_11reduce_implILb1ES3_N6hipcub16HIPCUB_304000_NS22TransformInputIteratorIb7NonZeroIfEPflEEPllNS8_6detail34convert_binary_result_type_wrapperINS8_3SumESD_lEEEE10hipError_tPvRmT1_T2_T3_mT4_P12ihipStream_tbEUlT_E0_NS1_11comp_targetILNS1_3genE10ELNS1_11target_archE1200ELNS1_3gpuE4ELNS1_3repE0EEENS1_30default_config_static_selectorELNS0_4arch9wavefront6targetE1EEEvSM_.num_named_barrier, 0
	.set _ZN7rocprim17ROCPRIM_400000_NS6detail17trampoline_kernelINS0_14default_configENS1_22reduce_config_selectorIbEEZNS1_11reduce_implILb1ES3_N6hipcub16HIPCUB_304000_NS22TransformInputIteratorIb7NonZeroIfEPflEEPllNS8_6detail34convert_binary_result_type_wrapperINS8_3SumESD_lEEEE10hipError_tPvRmT1_T2_T3_mT4_P12ihipStream_tbEUlT_E0_NS1_11comp_targetILNS1_3genE10ELNS1_11target_archE1200ELNS1_3gpuE4ELNS1_3repE0EEENS1_30default_config_static_selectorELNS0_4arch9wavefront6targetE1EEEvSM_.private_seg_size, 0
	.set _ZN7rocprim17ROCPRIM_400000_NS6detail17trampoline_kernelINS0_14default_configENS1_22reduce_config_selectorIbEEZNS1_11reduce_implILb1ES3_N6hipcub16HIPCUB_304000_NS22TransformInputIteratorIb7NonZeroIfEPflEEPllNS8_6detail34convert_binary_result_type_wrapperINS8_3SumESD_lEEEE10hipError_tPvRmT1_T2_T3_mT4_P12ihipStream_tbEUlT_E0_NS1_11comp_targetILNS1_3genE10ELNS1_11target_archE1200ELNS1_3gpuE4ELNS1_3repE0EEENS1_30default_config_static_selectorELNS0_4arch9wavefront6targetE1EEEvSM_.uses_vcc, 0
	.set _ZN7rocprim17ROCPRIM_400000_NS6detail17trampoline_kernelINS0_14default_configENS1_22reduce_config_selectorIbEEZNS1_11reduce_implILb1ES3_N6hipcub16HIPCUB_304000_NS22TransformInputIteratorIb7NonZeroIfEPflEEPllNS8_6detail34convert_binary_result_type_wrapperINS8_3SumESD_lEEEE10hipError_tPvRmT1_T2_T3_mT4_P12ihipStream_tbEUlT_E0_NS1_11comp_targetILNS1_3genE10ELNS1_11target_archE1200ELNS1_3gpuE4ELNS1_3repE0EEENS1_30default_config_static_selectorELNS0_4arch9wavefront6targetE1EEEvSM_.uses_flat_scratch, 0
	.set _ZN7rocprim17ROCPRIM_400000_NS6detail17trampoline_kernelINS0_14default_configENS1_22reduce_config_selectorIbEEZNS1_11reduce_implILb1ES3_N6hipcub16HIPCUB_304000_NS22TransformInputIteratorIb7NonZeroIfEPflEEPllNS8_6detail34convert_binary_result_type_wrapperINS8_3SumESD_lEEEE10hipError_tPvRmT1_T2_T3_mT4_P12ihipStream_tbEUlT_E0_NS1_11comp_targetILNS1_3genE10ELNS1_11target_archE1200ELNS1_3gpuE4ELNS1_3repE0EEENS1_30default_config_static_selectorELNS0_4arch9wavefront6targetE1EEEvSM_.has_dyn_sized_stack, 0
	.set _ZN7rocprim17ROCPRIM_400000_NS6detail17trampoline_kernelINS0_14default_configENS1_22reduce_config_selectorIbEEZNS1_11reduce_implILb1ES3_N6hipcub16HIPCUB_304000_NS22TransformInputIteratorIb7NonZeroIfEPflEEPllNS8_6detail34convert_binary_result_type_wrapperINS8_3SumESD_lEEEE10hipError_tPvRmT1_T2_T3_mT4_P12ihipStream_tbEUlT_E0_NS1_11comp_targetILNS1_3genE10ELNS1_11target_archE1200ELNS1_3gpuE4ELNS1_3repE0EEENS1_30default_config_static_selectorELNS0_4arch9wavefront6targetE1EEEvSM_.has_recursion, 0
	.set _ZN7rocprim17ROCPRIM_400000_NS6detail17trampoline_kernelINS0_14default_configENS1_22reduce_config_selectorIbEEZNS1_11reduce_implILb1ES3_N6hipcub16HIPCUB_304000_NS22TransformInputIteratorIb7NonZeroIfEPflEEPllNS8_6detail34convert_binary_result_type_wrapperINS8_3SumESD_lEEEE10hipError_tPvRmT1_T2_T3_mT4_P12ihipStream_tbEUlT_E0_NS1_11comp_targetILNS1_3genE10ELNS1_11target_archE1200ELNS1_3gpuE4ELNS1_3repE0EEENS1_30default_config_static_selectorELNS0_4arch9wavefront6targetE1EEEvSM_.has_indirect_call, 0
	.section	.AMDGPU.csdata,"",@progbits
; Kernel info:
; codeLenInByte = 0
; TotalNumSgprs: 6
; NumVgprs: 0
; NumAgprs: 0
; TotalNumVgprs: 0
; ScratchSize: 0
; MemoryBound: 0
; FloatMode: 240
; IeeeMode: 1
; LDSByteSize: 0 bytes/workgroup (compile time only)
; SGPRBlocks: 0
; VGPRBlocks: 0
; NumSGPRsForWavesPerEU: 6
; NumVGPRsForWavesPerEU: 1
; AccumOffset: 4
; Occupancy: 8
; WaveLimiterHint : 0
; COMPUTE_PGM_RSRC2:SCRATCH_EN: 0
; COMPUTE_PGM_RSRC2:USER_SGPR: 2
; COMPUTE_PGM_RSRC2:TRAP_HANDLER: 0
; COMPUTE_PGM_RSRC2:TGID_X_EN: 1
; COMPUTE_PGM_RSRC2:TGID_Y_EN: 0
; COMPUTE_PGM_RSRC2:TGID_Z_EN: 0
; COMPUTE_PGM_RSRC2:TIDIG_COMP_CNT: 0
; COMPUTE_PGM_RSRC3_GFX90A:ACCUM_OFFSET: 0
; COMPUTE_PGM_RSRC3_GFX90A:TG_SPLIT: 0
	.section	.text._ZN7rocprim17ROCPRIM_400000_NS6detail17trampoline_kernelINS0_14default_configENS1_22reduce_config_selectorIbEEZNS1_11reduce_implILb1ES3_N6hipcub16HIPCUB_304000_NS22TransformInputIteratorIb7NonZeroIfEPflEEPllNS8_6detail34convert_binary_result_type_wrapperINS8_3SumESD_lEEEE10hipError_tPvRmT1_T2_T3_mT4_P12ihipStream_tbEUlT_E0_NS1_11comp_targetILNS1_3genE9ELNS1_11target_archE1100ELNS1_3gpuE3ELNS1_3repE0EEENS1_30default_config_static_selectorELNS0_4arch9wavefront6targetE1EEEvSM_,"axG",@progbits,_ZN7rocprim17ROCPRIM_400000_NS6detail17trampoline_kernelINS0_14default_configENS1_22reduce_config_selectorIbEEZNS1_11reduce_implILb1ES3_N6hipcub16HIPCUB_304000_NS22TransformInputIteratorIb7NonZeroIfEPflEEPllNS8_6detail34convert_binary_result_type_wrapperINS8_3SumESD_lEEEE10hipError_tPvRmT1_T2_T3_mT4_P12ihipStream_tbEUlT_E0_NS1_11comp_targetILNS1_3genE9ELNS1_11target_archE1100ELNS1_3gpuE3ELNS1_3repE0EEENS1_30default_config_static_selectorELNS0_4arch9wavefront6targetE1EEEvSM_,comdat
	.protected	_ZN7rocprim17ROCPRIM_400000_NS6detail17trampoline_kernelINS0_14default_configENS1_22reduce_config_selectorIbEEZNS1_11reduce_implILb1ES3_N6hipcub16HIPCUB_304000_NS22TransformInputIteratorIb7NonZeroIfEPflEEPllNS8_6detail34convert_binary_result_type_wrapperINS8_3SumESD_lEEEE10hipError_tPvRmT1_T2_T3_mT4_P12ihipStream_tbEUlT_E0_NS1_11comp_targetILNS1_3genE9ELNS1_11target_archE1100ELNS1_3gpuE3ELNS1_3repE0EEENS1_30default_config_static_selectorELNS0_4arch9wavefront6targetE1EEEvSM_ ; -- Begin function _ZN7rocprim17ROCPRIM_400000_NS6detail17trampoline_kernelINS0_14default_configENS1_22reduce_config_selectorIbEEZNS1_11reduce_implILb1ES3_N6hipcub16HIPCUB_304000_NS22TransformInputIteratorIb7NonZeroIfEPflEEPllNS8_6detail34convert_binary_result_type_wrapperINS8_3SumESD_lEEEE10hipError_tPvRmT1_T2_T3_mT4_P12ihipStream_tbEUlT_E0_NS1_11comp_targetILNS1_3genE9ELNS1_11target_archE1100ELNS1_3gpuE3ELNS1_3repE0EEENS1_30default_config_static_selectorELNS0_4arch9wavefront6targetE1EEEvSM_
	.globl	_ZN7rocprim17ROCPRIM_400000_NS6detail17trampoline_kernelINS0_14default_configENS1_22reduce_config_selectorIbEEZNS1_11reduce_implILb1ES3_N6hipcub16HIPCUB_304000_NS22TransformInputIteratorIb7NonZeroIfEPflEEPllNS8_6detail34convert_binary_result_type_wrapperINS8_3SumESD_lEEEE10hipError_tPvRmT1_T2_T3_mT4_P12ihipStream_tbEUlT_E0_NS1_11comp_targetILNS1_3genE9ELNS1_11target_archE1100ELNS1_3gpuE3ELNS1_3repE0EEENS1_30default_config_static_selectorELNS0_4arch9wavefront6targetE1EEEvSM_
	.p2align	8
	.type	_ZN7rocprim17ROCPRIM_400000_NS6detail17trampoline_kernelINS0_14default_configENS1_22reduce_config_selectorIbEEZNS1_11reduce_implILb1ES3_N6hipcub16HIPCUB_304000_NS22TransformInputIteratorIb7NonZeroIfEPflEEPllNS8_6detail34convert_binary_result_type_wrapperINS8_3SumESD_lEEEE10hipError_tPvRmT1_T2_T3_mT4_P12ihipStream_tbEUlT_E0_NS1_11comp_targetILNS1_3genE9ELNS1_11target_archE1100ELNS1_3gpuE3ELNS1_3repE0EEENS1_30default_config_static_selectorELNS0_4arch9wavefront6targetE1EEEvSM_,@function
_ZN7rocprim17ROCPRIM_400000_NS6detail17trampoline_kernelINS0_14default_configENS1_22reduce_config_selectorIbEEZNS1_11reduce_implILb1ES3_N6hipcub16HIPCUB_304000_NS22TransformInputIteratorIb7NonZeroIfEPflEEPllNS8_6detail34convert_binary_result_type_wrapperINS8_3SumESD_lEEEE10hipError_tPvRmT1_T2_T3_mT4_P12ihipStream_tbEUlT_E0_NS1_11comp_targetILNS1_3genE9ELNS1_11target_archE1100ELNS1_3gpuE3ELNS1_3repE0EEENS1_30default_config_static_selectorELNS0_4arch9wavefront6targetE1EEEvSM_: ; @_ZN7rocprim17ROCPRIM_400000_NS6detail17trampoline_kernelINS0_14default_configENS1_22reduce_config_selectorIbEEZNS1_11reduce_implILb1ES3_N6hipcub16HIPCUB_304000_NS22TransformInputIteratorIb7NonZeroIfEPflEEPllNS8_6detail34convert_binary_result_type_wrapperINS8_3SumESD_lEEEE10hipError_tPvRmT1_T2_T3_mT4_P12ihipStream_tbEUlT_E0_NS1_11comp_targetILNS1_3genE9ELNS1_11target_archE1100ELNS1_3gpuE3ELNS1_3repE0EEENS1_30default_config_static_selectorELNS0_4arch9wavefront6targetE1EEEvSM_
; %bb.0:
	.section	.rodata,"a",@progbits
	.p2align	6, 0x0
	.amdhsa_kernel _ZN7rocprim17ROCPRIM_400000_NS6detail17trampoline_kernelINS0_14default_configENS1_22reduce_config_selectorIbEEZNS1_11reduce_implILb1ES3_N6hipcub16HIPCUB_304000_NS22TransformInputIteratorIb7NonZeroIfEPflEEPllNS8_6detail34convert_binary_result_type_wrapperINS8_3SumESD_lEEEE10hipError_tPvRmT1_T2_T3_mT4_P12ihipStream_tbEUlT_E0_NS1_11comp_targetILNS1_3genE9ELNS1_11target_archE1100ELNS1_3gpuE3ELNS1_3repE0EEENS1_30default_config_static_selectorELNS0_4arch9wavefront6targetE1EEEvSM_
		.amdhsa_group_segment_fixed_size 0
		.amdhsa_private_segment_fixed_size 0
		.amdhsa_kernarg_size 72
		.amdhsa_user_sgpr_count 2
		.amdhsa_user_sgpr_dispatch_ptr 0
		.amdhsa_user_sgpr_queue_ptr 0
		.amdhsa_user_sgpr_kernarg_segment_ptr 1
		.amdhsa_user_sgpr_dispatch_id 0
		.amdhsa_user_sgpr_kernarg_preload_length 0
		.amdhsa_user_sgpr_kernarg_preload_offset 0
		.amdhsa_user_sgpr_private_segment_size 0
		.amdhsa_uses_dynamic_stack 0
		.amdhsa_enable_private_segment 0
		.amdhsa_system_sgpr_workgroup_id_x 1
		.amdhsa_system_sgpr_workgroup_id_y 0
		.amdhsa_system_sgpr_workgroup_id_z 0
		.amdhsa_system_sgpr_workgroup_info 0
		.amdhsa_system_vgpr_workitem_id 0
		.amdhsa_next_free_vgpr 1
		.amdhsa_next_free_sgpr 0
		.amdhsa_accum_offset 4
		.amdhsa_reserve_vcc 0
		.amdhsa_float_round_mode_32 0
		.amdhsa_float_round_mode_16_64 0
		.amdhsa_float_denorm_mode_32 3
		.amdhsa_float_denorm_mode_16_64 3
		.amdhsa_dx10_clamp 1
		.amdhsa_ieee_mode 1
		.amdhsa_fp16_overflow 0
		.amdhsa_tg_split 0
		.amdhsa_exception_fp_ieee_invalid_op 0
		.amdhsa_exception_fp_denorm_src 0
		.amdhsa_exception_fp_ieee_div_zero 0
		.amdhsa_exception_fp_ieee_overflow 0
		.amdhsa_exception_fp_ieee_underflow 0
		.amdhsa_exception_fp_ieee_inexact 0
		.amdhsa_exception_int_div_zero 0
	.end_amdhsa_kernel
	.section	.text._ZN7rocprim17ROCPRIM_400000_NS6detail17trampoline_kernelINS0_14default_configENS1_22reduce_config_selectorIbEEZNS1_11reduce_implILb1ES3_N6hipcub16HIPCUB_304000_NS22TransformInputIteratorIb7NonZeroIfEPflEEPllNS8_6detail34convert_binary_result_type_wrapperINS8_3SumESD_lEEEE10hipError_tPvRmT1_T2_T3_mT4_P12ihipStream_tbEUlT_E0_NS1_11comp_targetILNS1_3genE9ELNS1_11target_archE1100ELNS1_3gpuE3ELNS1_3repE0EEENS1_30default_config_static_selectorELNS0_4arch9wavefront6targetE1EEEvSM_,"axG",@progbits,_ZN7rocprim17ROCPRIM_400000_NS6detail17trampoline_kernelINS0_14default_configENS1_22reduce_config_selectorIbEEZNS1_11reduce_implILb1ES3_N6hipcub16HIPCUB_304000_NS22TransformInputIteratorIb7NonZeroIfEPflEEPllNS8_6detail34convert_binary_result_type_wrapperINS8_3SumESD_lEEEE10hipError_tPvRmT1_T2_T3_mT4_P12ihipStream_tbEUlT_E0_NS1_11comp_targetILNS1_3genE9ELNS1_11target_archE1100ELNS1_3gpuE3ELNS1_3repE0EEENS1_30default_config_static_selectorELNS0_4arch9wavefront6targetE1EEEvSM_,comdat
.Lfunc_end242:
	.size	_ZN7rocprim17ROCPRIM_400000_NS6detail17trampoline_kernelINS0_14default_configENS1_22reduce_config_selectorIbEEZNS1_11reduce_implILb1ES3_N6hipcub16HIPCUB_304000_NS22TransformInputIteratorIb7NonZeroIfEPflEEPllNS8_6detail34convert_binary_result_type_wrapperINS8_3SumESD_lEEEE10hipError_tPvRmT1_T2_T3_mT4_P12ihipStream_tbEUlT_E0_NS1_11comp_targetILNS1_3genE9ELNS1_11target_archE1100ELNS1_3gpuE3ELNS1_3repE0EEENS1_30default_config_static_selectorELNS0_4arch9wavefront6targetE1EEEvSM_, .Lfunc_end242-_ZN7rocprim17ROCPRIM_400000_NS6detail17trampoline_kernelINS0_14default_configENS1_22reduce_config_selectorIbEEZNS1_11reduce_implILb1ES3_N6hipcub16HIPCUB_304000_NS22TransformInputIteratorIb7NonZeroIfEPflEEPllNS8_6detail34convert_binary_result_type_wrapperINS8_3SumESD_lEEEE10hipError_tPvRmT1_T2_T3_mT4_P12ihipStream_tbEUlT_E0_NS1_11comp_targetILNS1_3genE9ELNS1_11target_archE1100ELNS1_3gpuE3ELNS1_3repE0EEENS1_30default_config_static_selectorELNS0_4arch9wavefront6targetE1EEEvSM_
                                        ; -- End function
	.set _ZN7rocprim17ROCPRIM_400000_NS6detail17trampoline_kernelINS0_14default_configENS1_22reduce_config_selectorIbEEZNS1_11reduce_implILb1ES3_N6hipcub16HIPCUB_304000_NS22TransformInputIteratorIb7NonZeroIfEPflEEPllNS8_6detail34convert_binary_result_type_wrapperINS8_3SumESD_lEEEE10hipError_tPvRmT1_T2_T3_mT4_P12ihipStream_tbEUlT_E0_NS1_11comp_targetILNS1_3genE9ELNS1_11target_archE1100ELNS1_3gpuE3ELNS1_3repE0EEENS1_30default_config_static_selectorELNS0_4arch9wavefront6targetE1EEEvSM_.num_vgpr, 0
	.set _ZN7rocprim17ROCPRIM_400000_NS6detail17trampoline_kernelINS0_14default_configENS1_22reduce_config_selectorIbEEZNS1_11reduce_implILb1ES3_N6hipcub16HIPCUB_304000_NS22TransformInputIteratorIb7NonZeroIfEPflEEPllNS8_6detail34convert_binary_result_type_wrapperINS8_3SumESD_lEEEE10hipError_tPvRmT1_T2_T3_mT4_P12ihipStream_tbEUlT_E0_NS1_11comp_targetILNS1_3genE9ELNS1_11target_archE1100ELNS1_3gpuE3ELNS1_3repE0EEENS1_30default_config_static_selectorELNS0_4arch9wavefront6targetE1EEEvSM_.num_agpr, 0
	.set _ZN7rocprim17ROCPRIM_400000_NS6detail17trampoline_kernelINS0_14default_configENS1_22reduce_config_selectorIbEEZNS1_11reduce_implILb1ES3_N6hipcub16HIPCUB_304000_NS22TransformInputIteratorIb7NonZeroIfEPflEEPllNS8_6detail34convert_binary_result_type_wrapperINS8_3SumESD_lEEEE10hipError_tPvRmT1_T2_T3_mT4_P12ihipStream_tbEUlT_E0_NS1_11comp_targetILNS1_3genE9ELNS1_11target_archE1100ELNS1_3gpuE3ELNS1_3repE0EEENS1_30default_config_static_selectorELNS0_4arch9wavefront6targetE1EEEvSM_.numbered_sgpr, 0
	.set _ZN7rocprim17ROCPRIM_400000_NS6detail17trampoline_kernelINS0_14default_configENS1_22reduce_config_selectorIbEEZNS1_11reduce_implILb1ES3_N6hipcub16HIPCUB_304000_NS22TransformInputIteratorIb7NonZeroIfEPflEEPllNS8_6detail34convert_binary_result_type_wrapperINS8_3SumESD_lEEEE10hipError_tPvRmT1_T2_T3_mT4_P12ihipStream_tbEUlT_E0_NS1_11comp_targetILNS1_3genE9ELNS1_11target_archE1100ELNS1_3gpuE3ELNS1_3repE0EEENS1_30default_config_static_selectorELNS0_4arch9wavefront6targetE1EEEvSM_.num_named_barrier, 0
	.set _ZN7rocprim17ROCPRIM_400000_NS6detail17trampoline_kernelINS0_14default_configENS1_22reduce_config_selectorIbEEZNS1_11reduce_implILb1ES3_N6hipcub16HIPCUB_304000_NS22TransformInputIteratorIb7NonZeroIfEPflEEPllNS8_6detail34convert_binary_result_type_wrapperINS8_3SumESD_lEEEE10hipError_tPvRmT1_T2_T3_mT4_P12ihipStream_tbEUlT_E0_NS1_11comp_targetILNS1_3genE9ELNS1_11target_archE1100ELNS1_3gpuE3ELNS1_3repE0EEENS1_30default_config_static_selectorELNS0_4arch9wavefront6targetE1EEEvSM_.private_seg_size, 0
	.set _ZN7rocprim17ROCPRIM_400000_NS6detail17trampoline_kernelINS0_14default_configENS1_22reduce_config_selectorIbEEZNS1_11reduce_implILb1ES3_N6hipcub16HIPCUB_304000_NS22TransformInputIteratorIb7NonZeroIfEPflEEPllNS8_6detail34convert_binary_result_type_wrapperINS8_3SumESD_lEEEE10hipError_tPvRmT1_T2_T3_mT4_P12ihipStream_tbEUlT_E0_NS1_11comp_targetILNS1_3genE9ELNS1_11target_archE1100ELNS1_3gpuE3ELNS1_3repE0EEENS1_30default_config_static_selectorELNS0_4arch9wavefront6targetE1EEEvSM_.uses_vcc, 0
	.set _ZN7rocprim17ROCPRIM_400000_NS6detail17trampoline_kernelINS0_14default_configENS1_22reduce_config_selectorIbEEZNS1_11reduce_implILb1ES3_N6hipcub16HIPCUB_304000_NS22TransformInputIteratorIb7NonZeroIfEPflEEPllNS8_6detail34convert_binary_result_type_wrapperINS8_3SumESD_lEEEE10hipError_tPvRmT1_T2_T3_mT4_P12ihipStream_tbEUlT_E0_NS1_11comp_targetILNS1_3genE9ELNS1_11target_archE1100ELNS1_3gpuE3ELNS1_3repE0EEENS1_30default_config_static_selectorELNS0_4arch9wavefront6targetE1EEEvSM_.uses_flat_scratch, 0
	.set _ZN7rocprim17ROCPRIM_400000_NS6detail17trampoline_kernelINS0_14default_configENS1_22reduce_config_selectorIbEEZNS1_11reduce_implILb1ES3_N6hipcub16HIPCUB_304000_NS22TransformInputIteratorIb7NonZeroIfEPflEEPllNS8_6detail34convert_binary_result_type_wrapperINS8_3SumESD_lEEEE10hipError_tPvRmT1_T2_T3_mT4_P12ihipStream_tbEUlT_E0_NS1_11comp_targetILNS1_3genE9ELNS1_11target_archE1100ELNS1_3gpuE3ELNS1_3repE0EEENS1_30default_config_static_selectorELNS0_4arch9wavefront6targetE1EEEvSM_.has_dyn_sized_stack, 0
	.set _ZN7rocprim17ROCPRIM_400000_NS6detail17trampoline_kernelINS0_14default_configENS1_22reduce_config_selectorIbEEZNS1_11reduce_implILb1ES3_N6hipcub16HIPCUB_304000_NS22TransformInputIteratorIb7NonZeroIfEPflEEPllNS8_6detail34convert_binary_result_type_wrapperINS8_3SumESD_lEEEE10hipError_tPvRmT1_T2_T3_mT4_P12ihipStream_tbEUlT_E0_NS1_11comp_targetILNS1_3genE9ELNS1_11target_archE1100ELNS1_3gpuE3ELNS1_3repE0EEENS1_30default_config_static_selectorELNS0_4arch9wavefront6targetE1EEEvSM_.has_recursion, 0
	.set _ZN7rocprim17ROCPRIM_400000_NS6detail17trampoline_kernelINS0_14default_configENS1_22reduce_config_selectorIbEEZNS1_11reduce_implILb1ES3_N6hipcub16HIPCUB_304000_NS22TransformInputIteratorIb7NonZeroIfEPflEEPllNS8_6detail34convert_binary_result_type_wrapperINS8_3SumESD_lEEEE10hipError_tPvRmT1_T2_T3_mT4_P12ihipStream_tbEUlT_E0_NS1_11comp_targetILNS1_3genE9ELNS1_11target_archE1100ELNS1_3gpuE3ELNS1_3repE0EEENS1_30default_config_static_selectorELNS0_4arch9wavefront6targetE1EEEvSM_.has_indirect_call, 0
	.section	.AMDGPU.csdata,"",@progbits
; Kernel info:
; codeLenInByte = 0
; TotalNumSgprs: 6
; NumVgprs: 0
; NumAgprs: 0
; TotalNumVgprs: 0
; ScratchSize: 0
; MemoryBound: 0
; FloatMode: 240
; IeeeMode: 1
; LDSByteSize: 0 bytes/workgroup (compile time only)
; SGPRBlocks: 0
; VGPRBlocks: 0
; NumSGPRsForWavesPerEU: 6
; NumVGPRsForWavesPerEU: 1
; AccumOffset: 4
; Occupancy: 8
; WaveLimiterHint : 0
; COMPUTE_PGM_RSRC2:SCRATCH_EN: 0
; COMPUTE_PGM_RSRC2:USER_SGPR: 2
; COMPUTE_PGM_RSRC2:TRAP_HANDLER: 0
; COMPUTE_PGM_RSRC2:TGID_X_EN: 1
; COMPUTE_PGM_RSRC2:TGID_Y_EN: 0
; COMPUTE_PGM_RSRC2:TGID_Z_EN: 0
; COMPUTE_PGM_RSRC2:TIDIG_COMP_CNT: 0
; COMPUTE_PGM_RSRC3_GFX90A:ACCUM_OFFSET: 0
; COMPUTE_PGM_RSRC3_GFX90A:TG_SPLIT: 0
	.section	.text._ZN7rocprim17ROCPRIM_400000_NS6detail17trampoline_kernelINS0_14default_configENS1_22reduce_config_selectorIbEEZNS1_11reduce_implILb1ES3_N6hipcub16HIPCUB_304000_NS22TransformInputIteratorIb7NonZeroIfEPflEEPllNS8_6detail34convert_binary_result_type_wrapperINS8_3SumESD_lEEEE10hipError_tPvRmT1_T2_T3_mT4_P12ihipStream_tbEUlT_E0_NS1_11comp_targetILNS1_3genE8ELNS1_11target_archE1030ELNS1_3gpuE2ELNS1_3repE0EEENS1_30default_config_static_selectorELNS0_4arch9wavefront6targetE1EEEvSM_,"axG",@progbits,_ZN7rocprim17ROCPRIM_400000_NS6detail17trampoline_kernelINS0_14default_configENS1_22reduce_config_selectorIbEEZNS1_11reduce_implILb1ES3_N6hipcub16HIPCUB_304000_NS22TransformInputIteratorIb7NonZeroIfEPflEEPllNS8_6detail34convert_binary_result_type_wrapperINS8_3SumESD_lEEEE10hipError_tPvRmT1_T2_T3_mT4_P12ihipStream_tbEUlT_E0_NS1_11comp_targetILNS1_3genE8ELNS1_11target_archE1030ELNS1_3gpuE2ELNS1_3repE0EEENS1_30default_config_static_selectorELNS0_4arch9wavefront6targetE1EEEvSM_,comdat
	.protected	_ZN7rocprim17ROCPRIM_400000_NS6detail17trampoline_kernelINS0_14default_configENS1_22reduce_config_selectorIbEEZNS1_11reduce_implILb1ES3_N6hipcub16HIPCUB_304000_NS22TransformInputIteratorIb7NonZeroIfEPflEEPllNS8_6detail34convert_binary_result_type_wrapperINS8_3SumESD_lEEEE10hipError_tPvRmT1_T2_T3_mT4_P12ihipStream_tbEUlT_E0_NS1_11comp_targetILNS1_3genE8ELNS1_11target_archE1030ELNS1_3gpuE2ELNS1_3repE0EEENS1_30default_config_static_selectorELNS0_4arch9wavefront6targetE1EEEvSM_ ; -- Begin function _ZN7rocprim17ROCPRIM_400000_NS6detail17trampoline_kernelINS0_14default_configENS1_22reduce_config_selectorIbEEZNS1_11reduce_implILb1ES3_N6hipcub16HIPCUB_304000_NS22TransformInputIteratorIb7NonZeroIfEPflEEPllNS8_6detail34convert_binary_result_type_wrapperINS8_3SumESD_lEEEE10hipError_tPvRmT1_T2_T3_mT4_P12ihipStream_tbEUlT_E0_NS1_11comp_targetILNS1_3genE8ELNS1_11target_archE1030ELNS1_3gpuE2ELNS1_3repE0EEENS1_30default_config_static_selectorELNS0_4arch9wavefront6targetE1EEEvSM_
	.globl	_ZN7rocprim17ROCPRIM_400000_NS6detail17trampoline_kernelINS0_14default_configENS1_22reduce_config_selectorIbEEZNS1_11reduce_implILb1ES3_N6hipcub16HIPCUB_304000_NS22TransformInputIteratorIb7NonZeroIfEPflEEPllNS8_6detail34convert_binary_result_type_wrapperINS8_3SumESD_lEEEE10hipError_tPvRmT1_T2_T3_mT4_P12ihipStream_tbEUlT_E0_NS1_11comp_targetILNS1_3genE8ELNS1_11target_archE1030ELNS1_3gpuE2ELNS1_3repE0EEENS1_30default_config_static_selectorELNS0_4arch9wavefront6targetE1EEEvSM_
	.p2align	8
	.type	_ZN7rocprim17ROCPRIM_400000_NS6detail17trampoline_kernelINS0_14default_configENS1_22reduce_config_selectorIbEEZNS1_11reduce_implILb1ES3_N6hipcub16HIPCUB_304000_NS22TransformInputIteratorIb7NonZeroIfEPflEEPllNS8_6detail34convert_binary_result_type_wrapperINS8_3SumESD_lEEEE10hipError_tPvRmT1_T2_T3_mT4_P12ihipStream_tbEUlT_E0_NS1_11comp_targetILNS1_3genE8ELNS1_11target_archE1030ELNS1_3gpuE2ELNS1_3repE0EEENS1_30default_config_static_selectorELNS0_4arch9wavefront6targetE1EEEvSM_,@function
_ZN7rocprim17ROCPRIM_400000_NS6detail17trampoline_kernelINS0_14default_configENS1_22reduce_config_selectorIbEEZNS1_11reduce_implILb1ES3_N6hipcub16HIPCUB_304000_NS22TransformInputIteratorIb7NonZeroIfEPflEEPllNS8_6detail34convert_binary_result_type_wrapperINS8_3SumESD_lEEEE10hipError_tPvRmT1_T2_T3_mT4_P12ihipStream_tbEUlT_E0_NS1_11comp_targetILNS1_3genE8ELNS1_11target_archE1030ELNS1_3gpuE2ELNS1_3repE0EEENS1_30default_config_static_selectorELNS0_4arch9wavefront6targetE1EEEvSM_: ; @_ZN7rocprim17ROCPRIM_400000_NS6detail17trampoline_kernelINS0_14default_configENS1_22reduce_config_selectorIbEEZNS1_11reduce_implILb1ES3_N6hipcub16HIPCUB_304000_NS22TransformInputIteratorIb7NonZeroIfEPflEEPllNS8_6detail34convert_binary_result_type_wrapperINS8_3SumESD_lEEEE10hipError_tPvRmT1_T2_T3_mT4_P12ihipStream_tbEUlT_E0_NS1_11comp_targetILNS1_3genE8ELNS1_11target_archE1030ELNS1_3gpuE2ELNS1_3repE0EEENS1_30default_config_static_selectorELNS0_4arch9wavefront6targetE1EEEvSM_
; %bb.0:
	.section	.rodata,"a",@progbits
	.p2align	6, 0x0
	.amdhsa_kernel _ZN7rocprim17ROCPRIM_400000_NS6detail17trampoline_kernelINS0_14default_configENS1_22reduce_config_selectorIbEEZNS1_11reduce_implILb1ES3_N6hipcub16HIPCUB_304000_NS22TransformInputIteratorIb7NonZeroIfEPflEEPllNS8_6detail34convert_binary_result_type_wrapperINS8_3SumESD_lEEEE10hipError_tPvRmT1_T2_T3_mT4_P12ihipStream_tbEUlT_E0_NS1_11comp_targetILNS1_3genE8ELNS1_11target_archE1030ELNS1_3gpuE2ELNS1_3repE0EEENS1_30default_config_static_selectorELNS0_4arch9wavefront6targetE1EEEvSM_
		.amdhsa_group_segment_fixed_size 0
		.amdhsa_private_segment_fixed_size 0
		.amdhsa_kernarg_size 72
		.amdhsa_user_sgpr_count 2
		.amdhsa_user_sgpr_dispatch_ptr 0
		.amdhsa_user_sgpr_queue_ptr 0
		.amdhsa_user_sgpr_kernarg_segment_ptr 1
		.amdhsa_user_sgpr_dispatch_id 0
		.amdhsa_user_sgpr_kernarg_preload_length 0
		.amdhsa_user_sgpr_kernarg_preload_offset 0
		.amdhsa_user_sgpr_private_segment_size 0
		.amdhsa_uses_dynamic_stack 0
		.amdhsa_enable_private_segment 0
		.amdhsa_system_sgpr_workgroup_id_x 1
		.amdhsa_system_sgpr_workgroup_id_y 0
		.amdhsa_system_sgpr_workgroup_id_z 0
		.amdhsa_system_sgpr_workgroup_info 0
		.amdhsa_system_vgpr_workitem_id 0
		.amdhsa_next_free_vgpr 1
		.amdhsa_next_free_sgpr 0
		.amdhsa_accum_offset 4
		.amdhsa_reserve_vcc 0
		.amdhsa_float_round_mode_32 0
		.amdhsa_float_round_mode_16_64 0
		.amdhsa_float_denorm_mode_32 3
		.amdhsa_float_denorm_mode_16_64 3
		.amdhsa_dx10_clamp 1
		.amdhsa_ieee_mode 1
		.amdhsa_fp16_overflow 0
		.amdhsa_tg_split 0
		.amdhsa_exception_fp_ieee_invalid_op 0
		.amdhsa_exception_fp_denorm_src 0
		.amdhsa_exception_fp_ieee_div_zero 0
		.amdhsa_exception_fp_ieee_overflow 0
		.amdhsa_exception_fp_ieee_underflow 0
		.amdhsa_exception_fp_ieee_inexact 0
		.amdhsa_exception_int_div_zero 0
	.end_amdhsa_kernel
	.section	.text._ZN7rocprim17ROCPRIM_400000_NS6detail17trampoline_kernelINS0_14default_configENS1_22reduce_config_selectorIbEEZNS1_11reduce_implILb1ES3_N6hipcub16HIPCUB_304000_NS22TransformInputIteratorIb7NonZeroIfEPflEEPllNS8_6detail34convert_binary_result_type_wrapperINS8_3SumESD_lEEEE10hipError_tPvRmT1_T2_T3_mT4_P12ihipStream_tbEUlT_E0_NS1_11comp_targetILNS1_3genE8ELNS1_11target_archE1030ELNS1_3gpuE2ELNS1_3repE0EEENS1_30default_config_static_selectorELNS0_4arch9wavefront6targetE1EEEvSM_,"axG",@progbits,_ZN7rocprim17ROCPRIM_400000_NS6detail17trampoline_kernelINS0_14default_configENS1_22reduce_config_selectorIbEEZNS1_11reduce_implILb1ES3_N6hipcub16HIPCUB_304000_NS22TransformInputIteratorIb7NonZeroIfEPflEEPllNS8_6detail34convert_binary_result_type_wrapperINS8_3SumESD_lEEEE10hipError_tPvRmT1_T2_T3_mT4_P12ihipStream_tbEUlT_E0_NS1_11comp_targetILNS1_3genE8ELNS1_11target_archE1030ELNS1_3gpuE2ELNS1_3repE0EEENS1_30default_config_static_selectorELNS0_4arch9wavefront6targetE1EEEvSM_,comdat
.Lfunc_end243:
	.size	_ZN7rocprim17ROCPRIM_400000_NS6detail17trampoline_kernelINS0_14default_configENS1_22reduce_config_selectorIbEEZNS1_11reduce_implILb1ES3_N6hipcub16HIPCUB_304000_NS22TransformInputIteratorIb7NonZeroIfEPflEEPllNS8_6detail34convert_binary_result_type_wrapperINS8_3SumESD_lEEEE10hipError_tPvRmT1_T2_T3_mT4_P12ihipStream_tbEUlT_E0_NS1_11comp_targetILNS1_3genE8ELNS1_11target_archE1030ELNS1_3gpuE2ELNS1_3repE0EEENS1_30default_config_static_selectorELNS0_4arch9wavefront6targetE1EEEvSM_, .Lfunc_end243-_ZN7rocprim17ROCPRIM_400000_NS6detail17trampoline_kernelINS0_14default_configENS1_22reduce_config_selectorIbEEZNS1_11reduce_implILb1ES3_N6hipcub16HIPCUB_304000_NS22TransformInputIteratorIb7NonZeroIfEPflEEPllNS8_6detail34convert_binary_result_type_wrapperINS8_3SumESD_lEEEE10hipError_tPvRmT1_T2_T3_mT4_P12ihipStream_tbEUlT_E0_NS1_11comp_targetILNS1_3genE8ELNS1_11target_archE1030ELNS1_3gpuE2ELNS1_3repE0EEENS1_30default_config_static_selectorELNS0_4arch9wavefront6targetE1EEEvSM_
                                        ; -- End function
	.set _ZN7rocprim17ROCPRIM_400000_NS6detail17trampoline_kernelINS0_14default_configENS1_22reduce_config_selectorIbEEZNS1_11reduce_implILb1ES3_N6hipcub16HIPCUB_304000_NS22TransformInputIteratorIb7NonZeroIfEPflEEPllNS8_6detail34convert_binary_result_type_wrapperINS8_3SumESD_lEEEE10hipError_tPvRmT1_T2_T3_mT4_P12ihipStream_tbEUlT_E0_NS1_11comp_targetILNS1_3genE8ELNS1_11target_archE1030ELNS1_3gpuE2ELNS1_3repE0EEENS1_30default_config_static_selectorELNS0_4arch9wavefront6targetE1EEEvSM_.num_vgpr, 0
	.set _ZN7rocprim17ROCPRIM_400000_NS6detail17trampoline_kernelINS0_14default_configENS1_22reduce_config_selectorIbEEZNS1_11reduce_implILb1ES3_N6hipcub16HIPCUB_304000_NS22TransformInputIteratorIb7NonZeroIfEPflEEPllNS8_6detail34convert_binary_result_type_wrapperINS8_3SumESD_lEEEE10hipError_tPvRmT1_T2_T3_mT4_P12ihipStream_tbEUlT_E0_NS1_11comp_targetILNS1_3genE8ELNS1_11target_archE1030ELNS1_3gpuE2ELNS1_3repE0EEENS1_30default_config_static_selectorELNS0_4arch9wavefront6targetE1EEEvSM_.num_agpr, 0
	.set _ZN7rocprim17ROCPRIM_400000_NS6detail17trampoline_kernelINS0_14default_configENS1_22reduce_config_selectorIbEEZNS1_11reduce_implILb1ES3_N6hipcub16HIPCUB_304000_NS22TransformInputIteratorIb7NonZeroIfEPflEEPllNS8_6detail34convert_binary_result_type_wrapperINS8_3SumESD_lEEEE10hipError_tPvRmT1_T2_T3_mT4_P12ihipStream_tbEUlT_E0_NS1_11comp_targetILNS1_3genE8ELNS1_11target_archE1030ELNS1_3gpuE2ELNS1_3repE0EEENS1_30default_config_static_selectorELNS0_4arch9wavefront6targetE1EEEvSM_.numbered_sgpr, 0
	.set _ZN7rocprim17ROCPRIM_400000_NS6detail17trampoline_kernelINS0_14default_configENS1_22reduce_config_selectorIbEEZNS1_11reduce_implILb1ES3_N6hipcub16HIPCUB_304000_NS22TransformInputIteratorIb7NonZeroIfEPflEEPllNS8_6detail34convert_binary_result_type_wrapperINS8_3SumESD_lEEEE10hipError_tPvRmT1_T2_T3_mT4_P12ihipStream_tbEUlT_E0_NS1_11comp_targetILNS1_3genE8ELNS1_11target_archE1030ELNS1_3gpuE2ELNS1_3repE0EEENS1_30default_config_static_selectorELNS0_4arch9wavefront6targetE1EEEvSM_.num_named_barrier, 0
	.set _ZN7rocprim17ROCPRIM_400000_NS6detail17trampoline_kernelINS0_14default_configENS1_22reduce_config_selectorIbEEZNS1_11reduce_implILb1ES3_N6hipcub16HIPCUB_304000_NS22TransformInputIteratorIb7NonZeroIfEPflEEPllNS8_6detail34convert_binary_result_type_wrapperINS8_3SumESD_lEEEE10hipError_tPvRmT1_T2_T3_mT4_P12ihipStream_tbEUlT_E0_NS1_11comp_targetILNS1_3genE8ELNS1_11target_archE1030ELNS1_3gpuE2ELNS1_3repE0EEENS1_30default_config_static_selectorELNS0_4arch9wavefront6targetE1EEEvSM_.private_seg_size, 0
	.set _ZN7rocprim17ROCPRIM_400000_NS6detail17trampoline_kernelINS0_14default_configENS1_22reduce_config_selectorIbEEZNS1_11reduce_implILb1ES3_N6hipcub16HIPCUB_304000_NS22TransformInputIteratorIb7NonZeroIfEPflEEPllNS8_6detail34convert_binary_result_type_wrapperINS8_3SumESD_lEEEE10hipError_tPvRmT1_T2_T3_mT4_P12ihipStream_tbEUlT_E0_NS1_11comp_targetILNS1_3genE8ELNS1_11target_archE1030ELNS1_3gpuE2ELNS1_3repE0EEENS1_30default_config_static_selectorELNS0_4arch9wavefront6targetE1EEEvSM_.uses_vcc, 0
	.set _ZN7rocprim17ROCPRIM_400000_NS6detail17trampoline_kernelINS0_14default_configENS1_22reduce_config_selectorIbEEZNS1_11reduce_implILb1ES3_N6hipcub16HIPCUB_304000_NS22TransformInputIteratorIb7NonZeroIfEPflEEPllNS8_6detail34convert_binary_result_type_wrapperINS8_3SumESD_lEEEE10hipError_tPvRmT1_T2_T3_mT4_P12ihipStream_tbEUlT_E0_NS1_11comp_targetILNS1_3genE8ELNS1_11target_archE1030ELNS1_3gpuE2ELNS1_3repE0EEENS1_30default_config_static_selectorELNS0_4arch9wavefront6targetE1EEEvSM_.uses_flat_scratch, 0
	.set _ZN7rocprim17ROCPRIM_400000_NS6detail17trampoline_kernelINS0_14default_configENS1_22reduce_config_selectorIbEEZNS1_11reduce_implILb1ES3_N6hipcub16HIPCUB_304000_NS22TransformInputIteratorIb7NonZeroIfEPflEEPllNS8_6detail34convert_binary_result_type_wrapperINS8_3SumESD_lEEEE10hipError_tPvRmT1_T2_T3_mT4_P12ihipStream_tbEUlT_E0_NS1_11comp_targetILNS1_3genE8ELNS1_11target_archE1030ELNS1_3gpuE2ELNS1_3repE0EEENS1_30default_config_static_selectorELNS0_4arch9wavefront6targetE1EEEvSM_.has_dyn_sized_stack, 0
	.set _ZN7rocprim17ROCPRIM_400000_NS6detail17trampoline_kernelINS0_14default_configENS1_22reduce_config_selectorIbEEZNS1_11reduce_implILb1ES3_N6hipcub16HIPCUB_304000_NS22TransformInputIteratorIb7NonZeroIfEPflEEPllNS8_6detail34convert_binary_result_type_wrapperINS8_3SumESD_lEEEE10hipError_tPvRmT1_T2_T3_mT4_P12ihipStream_tbEUlT_E0_NS1_11comp_targetILNS1_3genE8ELNS1_11target_archE1030ELNS1_3gpuE2ELNS1_3repE0EEENS1_30default_config_static_selectorELNS0_4arch9wavefront6targetE1EEEvSM_.has_recursion, 0
	.set _ZN7rocprim17ROCPRIM_400000_NS6detail17trampoline_kernelINS0_14default_configENS1_22reduce_config_selectorIbEEZNS1_11reduce_implILb1ES3_N6hipcub16HIPCUB_304000_NS22TransformInputIteratorIb7NonZeroIfEPflEEPllNS8_6detail34convert_binary_result_type_wrapperINS8_3SumESD_lEEEE10hipError_tPvRmT1_T2_T3_mT4_P12ihipStream_tbEUlT_E0_NS1_11comp_targetILNS1_3genE8ELNS1_11target_archE1030ELNS1_3gpuE2ELNS1_3repE0EEENS1_30default_config_static_selectorELNS0_4arch9wavefront6targetE1EEEvSM_.has_indirect_call, 0
	.section	.AMDGPU.csdata,"",@progbits
; Kernel info:
; codeLenInByte = 0
; TotalNumSgprs: 6
; NumVgprs: 0
; NumAgprs: 0
; TotalNumVgprs: 0
; ScratchSize: 0
; MemoryBound: 0
; FloatMode: 240
; IeeeMode: 1
; LDSByteSize: 0 bytes/workgroup (compile time only)
; SGPRBlocks: 0
; VGPRBlocks: 0
; NumSGPRsForWavesPerEU: 6
; NumVGPRsForWavesPerEU: 1
; AccumOffset: 4
; Occupancy: 8
; WaveLimiterHint : 0
; COMPUTE_PGM_RSRC2:SCRATCH_EN: 0
; COMPUTE_PGM_RSRC2:USER_SGPR: 2
; COMPUTE_PGM_RSRC2:TRAP_HANDLER: 0
; COMPUTE_PGM_RSRC2:TGID_X_EN: 1
; COMPUTE_PGM_RSRC2:TGID_Y_EN: 0
; COMPUTE_PGM_RSRC2:TGID_Z_EN: 0
; COMPUTE_PGM_RSRC2:TIDIG_COMP_CNT: 0
; COMPUTE_PGM_RSRC3_GFX90A:ACCUM_OFFSET: 0
; COMPUTE_PGM_RSRC3_GFX90A:TG_SPLIT: 0
	.section	.text._ZN7rocprim17ROCPRIM_400000_NS6detail17trampoline_kernelINS0_14default_configENS1_22reduce_config_selectorIbEEZNS1_11reduce_implILb1ES3_N6hipcub16HIPCUB_304000_NS22TransformInputIteratorIb7NonZeroIfEPflEEPllNS8_6detail34convert_binary_result_type_wrapperINS8_3SumESD_lEEEE10hipError_tPvRmT1_T2_T3_mT4_P12ihipStream_tbEUlT_E1_NS1_11comp_targetILNS1_3genE0ELNS1_11target_archE4294967295ELNS1_3gpuE0ELNS1_3repE0EEENS1_30default_config_static_selectorELNS0_4arch9wavefront6targetE1EEEvSM_,"axG",@progbits,_ZN7rocprim17ROCPRIM_400000_NS6detail17trampoline_kernelINS0_14default_configENS1_22reduce_config_selectorIbEEZNS1_11reduce_implILb1ES3_N6hipcub16HIPCUB_304000_NS22TransformInputIteratorIb7NonZeroIfEPflEEPllNS8_6detail34convert_binary_result_type_wrapperINS8_3SumESD_lEEEE10hipError_tPvRmT1_T2_T3_mT4_P12ihipStream_tbEUlT_E1_NS1_11comp_targetILNS1_3genE0ELNS1_11target_archE4294967295ELNS1_3gpuE0ELNS1_3repE0EEENS1_30default_config_static_selectorELNS0_4arch9wavefront6targetE1EEEvSM_,comdat
	.protected	_ZN7rocprim17ROCPRIM_400000_NS6detail17trampoline_kernelINS0_14default_configENS1_22reduce_config_selectorIbEEZNS1_11reduce_implILb1ES3_N6hipcub16HIPCUB_304000_NS22TransformInputIteratorIb7NonZeroIfEPflEEPllNS8_6detail34convert_binary_result_type_wrapperINS8_3SumESD_lEEEE10hipError_tPvRmT1_T2_T3_mT4_P12ihipStream_tbEUlT_E1_NS1_11comp_targetILNS1_3genE0ELNS1_11target_archE4294967295ELNS1_3gpuE0ELNS1_3repE0EEENS1_30default_config_static_selectorELNS0_4arch9wavefront6targetE1EEEvSM_ ; -- Begin function _ZN7rocprim17ROCPRIM_400000_NS6detail17trampoline_kernelINS0_14default_configENS1_22reduce_config_selectorIbEEZNS1_11reduce_implILb1ES3_N6hipcub16HIPCUB_304000_NS22TransformInputIteratorIb7NonZeroIfEPflEEPllNS8_6detail34convert_binary_result_type_wrapperINS8_3SumESD_lEEEE10hipError_tPvRmT1_T2_T3_mT4_P12ihipStream_tbEUlT_E1_NS1_11comp_targetILNS1_3genE0ELNS1_11target_archE4294967295ELNS1_3gpuE0ELNS1_3repE0EEENS1_30default_config_static_selectorELNS0_4arch9wavefront6targetE1EEEvSM_
	.globl	_ZN7rocprim17ROCPRIM_400000_NS6detail17trampoline_kernelINS0_14default_configENS1_22reduce_config_selectorIbEEZNS1_11reduce_implILb1ES3_N6hipcub16HIPCUB_304000_NS22TransformInputIteratorIb7NonZeroIfEPflEEPllNS8_6detail34convert_binary_result_type_wrapperINS8_3SumESD_lEEEE10hipError_tPvRmT1_T2_T3_mT4_P12ihipStream_tbEUlT_E1_NS1_11comp_targetILNS1_3genE0ELNS1_11target_archE4294967295ELNS1_3gpuE0ELNS1_3repE0EEENS1_30default_config_static_selectorELNS0_4arch9wavefront6targetE1EEEvSM_
	.p2align	8
	.type	_ZN7rocprim17ROCPRIM_400000_NS6detail17trampoline_kernelINS0_14default_configENS1_22reduce_config_selectorIbEEZNS1_11reduce_implILb1ES3_N6hipcub16HIPCUB_304000_NS22TransformInputIteratorIb7NonZeroIfEPflEEPllNS8_6detail34convert_binary_result_type_wrapperINS8_3SumESD_lEEEE10hipError_tPvRmT1_T2_T3_mT4_P12ihipStream_tbEUlT_E1_NS1_11comp_targetILNS1_3genE0ELNS1_11target_archE4294967295ELNS1_3gpuE0ELNS1_3repE0EEENS1_30default_config_static_selectorELNS0_4arch9wavefront6targetE1EEEvSM_,@function
_ZN7rocprim17ROCPRIM_400000_NS6detail17trampoline_kernelINS0_14default_configENS1_22reduce_config_selectorIbEEZNS1_11reduce_implILb1ES3_N6hipcub16HIPCUB_304000_NS22TransformInputIteratorIb7NonZeroIfEPflEEPllNS8_6detail34convert_binary_result_type_wrapperINS8_3SumESD_lEEEE10hipError_tPvRmT1_T2_T3_mT4_P12ihipStream_tbEUlT_E1_NS1_11comp_targetILNS1_3genE0ELNS1_11target_archE4294967295ELNS1_3gpuE0ELNS1_3repE0EEENS1_30default_config_static_selectorELNS0_4arch9wavefront6targetE1EEEvSM_: ; @_ZN7rocprim17ROCPRIM_400000_NS6detail17trampoline_kernelINS0_14default_configENS1_22reduce_config_selectorIbEEZNS1_11reduce_implILb1ES3_N6hipcub16HIPCUB_304000_NS22TransformInputIteratorIb7NonZeroIfEPflEEPllNS8_6detail34convert_binary_result_type_wrapperINS8_3SumESD_lEEEE10hipError_tPvRmT1_T2_T3_mT4_P12ihipStream_tbEUlT_E1_NS1_11comp_targetILNS1_3genE0ELNS1_11target_archE4294967295ELNS1_3gpuE0ELNS1_3repE0EEENS1_30default_config_static_selectorELNS0_4arch9wavefront6targetE1EEEvSM_
; %bb.0:
	s_load_dword s33, s[0:1], 0x4
	s_load_dwordx2 s[40:41], s[0:1], 0x8
	s_load_dwordx4 s[36:39], s[0:1], 0x18
	s_waitcnt lgkmcnt(0)
	s_cmp_lt_i32 s33, 16
	s_cbranch_scc1 .LBB244_10
; %bb.1:
	s_cmp_gt_i32 s33, 63
	s_cbranch_scc0 .LBB244_11
; %bb.2:
	s_cmpk_gt_i32 s33, 0x7f
	s_cbranch_scc0 .LBB244_12
; %bb.3:
	s_mov_b64 s[6:7], 0
	s_cmpk_eq_i32 s33, 0x80
	s_mov_b64 s[4:5], 0
                                        ; implicit-def: $vgpr2_vgpr3
                                        ; implicit-def: $vgpr4_vgpr5
	s_cbranch_scc0 .LBB244_13
; %bb.4:
	s_mov_b32 s3, 0
	s_lshl_b32 s10, s2, 15
	s_mov_b32 s11, s3
	s_lshr_b64 s[4:5], s[36:37], 15
	s_lshl_b64 s[8:9], s[10:11], 2
	s_add_u32 s8, s40, s8
	s_addc_u32 s9, s41, s9
	s_cmp_lg_u64 s[4:5], s[2:3]
	s_cbranch_scc0 .LBB244_21
; %bb.5:
	v_lshlrev_b32_e32 v2, 2, v0
	v_mov_b32_e32 v3, 0
	global_load_dword v1, v2, s[8:9]
	global_load_dword v10, v2, s[8:9] offset:1024
	global_load_dword v6, v2, s[8:9] offset:2048
	;; [unrolled: 1-line block ×3, first 2 shown]
	v_lshl_add_u64 v[4:5], s[8:9], 0, v[2:3]
	v_add_co_u32_e32 v12, vcc, 0x1000, v4
	s_movk_i32 s5, 0x3000
	s_nop 0
	v_addc_co_u32_e32 v13, vcc, 0, v5, vcc
	global_load_dword v2, v[12:13], off
	global_load_dword v16, v[12:13], off offset:1024
	global_load_dword v17, v[12:13], off offset:2048
	global_load_dword v18, v[12:13], off offset:3072
	v_add_co_u32_e32 v14, vcc, s5, v4
	s_movk_i32 s4, 0x2000
	s_nop 0
	v_addc_co_u32_e32 v15, vcc, 0, v5, vcc
	global_load_dword v19, v[14:15], off offset:-4096
	v_add_co_u32_e32 v12, vcc, s4, v4
	s_movk_i32 s5, 0x5000
	s_nop 0
	v_addc_co_u32_e32 v13, vcc, 0, v5, vcc
	global_load_dword v20, v[12:13], off offset:1024
	global_load_dword v21, v[12:13], off offset:2048
	;; [unrolled: 1-line block ×3, first 2 shown]
	global_load_dword v24, v[14:15], off
	global_load_dword v26, v[14:15], off offset:1024
	global_load_dword v28, v[14:15], off offset:2048
	v_add_co_u32_e32 v12, vcc, s5, v4
	s_movk_i32 s4, 0x4000
	s_nop 0
	v_addc_co_u32_e32 v13, vcc, 0, v5, vcc
	global_load_dword v30, v[14:15], off offset:3072
	global_load_dword v32, v[12:13], off offset:-4096
	v_add_co_u32_e32 v14, vcc, s4, v4
	s_movk_i32 s4, 0x6000
	s_nop 0
	v_addc_co_u32_e32 v15, vcc, 0, v5, vcc
	global_load_dword v34, v[14:15], off offset:1024
	global_load_dword v42, v[14:15], off offset:2048
	;; [unrolled: 1-line block ×3, first 2 shown]
	v_add_co_u32_e32 v38, vcc, s4, v4
	s_movk_i32 s5, 0x7000
	s_nop 0
	v_addc_co_u32_e32 v39, vcc, 0, v5, vcc
	v_add_co_u32_e32 v40, vcc, s5, v4
	s_mov_b32 s11, 0x1e000
	s_nop 0
	v_addc_co_u32_e32 v41, vcc, 0, v5, vcc
	v_add_co_u32_e32 v36, vcc, s11, v4
	s_mov_b32 s11, 0xa000
	s_nop 0
	v_addc_co_u32_e32 v37, vcc, 0, v5, vcc
	global_load_dword v44, v[12:13], off
	global_load_dword v45, v[12:13], off offset:1024
	global_load_dword v46, v[12:13], off offset:2048
	;; [unrolled: 1-line block ×3, first 2 shown]
	global_load_dword v50, v[40:41], off offset:-4096
	global_load_dword v52, v[38:39], off offset:1024
	global_load_dword v172, v[36:37], off offset:3072
	v_mov_b32_e32 v9, s3
	v_mov_b32_e32 v11, s3
	;; [unrolled: 1-line block ×27, first 2 shown]
	s_waitcnt vmcnt(25)
	v_cmp_neq_f32_e32 vcc, 0, v10
	v_mov_b32_e32 v95, s3
	s_waitcnt vmcnt(23)
	v_cmp_neq_f32_e64 s[4:5], 0, v8
	global_load_dword v60, v[38:39], off offset:3072
	global_load_dword v61, v[40:41], off
	global_load_dword v64, v[40:41], off offset:1024
	v_cndmask_b32_e64 v8, 0, 1, s[4:5]
	s_waitcnt vmcnt(25)
	v_cmp_neq_f32_e64 s[4:5], 0, v2
	global_load_dword v2, v[38:39], off offset:2048
	v_cndmask_b32_e64 v173, 0, 1, vcc
	v_cmp_neq_f32_e32 vcc, 0, v1
	v_cndmask_b32_e64 v10, 0, 1, s[4:5]
	s_waitcnt vmcnt(25)
	v_cmp_neq_f32_e64 s[4:5], 0, v16
	v_cndmask_b32_e64 v1, 0, 1, vcc
	v_cmp_neq_f32_e32 vcc, 0, v6
	v_cndmask_b32_e64 v6, 0, 1, s[4:5]
	s_waitcnt vmcnt(24)
	v_cmp_neq_f32_e64 s[4:5], 0, v17
	global_load_dword v65, v[40:41], off offset:2048
	global_load_dword v66, v[40:41], off offset:3072
	v_cndmask_b32_e64 v12, 0, 1, s[4:5]
	s_waitcnt vmcnt(25)
	v_cmp_neq_f32_e64 s[4:5], 0, v18
	v_mov_b32_e32 v17, s3
	v_mov_b32_e32 v41, s3
	v_cndmask_b32_e64 v14, 0, 1, s[4:5]
	s_waitcnt vmcnt(24)
	v_cmp_neq_f32_e64 s[4:5], 0, v19
	v_mov_b32_e32 v19, s3
	v_mov_b32_e32 v101, s3
	v_cndmask_b32_e64 v16, 0, 1, s[4:5]
	s_waitcnt vmcnt(23)
	v_cmp_neq_f32_e64 s[4:5], 0, v20
	v_mov_b32_e32 v103, s3
	v_mov_b32_e32 v113, s3
	v_cndmask_b32_e64 v18, 0, 1, s[4:5]
	s_waitcnt vmcnt(22)
	v_cmp_neq_f32_e64 s[4:5], 0, v21
	v_mov_b32_e32 v21, s3
	v_mov_b32_e32 v115, s3
	v_cndmask_b32_e64 v20, 0, 1, s[4:5]
	s_waitcnt vmcnt(21)
	v_cmp_neq_f32_e64 s[4:5], 0, v22
	v_mov_b32_e32 v117, s3
	v_mov_b32_e32 v119, s3
	v_cndmask_b32_e64 v22, 0, 1, s[4:5]
	s_waitcnt vmcnt(20)
	v_cmp_neq_f32_e64 s[4:5], 0, v24
	v_mov_b32_e32 v123, s3
	v_mov_b32_e32 v129, s3
	v_cndmask_b32_e64 v24, 0, 1, s[4:5]
	s_waitcnt vmcnt(19)
	v_cmp_neq_f32_e64 s[4:5], 0, v26
	v_mov_b32_e32 v131, s3
	v_mov_b32_e32 v133, s3
	v_cndmask_b32_e64 v26, 0, 1, s[4:5]
	s_waitcnt vmcnt(18)
	v_cmp_neq_f32_e64 s[4:5], 0, v28
	v_mov_b32_e32 v135, s3
	v_mov_b32_e32 v145, s3
	v_cndmask_b32_e64 v28, 0, 1, s[4:5]
	s_waitcnt vmcnt(17)
	v_cmp_neq_f32_e64 s[4:5], 0, v30
	v_mov_b32_e32 v147, s3
	v_mov_b32_e32 v149, s3
	v_cndmask_b32_e64 v30, 0, 1, s[4:5]
	s_waitcnt vmcnt(16)
	v_cmp_neq_f32_e64 s[4:5], 0, v32
	v_mov_b32_e32 v151, s3
	v_mov_b32_e32 v153, s3
	v_cndmask_b32_e64 v32, 0, 1, s[4:5]
	s_waitcnt vmcnt(15)
	v_cmp_neq_f32_e64 s[4:5], 0, v34
	v_mov_b32_e32 v157, s3
	v_mov_b32_e32 v159, s3
	v_cndmask_b32_e64 v34, 0, 1, s[4:5]
	s_mov_b32 s4, 0x8000
	v_add_co_u32_e64 v38, s[4:5], s4, v4
	v_mov_b32_e32 v161, s3
	s_nop 0
	v_addc_co_u32_e64 v39, s[4:5], 0, v5, s[4:5]
	s_mov_b32 s4, 0x9000
	s_nop 0
	v_add_co_u32_e64 v56, s[4:5], s4, v4
	v_mov_b32_e32 v163, s3
	s_nop 0
	v_addc_co_u32_e64 v57, s[4:5], 0, v5, s[4:5]
	global_load_dword v67, v[56:57], off offset:-4096
	global_load_dword v68, v[38:39], off offset:1024
	global_load_dword v70, v[38:39], off offset:2048
	;; [unrolled: 1-line block ×3, first 2 shown]
	global_load_dword v76, v[56:57], off
	global_load_dword v77, v[56:57], off offset:1024
	s_waitcnt vmcnt(20)
	v_cmp_neq_f32_e64 s[4:5], 0, v42
	v_mov_b32_e32 v39, s3
	v_mov_b32_e32 v165, s3
	v_cndmask_b32_e64 v38, 0, 1, s[4:5]
	s_waitcnt vmcnt(19)
	v_cmp_neq_f32_e64 s[4:5], 0, v43
	v_mov_b32_e32 v43, s3
	v_mov_b32_e32 v177, s3
	v_cndmask_b32_e64 v40, 0, 1, s[4:5]
	;; [unrolled: 5-line block ×8, first 2 shown]
	s_waitcnt vmcnt(8)
	v_cmp_neq_f32_e64 s[4:5], 0, v2
	global_load_dword v2, v[56:57], off offset:2048
	v_mov_b32_e32 v213, s3
	v_cndmask_b32_e64 v54, 0, 1, s[4:5]
	s_mov_b32 s4, 0xb000
	v_add_co_u32_e64 v62, s[4:5], s4, v4
	v_mov_b32_e32 v215, s3
	s_nop 0
	v_addc_co_u32_e64 v63, s[4:5], 0, v5, s[4:5]
	v_add_co_u32_e64 v58, s[4:5], s11, v4
	global_load_dword v80, v[56:57], off offset:3072
	global_load_dword v82, v[62:63], off offset:-4096
	v_addc_co_u32_e64 v59, s[4:5], 0, v5, s[4:5]
	global_load_dword v84, v[58:59], off offset:1024
	global_load_dword v86, v[58:59], off offset:2048
	;; [unrolled: 1-line block ×3, first 2 shown]
	global_load_dword v90, v[62:63], off
	v_cmp_neq_f32_e64 s[4:5], 0, v60
	s_mov_b32 s11, 0xc000
	global_load_dword v92, v[62:63], off offset:1024
	global_load_dword v94, v[62:63], off offset:2048
	;; [unrolled: 1-line block ×3, first 2 shown]
	v_cndmask_b32_e64 v56, 0, 1, s[4:5]
	v_cmp_neq_f32_e64 s[4:5], 0, v61
	v_mov_b32_e32 v57, s3
	v_mov_b32_e32 v59, s3
	v_cndmask_b32_e64 v58, 0, 1, s[4:5]
	v_cmp_neq_f32_e64 s[4:5], 0, v64
	v_mov_b32_e32 v61, s3
	v_mov_b32_e32 v63, s3
	v_cndmask_b32_e64 v60, 0, 1, s[4:5]
	s_mov_b32 s4, 0xd000
	v_add_co_u32_e64 v78, s[4:5], s4, v4
	v_mov_b32_e32 v217, s3
	s_nop 0
	v_addc_co_u32_e64 v79, s[4:5], 0, v5, s[4:5]
	v_add_co_u32_e64 v74, s[4:5], s11, v4
	global_load_dword v99, v[78:79], off offset:-4096
	global_load_dword v107, v[78:79], off
	v_addc_co_u32_e64 v75, s[4:5], 0, v5, s[4:5]
	global_load_dword v100, v[74:75], off offset:1024
	global_load_dword v102, v[74:75], off offset:2048
	global_load_dword v106, v[74:75], off offset:3072
	s_waitcnt vmcnt(22)
	v_cmp_neq_f32_e64 s[4:5], 0, v65
	global_load_dword v110, v[78:79], off offset:1024
	global_load_dword v111, v[78:79], off offset:2048
	v_cndmask_b32_e64 v62, 0, 1, s[4:5]
	s_waitcnt vmcnt(23)
	v_cmp_neq_f32_e64 s[4:5], 0, v66
	s_mov_b32 s11, 0xe000
	v_mov_b32_e32 v65, s3
	v_cndmask_b32_e64 v64, 0, 1, s[4:5]
	s_waitcnt vmcnt(22)
	v_cmp_neq_f32_e64 s[4:5], 0, v67
	v_mov_b32_e32 v67, s3
	v_mov_b32_e32 v75, s3
	v_cndmask_b32_e64 v66, 0, 1, s[4:5]
	s_waitcnt vmcnt(21)
	v_cmp_neq_f32_e64 s[4:5], 0, v68
	v_mov_b32_e32 v219, s3
	;; [unrolled: 5-line block ×6, first 2 shown]
	v_mov_b32_e32 v235, s3
	v_cndmask_b32_e64 v76, 0, 1, s[4:5]
	s_mov_b32 s4, 0xf000
	v_add_co_u32_e64 v104, s[4:5], s4, v4
	v_mov_b32_e32 v237, s3
	s_nop 0
	v_addc_co_u32_e64 v105, s[4:5], 0, v5, s[4:5]
	v_add_co_u32_e64 v96, s[4:5], s11, v4
	global_load_dword v112, v[78:79], off offset:3072
	global_load_dword v114, v[104:105], off offset:-4096
	v_addc_co_u32_e64 v97, s[4:5], 0, v5, s[4:5]
	global_load_dword v116, v[96:97], off offset:1024
	global_load_dword v118, v[96:97], off offset:2048
	global_load_dword v122, v[104:105], off
	s_waitcnt vmcnt(21)
	v_cmp_neq_f32_e64 s[4:5], 0, v2
	global_load_dword v2, v[96:97], off offset:3072
	s_mov_b32 s11, 0x10000
	v_cndmask_b32_e64 v78, 0, 1, s[4:5]
	s_waitcnt vmcnt(21)
	v_cmp_neq_f32_e64 s[4:5], 0, v80
	global_load_dword v126, v[104:105], off offset:1024
	global_load_dword v127, v[104:105], off offset:2048
	;; [unrolled: 1-line block ×3, first 2 shown]
	v_cndmask_b32_e64 v80, 0, 1, s[4:5]
	s_waitcnt vmcnt(23)
	v_cmp_neq_f32_e64 s[4:5], 0, v82
	v_mov_b32_e32 v79, s3
	v_mov_b32_e32 v97, s3
	v_cndmask_b32_e64 v82, 0, 1, s[4:5]
	s_waitcnt vmcnt(22)
	v_cmp_neq_f32_e64 s[4:5], 0, v84
	v_mov_b32_e32 v105, s3
	v_mov_b32_e32 v239, s3
	;; [unrolled: 5-line block ×4, first 2 shown]
	v_cndmask_b32_e64 v88, 0, 1, s[4:5]
	s_waitcnt vmcnt(19)
	v_cmp_neq_f32_e64 s[4:5], 0, v90
	v_mov_b32_e32 v249, s3
	s_nop 0
	v_cndmask_b32_e64 v90, 0, 1, s[4:5]
	s_waitcnt vmcnt(18)
	v_cmp_neq_f32_e64 s[4:5], 0, v92
	s_nop 1
	v_cndmask_b32_e64 v92, 0, 1, s[4:5]
	s_waitcnt vmcnt(17)
	v_cmp_neq_f32_e64 s[4:5], 0, v94
	;; [unrolled: 4-line block ×4, first 2 shown]
	v_mov_b32_e32 v99, s3
	s_nop 0
	v_cndmask_b32_e64 v98, 0, 1, s[4:5]
	s_waitcnt vmcnt(13)
	v_cmp_neq_f32_e64 s[4:5], 0, v100
	s_nop 1
	v_cndmask_b32_e64 v100, 0, 1, s[4:5]
	s_waitcnt vmcnt(12)
	v_cmp_neq_f32_e64 s[4:5], 0, v102
	s_nop 1
	v_cndmask_b32_e64 v102, 0, 1, s[4:5]
	s_mov_b32 s4, 0x11000
	v_add_co_u32_e64 v120, s[4:5], s4, v4
	s_nop 1
	v_addc_co_u32_e64 v121, s[4:5], 0, v5, s[4:5]
	v_add_co_u32_e64 v108, s[4:5], s11, v4
	global_load_dword v130, v[120:121], off offset:-4096
	global_load_dword v139, v[120:121], off
	v_addc_co_u32_e64 v109, s[4:5], 0, v5, s[4:5]
	global_load_dword v132, v[108:109], off offset:1024
	global_load_dword v134, v[108:109], off offset:2048
	;; [unrolled: 1-line block ×3, first 2 shown]
	s_waitcnt vmcnt(16)
	v_cmp_neq_f32_e64 s[4:5], 0, v106
	global_load_dword v142, v[120:121], off offset:1024
	global_load_dword v143, v[120:121], off offset:2048
	v_cndmask_b32_e64 v104, 0, 1, s[4:5]
	v_cmp_neq_f32_e64 s[4:5], 0, v107
	s_mov_b32 s11, 0x12000
	v_mov_b32_e32 v107, s3
	v_cndmask_b32_e64 v106, 0, 1, s[4:5]
	s_waitcnt vmcnt(17)
	v_cmp_neq_f32_e64 s[4:5], 0, v110
	v_mov_b32_e32 v109, s3
	s_nop 0
	v_cndmask_b32_e64 v108, 0, 1, s[4:5]
	s_waitcnt vmcnt(16)
	v_cmp_neq_f32_e64 s[4:5], 0, v111
	v_mov_b32_e32 v111, s3
	s_nop 0
	v_cndmask_b32_e64 v110, 0, 1, s[4:5]
	s_waitcnt vmcnt(15)
	v_cmp_neq_f32_e64 s[4:5], 0, v112
	s_nop 1
	v_cndmask_b32_e64 v112, 0, 1, s[4:5]
	s_waitcnt vmcnt(14)
	v_cmp_neq_f32_e64 s[4:5], 0, v114
	;; [unrolled: 4-line block ×4, first 2 shown]
	s_nop 1
	v_cndmask_b32_e64 v118, 0, 1, s[4:5]
	s_mov_b32 s4, 0x13000
	v_add_co_u32_e64 v124, s[4:5], s4, v4
	s_nop 1
	v_addc_co_u32_e64 v125, s[4:5], 0, v5, s[4:5]
	global_load_dword v144, v[120:121], off offset:3072
	global_load_dword v146, v[124:125], off offset:-4096
	v_add_co_u32_e64 v120, s[4:5], s11, v4
	s_mov_b32 s11, 0x16000
	s_nop 0
	v_addc_co_u32_e64 v121, s[4:5], 0, v5, s[4:5]
	s_mov_b32 s4, 0x14000
	s_nop 0
	v_add_co_u32_e64 v136, s[4:5], s4, v4
	global_load_dword v148, v[120:121], off offset:1024
	global_load_dword v150, v[120:121], off offset:2048
	;; [unrolled: 1-line block ×3, first 2 shown]
	global_load_dword v156, v[124:125], off
	v_addc_co_u32_e64 v137, s[4:5], 0, v5, s[4:5]
	global_load_dword v164, v[136:137], off offset:1024
	s_waitcnt vmcnt(17)
	v_cmp_neq_f32_e64 s[4:5], 0, v2
	global_load_dword v2, v[124:125], off offset:1024
	global_load_dword v158, v[124:125], off offset:2048
	global_load_dword v160, v[124:125], off offset:3072
	v_cndmask_b32_e64 v120, 0, 1, s[4:5]
	v_cmp_neq_f32_e64 s[4:5], 0, v122
	global_load_dword v170, v[136:137], off offset:2048
	v_mov_b32_e32 v121, s3
	v_cndmask_b32_e64 v122, 0, 1, s[4:5]
	s_mov_b32 s4, 0x15000
	v_add_co_u32_e64 v140, s[4:5], s4, v4
	v_mov_b32_e32 v125, s3
	s_nop 0
	v_addc_co_u32_e64 v141, s[4:5], 0, v5, s[4:5]
	global_load_dword v162, v[140:141], off offset:-4096
	global_load_dword v174, v[140:141], off
	global_load_dword v171, v[136:137], off offset:3072
	s_waitcnt vmcnt(23)
	v_cmp_neq_f32_e64 s[4:5], 0, v126
	global_load_dword v176, v[140:141], off offset:1024
	global_load_dword v178, v[140:141], off offset:2048
	v_cndmask_b32_e64 v124, 0, 1, s[4:5]
	s_waitcnt vmcnt(24)
	v_cmp_neq_f32_e64 s[4:5], 0, v127
	v_mov_b32_e32 v127, s3
	v_mov_b32_e32 v137, s3
	v_cndmask_b32_e64 v126, 0, 1, s[4:5]
	s_waitcnt vmcnt(23)
	v_cmp_neq_f32_e64 s[4:5], 0, v128
	s_nop 1
	v_cndmask_b32_e64 v128, 0, 1, s[4:5]
	s_waitcnt vmcnt(22)
	v_cmp_neq_f32_e64 s[4:5], 0, v130
	s_nop 1
	;; [unrolled: 4-line block ×5, first 2 shown]
	v_cndmask_b32_e64 v136, 0, 1, s[4:5]
	v_cmp_neq_f32_e64 s[4:5], 0, v139
	v_mov_b32_e32 v139, s3
	s_nop 0
	v_cndmask_b32_e64 v138, 0, 1, s[4:5]
	s_mov_b32 s4, 0x17000
	v_add_co_u32_e64 v168, s[4:5], s4, v4
	s_nop 1
	v_addc_co_u32_e64 v169, s[4:5], 0, v5, s[4:5]
	v_add_co_u32_e64 v154, s[4:5], s11, v4
	global_load_dword v180, v[140:141], off offset:3072
	global_load_dword v182, v[168:169], off offset:-4096
	v_addc_co_u32_e64 v155, s[4:5], 0, v5, s[4:5]
	global_load_dword v184, v[154:155], off offset:1024
	global_load_dword v186, v[154:155], off offset:2048
	;; [unrolled: 1-line block ×3, first 2 shown]
	global_load_dword v192, v[168:169], off
	s_waitcnt vmcnt(23)
	v_cmp_neq_f32_e64 s[4:5], 0, v142
	s_mov_b32 s11, 0x1a000
	v_mov_b32_e32 v141, s3
	v_cndmask_b32_e64 v140, 0, 1, s[4:5]
	s_waitcnt vmcnt(22)
	v_cmp_neq_f32_e64 s[4:5], 0, v143
	v_mov_b32_e32 v143, s3
	v_mov_b32_e32 v155, s3
	v_cndmask_b32_e64 v142, 0, 1, s[4:5]
	s_waitcnt vmcnt(21)
	v_cmp_neq_f32_e64 s[4:5], 0, v144
	s_nop 1
	v_cndmask_b32_e64 v144, 0, 1, s[4:5]
	s_waitcnt vmcnt(20)
	v_cmp_neq_f32_e64 s[4:5], 0, v146
	s_nop 1
	;; [unrolled: 4-line block ×6, first 2 shown]
	v_cndmask_b32_e64 v154, 0, 1, s[4:5]
	s_waitcnt vmcnt(14)
	v_cmp_neq_f32_e64 s[4:5], 0, v2
	global_load_dword v2, v[168:169], off offset:1024
	global_load_dword v196, v[168:169], off offset:2048
	v_cndmask_b32_e64 v156, 0, 1, s[4:5]
	s_waitcnt vmcnt(15)
	v_cmp_neq_f32_e64 s[4:5], 0, v158
	s_nop 1
	v_cndmask_b32_e64 v158, 0, 1, s[4:5]
	s_waitcnt vmcnt(14)
	v_cmp_neq_f32_e64 s[4:5], 0, v160
	s_nop 1
	;; [unrolled: 4-line block ×3, first 2 shown]
	v_cndmask_b32_e64 v162, 0, 1, s[4:5]
	v_cmp_neq_f32_e64 s[4:5], 0, v164
	s_nop 1
	v_cndmask_b32_e64 v164, 0, 1, s[4:5]
	s_mov_b32 s4, 0x18000
	v_add_co_u32_e64 v166, s[4:5], s4, v4
	s_nop 1
	v_addc_co_u32_e64 v167, s[4:5], 0, v5, s[4:5]
	v_cmp_neq_f32_e64 s[4:5], 0, v170
	global_load_dword v198, v[166:167], off offset:1024
	global_load_dword v199, v[166:167], off offset:2048
	;; [unrolled: 1-line block ×3, first 2 shown]
	v_cndmask_b32_e64 v166, 0, 1, s[4:5]
	s_waitcnt vmcnt(13)
	v_cmp_neq_f32_e64 s[4:5], 0, v171
	global_load_dword v197, v[168:169], off offset:3072
	v_mov_b32_e32 v167, s3
	v_cndmask_b32_e64 v168, 0, 1, s[4:5]
	v_cmp_neq_f32_e64 s[4:5], 0, v174
	v_mov_b32_e32 v169, s3
	v_mov_b32_e32 v171, s3
	v_cndmask_b32_e64 v170, 0, 1, s[4:5]
	s_mov_b32 s4, 0x19000
	v_add_co_u32_e64 v174, s[4:5], s4, v4
	s_nop 1
	v_addc_co_u32_e64 v175, s[4:5], 0, v5, s[4:5]
	s_waitcnt vmcnt(13)
	v_cmp_neq_f32_e64 s[4:5], 0, v176
	global_load_dword v201, v[174:175], off offset:-4096
	global_load_dword v202, v[174:175], off
	v_cndmask_b32_e64 v176, 0, 1, s[4:5]
	s_waitcnt vmcnt(14)
	v_cmp_neq_f32_e64 s[4:5], 0, v178
	global_load_dword v204, v[174:175], off offset:1024
	global_load_dword v206, v[174:175], off offset:2048
	v_cndmask_b32_e64 v178, 0, 1, s[4:5]
	s_waitcnt vmcnt(15)
	v_cmp_neq_f32_e64 s[4:5], 0, v180
	s_nop 1
	v_cndmask_b32_e64 v180, 0, 1, s[4:5]
	s_waitcnt vmcnt(14)
	v_cmp_neq_f32_e64 s[4:5], 0, v182
	s_nop 1
	;; [unrolled: 4-line block ×4, first 2 shown]
	v_cndmask_b32_e64 v186, 0, 1, s[4:5]
	s_mov_b32 s4, 0x1b000
	v_add_co_u32_e64 v188, s[4:5], s4, v4
	s_nop 1
	v_addc_co_u32_e64 v189, s[4:5], 0, v5, s[4:5]
	global_load_dword v207, v[174:175], off offset:3072
	global_load_dword v208, v[188:189], off offset:-4096
	v_add_co_u32_e64 v174, s[4:5], s11, v4
	s_mov_b32 s11, 0x1c000
	s_nop 0
	v_addc_co_u32_e64 v175, s[4:5], 0, v5, s[4:5]
	global_load_dword v210, v[174:175], off offset:1024
	global_load_dword v212, v[174:175], off offset:2048
	global_load_dword v214, v[174:175], off offset:3072
	s_waitcnt vmcnt(16)
	v_cmp_neq_f32_e64 s[4:5], 0, v190
	global_load_dword v216, v[188:189], off
	global_load_dword v218, v[188:189], off offset:1024
	global_load_dword v220, v[188:189], off offset:2048
	v_cndmask_b32_e64 v190, 0, 1, s[4:5]
	s_waitcnt vmcnt(18)
	v_cmp_neq_f32_e64 s[4:5], 0, v192
	v_mov_b32_e32 v175, s3
	s_nop 0
	v_cndmask_b32_e64 v174, 0, 1, s[4:5]
	s_mov_b32 s4, 0x1d000
	v_add_co_u32_e64 v192, s[4:5], s4, v4
	s_nop 1
	v_addc_co_u32_e64 v193, s[4:5], 0, v5, s[4:5]
	global_load_dword v222, v[188:189], off offset:3072
	global_load_dword v224, v[192:193], off offset:-4096
	v_add_co_u32_e64 v188, s[4:5], s11, v4
	global_load_dword v232, v[192:193], off
	global_load_dword v234, v[192:193], off offset:1024
	v_addc_co_u32_e64 v189, s[4:5], 0, v5, s[4:5]
	global_load_dword v226, v[188:189], off offset:1024
	global_load_dword v228, v[188:189], off offset:2048
	s_waitcnt vmcnt(23)
	v_cmp_neq_f32_e64 s[4:5], 0, v2
	global_load_dword v2, v[188:189], off offset:3072
	global_load_dword v236, v[192:193], off offset:2048
	;; [unrolled: 1-line block ×3, first 2 shown]
	v_cndmask_b32_e64 v194, 0, 1, s[4:5]
	s_waitcnt vmcnt(25)
	v_cmp_neq_f32_e64 s[4:5], 0, v196
	global_load_dword v242, v[36:37], off offset:1024
	global_load_dword v244, v[36:37], off offset:2048
	v_cndmask_b32_e64 v188, 0, 1, s[4:5]
	s_waitcnt vmcnt(23)
	v_cmp_neq_f32_e64 s[4:5], 0, v197
	v_mov_b32_e32 v189, s3
	v_mov_b32_e32 v197, s3
	v_cndmask_b32_e64 v196, 0, 1, s[4:5]
	s_mov_b32 s4, 0x1f000
	v_add_co_u32_e64 v4, s[4:5], s4, v4
	v_mov_b32_e32 v193, s3
	s_nop 0
	v_addc_co_u32_e64 v5, s[4:5], 0, v5, s[4:5]
	global_load_dword v240, v[4:5], off offset:-4096
	global_load_dword v248, v[4:5], off
	global_load_dword v250, v[4:5], off offset:1024
	global_load_dword v251, v[4:5], off offset:2048
	;; [unrolled: 1-line block ×3, first 2 shown]
	s_waitcnt vmcnt(27)
	v_cmp_neq_f32_e64 s[4:5], 0, v201
	v_mov_b32_e32 v37, s3
	v_mov_b32_e32 v201, s3
	v_cndmask_b32_e64 v192, 0, 1, s[4:5]
	v_cmp_neq_f32_e64 s[4:5], 0, v198
	v_mov_b32_e32 v5, s3
	s_nop 0
	v_cndmask_b32_e64 v36, 0, 1, s[4:5]
	v_cmp_neq_f32_e64 s[4:5], 0, v199
	v_mov_b32_e32 v199, s3
	s_nop 0
	v_cndmask_b32_e64 v198, 0, 1, s[4:5]
	v_cmp_neq_f32_e64 s[4:5], 0, v200
	s_nop 1
	v_cndmask_b32_e64 v200, 0, 1, s[4:5]
	s_waitcnt vmcnt(26)
	v_cmp_neq_f32_e64 s[4:5], 0, v202
	s_nop 1
	v_cndmask_b32_e64 v202, 0, 1, s[4:5]
	s_waitcnt vmcnt(25)
	;; [unrolled: 4-line block ×4, first 2 shown]
	v_cmp_neq_f32_e64 s[4:5], 0, v207
	v_mov_b32_e32 v207, s3
	s_nop 0
	v_cndmask_b32_e64 v206, 0, 1, s[4:5]
	s_waitcnt vmcnt(22)
	v_cmp_neq_f32_e64 s[4:5], 0, v208
	s_nop 1
	v_cndmask_b32_e64 v208, 0, 1, s[4:5]
	s_waitcnt vmcnt(21)
	v_cmp_neq_f32_e64 s[4:5], 0, v210
	;; [unrolled: 4-line block ×12, first 2 shown]
	v_addc_co_u32_e32 v2, vcc, v173, v1, vcc
	v_lshl_add_u64 v[8:9], v[2:3], 0, v[8:9]
	v_lshl_add_u64 v[8:9], v[8:9], 0, v[10:11]
	;; [unrolled: 1-line block ×111, first 2 shown]
	v_cndmask_b32_e64 v230, 0, 1, s[4:5]
	v_cmp_neq_f32_e64 s[4:5], 0, v232
	v_lshl_add_u64 v[4:5], v[4:5], 0, v[228:229]
	v_lshl_add_u64 v[4:5], v[4:5], 0, v[230:231]
	v_cndmask_b32_e64 v232, 0, 1, s[4:5]
	v_cmp_neq_f32_e64 s[4:5], 0, v234
	v_lshl_add_u64 v[4:5], v[4:5], 0, v[232:233]
	s_waitcnt vmcnt(2)
	v_cmp_neq_f32_e32 vcc, 0, v250
	v_cndmask_b32_e64 v234, 0, 1, s[4:5]
	v_cmp_neq_f32_e64 s[4:5], 0, v236
	v_lshl_add_u64 v[4:5], v[4:5], 0, v[234:235]
	v_mov_b32_e32 v173, s3
	v_cndmask_b32_e64 v236, 0, 1, s[4:5]
	v_cmp_neq_f32_e64 s[4:5], 0, v238
	v_lshl_add_u64 v[4:5], v[4:5], 0, v[236:237]
	v_mov_b32_dpp v7, v3 quad_perm:[1,0,3,2] row_mask:0xf bank_mask:0xf bound_ctrl:1
	v_cndmask_b32_e64 v238, 0, 1, s[4:5]
	v_cmp_neq_f32_e64 s[4:5], 0, v240
	v_lshl_add_u64 v[4:5], v[4:5], 0, v[238:239]
	v_mov_b32_e32 v6, v3
	v_cndmask_b32_e64 v240, 0, 1, s[4:5]
	v_cmp_neq_f32_e64 s[4:5], 0, v242
	v_lshl_add_u64 v[4:5], v[4:5], 0, v[240:241]
	v_mbcnt_lo_u32_b32 v1, -1, 0
	v_cndmask_b32_e64 v242, 0, 1, s[4:5]
	v_cmp_neq_f32_e64 s[4:5], 0, v244
	v_lshl_add_u64 v[4:5], v[4:5], 0, v[242:243]
	v_mbcnt_hi_u32_b32 v1, -1, v1
	v_cndmask_b32_e64 v244, 0, 1, s[4:5]
	v_cmp_neq_f32_e64 s[4:5], 0, v172
	v_lshl_add_u64 v[4:5], v[4:5], 0, v[244:245]
	v_cndmask_b32_e64 v172, 0, 1, vcc
	v_cndmask_b32_e64 v246, 0, 1, s[4:5]
	v_cmp_neq_f32_e64 s[4:5], 0, v248
	v_lshl_add_u64 v[4:5], v[4:5], 0, v[246:247]
	s_waitcnt vmcnt(1)
	v_cmp_neq_f32_e32 vcc, 0, v251
	v_cndmask_b32_e64 v248, 0, 1, s[4:5]
	v_lshl_add_u64 v[4:5], v[4:5], 0, v[248:249]
	v_cndmask_b32_e64 v250, 0, 1, vcc
	v_mov_b32_e32 v251, s3
	s_waitcnt vmcnt(0)
	v_cmp_neq_f32_e32 vcc, 0, v252
	v_lshl_add_u64 v[4:5], v[4:5], 0, v[172:173]
	v_lshl_add_u64 v[4:5], v[4:5], 0, v[250:251]
	v_cndmask_b32_e64 v10, 0, 1, vcc
	v_lshl_add_u64 v[4:5], v[4:5], 0, v[10:11]
	v_cmp_eq_u32_e32 vcc, 0, v1
	s_nop 0
	v_mov_b32_dpp v2, v4 quad_perm:[1,0,3,2] row_mask:0xf bank_mask:0xf bound_ctrl:1
	v_lshl_add_u64 v[4:5], v[4:5], 0, v[2:3]
	v_lshl_add_u64 v[6:7], v[6:7], 0, v[4:5]
	s_nop 0
	v_mov_b32_dpp v2, v4 quad_perm:[2,3,0,1] row_mask:0xf bank_mask:0xf bound_ctrl:1
	v_mov_b32_dpp v5, v7 quad_perm:[2,3,0,1] row_mask:0xf bank_mask:0xf bound_ctrl:1
	v_mov_b32_e32 v4, v3
	v_lshl_add_u64 v[6:7], v[6:7], 0, v[2:3]
	v_lshl_add_u64 v[4:5], v[6:7], 0, v[4:5]
	s_nop 0
	v_mov_b32_dpp v2, v6 row_ror:4 row_mask:0xf bank_mask:0xf bound_ctrl:1
	v_mov_b32_dpp v7, v5 row_ror:4 row_mask:0xf bank_mask:0xf bound_ctrl:1
	v_mov_b32_e32 v6, v3
	v_lshl_add_u64 v[4:5], v[4:5], 0, v[2:3]
	v_lshl_add_u64 v[6:7], v[4:5], 0, v[6:7]
	s_nop 0
	v_mov_b32_dpp v2, v4 row_ror:8 row_mask:0xf bank_mask:0xf bound_ctrl:1
	v_mov_b32_dpp v5, v7 row_ror:8 row_mask:0xf bank_mask:0xf bound_ctrl:1
	v_mov_b32_e32 v4, v3
	v_lshl_add_u64 v[6:7], v[6:7], 0, v[2:3]
	v_lshl_add_u64 v[4:5], v[6:7], 0, v[4:5]
	s_nop 0
	v_mov_b32_dpp v2, v6 row_bcast:15 row_mask:0xf bank_mask:0xf bound_ctrl:1
	v_mov_b32_dpp v7, v5 row_bcast:15 row_mask:0xf bank_mask:0xf bound_ctrl:1
	v_mov_b32_e32 v6, v3
	v_lshl_add_u64 v[4:5], v[4:5], 0, v[2:3]
	v_lshl_add_u64 v[6:7], v[4:5], 0, v[6:7]
	s_nop 0
	v_mov_b32_dpp v2, v4 row_bcast:31 row_mask:0xf bank_mask:0xf bound_ctrl:1
	v_lshl_add_u64 v[2:3], v[6:7], 0, v[2:3]
	v_lshlrev_b32_e32 v4, 2, v1
	v_or_b32_e32 v5, 0xfc, v4
	v_add_u32_dpp v3, v7, v3 row_bcast:31 row_mask:0xf bank_mask:0xf bound_ctrl:1
	ds_bpermute_b32 v2, v5, v2
	ds_bpermute_b32 v3, v5, v3
	s_and_saveexec_b64 s[4:5], vcc
	s_cbranch_execz .LBB244_7
; %bb.6:
	v_lshrrev_b32_e32 v5, 3, v0
	v_and_b32_e32 v5, 24, v5
	s_waitcnt lgkmcnt(0)
	ds_write_b64 v5, v[2:3]
.LBB244_7:
	s_or_b64 exec, exec, s[4:5]
	v_cmp_gt_u32_e32 vcc, 64, v0
	s_waitcnt lgkmcnt(0)
	s_barrier
	s_and_saveexec_b64 s[4:5], vcc
	s_cbranch_execz .LBB244_9
; %bb.8:
	v_and_b32_e32 v5, 3, v1
	v_lshlrev_b32_e32 v2, 3, v5
	ds_read_b64 v[2:3], v2
	v_cmp_ne_u32_e32 vcc, 3, v5
	v_mov_b32_e32 v8, 0
	v_mov_b32_e32 v7, v8
	v_addc_co_u32_e32 v1, vcc, 0, v1, vcc
	v_lshlrev_b32_e32 v1, 2, v1
	s_waitcnt lgkmcnt(0)
	ds_bpermute_b32 v6, v1, v2
	ds_bpermute_b32 v9, v1, v3
	v_or_b32_e32 v1, 8, v4
	s_waitcnt lgkmcnt(1)
	v_lshl_add_u64 v[2:3], v[2:3], 0, v[6:7]
	s_waitcnt lgkmcnt(0)
	v_lshl_add_u64 v[4:5], v[8:9], 0, v[2:3]
	ds_bpermute_b32 v2, v1, v2
	ds_bpermute_b32 v9, v1, v5
	v_mov_b32_e32 v3, v8
	s_waitcnt lgkmcnt(1)
	v_lshl_add_u64 v[2:3], v[4:5], 0, v[2:3]
	s_waitcnt lgkmcnt(0)
	v_lshl_add_u64 v[2:3], v[2:3], 0, v[8:9]
.LBB244_9:
	s_or_b64 exec, exec, s[4:5]
	s_mov_b64 s[4:5], 0
	s_branch .LBB244_22
.LBB244_10:
	s_mov_b64 s[4:5], 0
                                        ; implicit-def: $vgpr2_vgpr3
                                        ; implicit-def: $vgpr4_vgpr5
	s_cbranch_execnz .LBB244_568
	s_branch .LBB244_683
.LBB244_11:
	s_mov_b64 s[4:5], 0
                                        ; implicit-def: $vgpr2_vgpr3
                                        ; implicit-def: $vgpr4_vgpr5
	s_cbranch_execnz .LBB244_430
	s_branch .LBB244_567
.LBB244_12:
	s_mov_b64 s[6:7], -1
	s_mov_b64 s[4:5], 0
                                        ; implicit-def: $vgpr2_vgpr3
                                        ; implicit-def: $vgpr4_vgpr5
.LBB244_13:
	s_and_b64 vcc, exec, s[6:7]
	s_cbranch_vccz .LBB244_429
.LBB244_14:
	s_cmp_eq_u32 s33, 64
                                        ; implicit-def: $vgpr2_vgpr3
                                        ; implicit-def: $vgpr4_vgpr5
	s_cbranch_scc0 .LBB244_429
; %bb.15:
	s_mov_b32 s3, 0
	s_lshl_b32 s6, s2, 14
	s_mov_b32 s7, s3
	s_lshr_b64 s[8:9], s[36:37], 14
	s_lshl_b64 s[4:5], s[6:7], 2
	s_add_u32 s4, s40, s4
	s_addc_u32 s5, s41, s5
	s_cmp_lg_u64 s[8:9], s[2:3]
	s_cbranch_scc0 .LBB244_289
; %bb.16:
	v_lshlrev_b32_e32 v2, 2, v0
	v_mov_b32_e32 v3, 0
	v_lshl_add_u64 v[16:17], s[4:5], 0, v[2:3]
	s_waitcnt lgkmcnt(1)
	global_load_dword v1, v2, s[4:5] offset:3072
	v_add_co_u32_e32 v4, vcc, 0x1000, v16
	s_movk_i32 s7, 0x3000
	s_nop 0
	v_addc_co_u32_e32 v5, vcc, 0, v17, vcc
	v_add_co_u32_e32 v6, vcc, s7, v16
	s_movk_i32 s7, 0x2000
	s_waitcnt lgkmcnt(0)
	v_addc_co_u32_e32 v7, vcc, 0, v17, vcc
	global_load_dword v8, v[6:7], off offset:-4096
	global_load_dword v10, v[4:5], off
	global_load_dword v12, v[4:5], off offset:1024
	global_load_dword v20, v[4:5], off offset:2048
	;; [unrolled: 1-line block ×3, first 2 shown]
	v_add_co_u32_e32 v4, vcc, s7, v16
	s_movk_i32 s8, 0x5000
	s_nop 0
	v_addc_co_u32_e32 v5, vcc, 0, v17, vcc
	v_add_co_u32_e32 v18, vcc, s8, v16
	global_load_dword v22, v[4:5], off offset:1024
	global_load_dword v23, v[4:5], off offset:2048
	;; [unrolled: 1-line block ×3, first 2 shown]
	global_load_dword v25, v[6:7], off
	global_load_dword v26, v[6:7], off offset:1024
	global_load_dword v28, v[6:7], off offset:2048
	s_movk_i32 s7, 0x4000
	v_addc_co_u32_e32 v19, vcc, 0, v17, vcc
	v_add_co_u32_e32 v14, vcc, s7, v16
	global_load_dword v32, v[6:7], off offset:3072
	global_load_dword v33, v[18:19], off offset:-4096
	v_addc_co_u32_e32 v15, vcc, 0, v17, vcc
	global_load_dword v34, v[14:15], off offset:1024
	global_load_dword v38, v[14:15], off offset:2048
	global_load_dword v39, v[14:15], off offset:3072
	global_load_dword v40, v[18:19], off
	s_movk_i32 s8, 0x7000
	global_load_dword v42, v[18:19], off offset:1024
	global_load_dword v44, v[18:19], off offset:2048
	v_add_co_u32_e32 v30, vcc, s8, v16
	s_movk_i32 s7, 0x6000
	s_nop 0
	v_addc_co_u32_e32 v31, vcc, 0, v17, vcc
	global_load_dword v46, v[18:19], off offset:3072
	global_load_dword v48, v[30:31], off offset:-4096
	v_add_co_u32_e32 v18, vcc, s7, v16
	s_mov_b32 s7, 0x8000
	s_nop 0
	v_addc_co_u32_e32 v19, vcc, 0, v17, vcc
	global_load_dword v50, v[18:19], off offset:1024
	global_load_dword v52, v[18:19], off offset:2048
	;; [unrolled: 1-line block ×3, first 2 shown]
	global_load_dword v56, v[30:31], off
	global_load_dword v58, v[30:31], off offset:1024
	s_mov_b32 s8, 0xb000
	v_mov_b32_e32 v5, s3
	v_mov_b32_e32 v7, s3
	;; [unrolled: 1-line block ×31, first 2 shown]
	global_load_dword v66, v[30:31], off offset:3072
	v_mov_b32_e32 v99, s3
	s_waitcnt vmcnt(27)
	v_cmp_neq_f32_e32 vcc, 0, v1
	global_load_dword v1, v[30:31], off offset:2048
	v_mov_b32_e32 v31, s3
	v_cndmask_b32_e64 v4, 0, 1, vcc
	v_mov_b32_e32 v101, s3
	v_mov_b32_e32 v103, s3
	;; [unrolled: 1-line block ×3, first 2 shown]
	s_waitcnt vmcnt(27)
	v_cmp_neq_f32_e32 vcc, 0, v8
	v_mov_b32_e32 v107, s3
	v_mov_b32_e32 v109, s3
	v_cndmask_b32_e64 v14, 0, 1, vcc
	s_waitcnt vmcnt(26)
	v_cmp_neq_f32_e32 vcc, 0, v10
	v_mov_b32_e32 v111, s3
	v_mov_b32_e32 v113, s3
	v_cndmask_b32_e64 v6, 0, 1, vcc
	;; [unrolled: 5-line block ×5, first 2 shown]
	s_waitcnt vmcnt(22)
	v_cmp_neq_f32_e32 vcc, 0, v22
	v_mov_b32_e32 v125, s3
	s_nop 0
	v_cndmask_b32_e64 v18, 0, 1, vcc
	s_waitcnt vmcnt(21)
	v_cmp_neq_f32_e32 vcc, 0, v23
	v_mov_b32_e32 v23, s3
	s_nop 0
	v_cndmask_b32_e64 v20, 0, 1, vcc
	s_waitcnt vmcnt(20)
	v_cmp_neq_f32_e32 vcc, 0, v24
	s_nop 1
	v_cndmask_b32_e64 v22, 0, 1, vcc
	s_waitcnt vmcnt(19)
	v_cmp_neq_f32_e32 vcc, 0, v25
	v_mov_b32_e32 v25, s3
	s_nop 0
	v_cndmask_b32_e64 v24, 0, 1, vcc
	s_waitcnt vmcnt(18)
	v_cmp_neq_f32_e32 vcc, 0, v26
	s_nop 1
	v_cndmask_b32_e64 v26, 0, 1, vcc
	s_waitcnt vmcnt(17)
	v_cmp_neq_f32_e32 vcc, 0, v28
	;; [unrolled: 4-line block ×4, first 2 shown]
	v_mov_b32_e32 v33, s3
	s_nop 0
	v_cndmask_b32_e64 v32, 0, 1, vcc
	s_waitcnt vmcnt(14)
	v_cmp_neq_f32_e32 vcc, 0, v34
	s_nop 1
	v_cndmask_b32_e64 v34, 0, 1, vcc
	v_add_co_u32_e32 v36, vcc, s7, v16
	s_mov_b32 s7, 0x9000
	s_nop 0
	v_addc_co_u32_e32 v37, vcc, 0, v17, vcc
	v_add_co_u32_e32 v60, vcc, s7, v16
	s_mov_b32 s7, 0xa000
	s_nop 0
	v_addc_co_u32_e32 v61, vcc, 0, v17, vcc
	global_load_dword v68, v[60:61], off offset:-4096
	global_load_dword v70, v[36:37], off offset:1024
	global_load_dword v72, v[36:37], off offset:2048
	;; [unrolled: 1-line block ×3, first 2 shown]
	s_waitcnt vmcnt(17)
	v_cmp_neq_f32_e32 vcc, 0, v38
	global_load_dword v74, v[60:61], off
	global_load_dword v75, v[60:61], off offset:1024
	global_load_dword v76, v[60:61], off offset:2048
	v_cndmask_b32_e64 v36, 0, 1, vcc
	s_waitcnt vmcnt(19)
	v_cmp_neq_f32_e32 vcc, 0, v39
	v_mov_b32_e32 v37, s3
	v_mov_b32_e32 v39, s3
	v_cndmask_b32_e64 v38, 0, 1, vcc
	s_waitcnt vmcnt(18)
	v_cmp_neq_f32_e32 vcc, 0, v40
	s_nop 1
	v_cndmask_b32_e64 v40, 0, 1, vcc
	s_waitcnt vmcnt(17)
	v_cmp_neq_f32_e32 vcc, 0, v42
	s_nop 1
	;; [unrolled: 4-line block ×10, first 2 shown]
	v_cndmask_b32_e64 v58, 0, 1, vcc
	v_add_co_u32_e32 v64, vcc, s8, v16
	s_mov_b32 s8, 0xd000
	s_nop 0
	v_addc_co_u32_e32 v65, vcc, 0, v17, vcc
	v_add_co_u32_e32 v62, vcc, s7, v16
	global_load_dword v77, v[60:61], off offset:3072
	global_load_dword v78, v[64:65], off offset:-4096
	v_addc_co_u32_e32 v63, vcc, 0, v17, vcc
	global_load_dword v80, v[62:63], off offset:1024
	global_load_dword v82, v[62:63], off offset:2048
	s_waitcnt vmcnt(11)
	v_cmp_neq_f32_e32 vcc, 0, v1
	global_load_dword v1, v[62:63], off offset:3072
	global_load_dword v86, v[64:65], off
	global_load_dword v88, v[64:65], off offset:1024
	global_load_dword v90, v[64:65], off offset:2048
	v_cndmask_b32_e64 v60, 0, 1, vcc
	v_cmp_neq_f32_e32 vcc, 0, v66
	s_mov_b32 s7, 0xc000
	v_mov_b32_e32 v61, s3
	v_cndmask_b32_e64 v62, 0, 1, vcc
	v_add_co_u32_e32 v66, vcc, s8, v16
	s_mov_b32 s8, 0xf000
	s_nop 0
	v_addc_co_u32_e32 v67, vcc, 0, v17, vcc
	global_load_dword v92, v[64:65], off offset:3072
	global_load_dword v94, v[66:67], off offset:-4096
	v_add_co_u32_e32 v64, vcc, s7, v16
	s_mov_b32 s7, 0xe000
	s_nop 0
	v_addc_co_u32_e32 v65, vcc, 0, v17, vcc
	global_load_dword v96, v[64:65], off offset:1024
	global_load_dword v98, v[64:65], off offset:2048
	;; [unrolled: 1-line block ×3, first 2 shown]
	s_waitcnt vmcnt(19)
	v_cmp_neq_f32_e32 vcc, 0, v68
	global_load_dword v102, v[66:67], off
	global_load_dword v104, v[66:67], off offset:1024
	global_load_dword v106, v[66:67], off offset:2048
	v_cndmask_b32_e64 v68, 0, 1, vcc
	s_waitcnt vmcnt(21)
	v_cmp_neq_f32_e32 vcc, 0, v70
	v_mov_b32_e32 v63, s3
	v_mov_b32_e32 v65, s3
	v_cndmask_b32_e64 v64, 0, 1, vcc
	v_add_co_u32_e32 v70, vcc, s8, v16
	s_nop 1
	v_addc_co_u32_e32 v71, vcc, 0, v17, vcc
	v_add_co_u32_e32 v16, vcc, s7, v16
	global_load_dword v108, v[66:67], off offset:3072
	global_load_dword v110, v[70:71], off offset:-4096
	v_addc_co_u32_e32 v17, vcc, 0, v17, vcc
	global_load_dword v112, v[16:17], off offset:1024
	global_load_dword v114, v[16:17], off offset:2048
	global_load_dword v126, v2, s[4:5]
	global_load_dword v127, v2, s[4:5] offset:1024
	global_load_dword v128, v2, s[4:5] offset:2048
	global_load_dword v116, v[16:17], off offset:3072
	global_load_dword v120, v[70:71], off offset:1024
	;; [unrolled: 1-line block ×4, first 2 shown]
	s_waitcnt vmcnt(31)
	v_cmp_neq_f32_e32 vcc, 0, v72
	global_load_dword v2, v[70:71], off
	v_mov_b32_e32 v17, s3
	v_cndmask_b32_e64 v16, 0, 1, vcc
	s_waitcnt vmcnt(31)
	v_cmp_neq_f32_e32 vcc, 0, v73
	v_mov_b32_e32 v67, s3
	v_mov_b32_e32 v73, s3
	v_cndmask_b32_e64 v66, 0, 1, vcc
	s_waitcnt vmcnt(30)
	v_cmp_neq_f32_e32 vcc, 0, v74
	v_mov_b32_e32 v71, s3
	s_nop 0
	v_cndmask_b32_e64 v72, 0, 1, vcc
	s_waitcnt vmcnt(29)
	v_cmp_neq_f32_e32 vcc, 0, v75
	v_mov_b32_e32 v75, s3
	s_nop 0
	v_cndmask_b32_e64 v70, 0, 1, vcc
	s_waitcnt vmcnt(28)
	v_cmp_neq_f32_e32 vcc, 0, v76
	s_nop 1
	v_cndmask_b32_e64 v74, 0, 1, vcc
	s_waitcnt vmcnt(27)
	v_cmp_neq_f32_e32 vcc, 0, v77
	;; [unrolled: 4-line block ×3, first 2 shown]
	v_mov_b32_e32 v77, s3
	s_nop 0
	v_cndmask_b32_e64 v78, 0, 1, vcc
	s_waitcnt vmcnt(25)
	v_cmp_neq_f32_e32 vcc, 0, v80
	s_nop 1
	v_cndmask_b32_e64 v80, 0, 1, vcc
	s_waitcnt vmcnt(24)
	v_cmp_neq_f32_e32 vcc, 0, v82
	;; [unrolled: 4-line block ×20, first 2 shown]
	s_nop 1
	v_cndmask_b32_e64 v118, 0, 1, vcc
	v_cmp_neq_f32_e32 vcc, 0, v120
	s_nop 1
	v_cndmask_b32_e64 v120, 0, 1, vcc
	v_cmp_neq_f32_e32 vcc, 0, v122
	;; [unrolled: 3-line block ×6, first 2 shown]
	s_nop 1
	v_addc_co_u32_e32 v2, vcc, v1, v2, vcc
	v_lshl_add_u64 v[4:5], v[2:3], 0, v[4:5]
	v_lshl_add_u64 v[4:5], v[4:5], 0, v[6:7]
	;; [unrolled: 1-line block ×61, first 2 shown]
	v_mov_b32_dpp v7, v3 quad_perm:[1,0,3,2] row_mask:0xf bank_mask:0xf bound_ctrl:1
	v_mov_b32_e32 v6, v3
	v_mov_b32_dpp v2, v4 quad_perm:[1,0,3,2] row_mask:0xf bank_mask:0xf bound_ctrl:1
	v_lshl_add_u64 v[4:5], v[4:5], 0, v[2:3]
	v_lshl_add_u64 v[6:7], v[6:7], 0, v[4:5]
	v_mbcnt_lo_u32_b32 v1, -1, 0
	v_mov_b32_dpp v2, v4 quad_perm:[2,3,0,1] row_mask:0xf bank_mask:0xf bound_ctrl:1
	v_mov_b32_dpp v5, v7 quad_perm:[2,3,0,1] row_mask:0xf bank_mask:0xf bound_ctrl:1
	v_mov_b32_e32 v4, v3
	v_lshl_add_u64 v[6:7], v[6:7], 0, v[2:3]
	v_lshl_add_u64 v[4:5], v[6:7], 0, v[4:5]
	v_mbcnt_hi_u32_b32 v1, -1, v1
	v_mov_b32_dpp v2, v6 row_ror:4 row_mask:0xf bank_mask:0xf bound_ctrl:1
	v_mov_b32_dpp v7, v5 row_ror:4 row_mask:0xf bank_mask:0xf bound_ctrl:1
	v_mov_b32_e32 v6, v3
	v_lshl_add_u64 v[4:5], v[4:5], 0, v[2:3]
	v_lshl_add_u64 v[6:7], v[4:5], 0, v[6:7]
	v_cmp_eq_u32_e32 vcc, 0, v1
	v_mov_b32_dpp v2, v4 row_ror:8 row_mask:0xf bank_mask:0xf bound_ctrl:1
	v_mov_b32_dpp v5, v7 row_ror:8 row_mask:0xf bank_mask:0xf bound_ctrl:1
	v_mov_b32_e32 v4, v3
	v_lshl_add_u64 v[6:7], v[6:7], 0, v[2:3]
	v_lshl_add_u64 v[4:5], v[6:7], 0, v[4:5]
	s_nop 0
	v_mov_b32_dpp v2, v6 row_bcast:15 row_mask:0xf bank_mask:0xf bound_ctrl:1
	v_mov_b32_dpp v7, v5 row_bcast:15 row_mask:0xf bank_mask:0xf bound_ctrl:1
	v_mov_b32_e32 v6, v3
	v_lshl_add_u64 v[4:5], v[4:5], 0, v[2:3]
	v_lshl_add_u64 v[6:7], v[4:5], 0, v[6:7]
	s_nop 0
	v_mov_b32_dpp v2, v4 row_bcast:31 row_mask:0xf bank_mask:0xf bound_ctrl:1
	v_lshl_add_u64 v[2:3], v[6:7], 0, v[2:3]
	v_lshlrev_b32_e32 v4, 2, v1
	v_or_b32_e32 v5, 0xfc, v4
	v_add_u32_dpp v3, v7, v3 row_bcast:31 row_mask:0xf bank_mask:0xf bound_ctrl:1
	ds_bpermute_b32 v2, v5, v2
	ds_bpermute_b32 v3, v5, v3
	s_and_saveexec_b64 s[8:9], vcc
	s_cbranch_execz .LBB244_18
; %bb.17:
	v_lshrrev_b32_e32 v5, 3, v0
	v_and_b32_e32 v5, 24, v5
	s_waitcnt lgkmcnt(0)
	ds_write_b64 v5, v[2:3] offset:192
.LBB244_18:
	s_or_b64 exec, exec, s[8:9]
	v_cmp_gt_u32_e32 vcc, 64, v0
	s_waitcnt lgkmcnt(0)
	s_barrier
	s_and_saveexec_b64 s[8:9], vcc
	s_cbranch_execz .LBB244_20
; %bb.19:
	v_and_b32_e32 v5, 3, v1
	v_lshlrev_b32_e32 v2, 3, v5
	ds_read_b64 v[2:3], v2 offset:192
	v_cmp_ne_u32_e32 vcc, 3, v5
	v_mov_b32_e32 v8, 0
	v_mov_b32_e32 v7, v8
	v_addc_co_u32_e32 v1, vcc, 0, v1, vcc
	v_lshlrev_b32_e32 v1, 2, v1
	s_waitcnt lgkmcnt(0)
	ds_bpermute_b32 v6, v1, v2
	ds_bpermute_b32 v9, v1, v3
	v_or_b32_e32 v1, 8, v4
	s_waitcnt lgkmcnt(1)
	v_lshl_add_u64 v[2:3], v[2:3], 0, v[6:7]
	s_waitcnt lgkmcnt(0)
	v_lshl_add_u64 v[4:5], v[8:9], 0, v[2:3]
	ds_bpermute_b32 v2, v1, v2
	ds_bpermute_b32 v9, v1, v5
	v_mov_b32_e32 v3, v8
	s_waitcnt lgkmcnt(1)
	v_lshl_add_u64 v[2:3], v[4:5], 0, v[2:3]
	s_waitcnt lgkmcnt(0)
	v_lshl_add_u64 v[2:3], v[2:3], 0, v[8:9]
.LBB244_20:
	s_or_b64 exec, exec, s[8:9]
	s_mov_b64 s[8:9], 0
	s_branch .LBB244_290
.LBB244_21:
	s_mov_b64 s[4:5], -1
                                        ; implicit-def: $vgpr2_vgpr3
.LBB244_22:
	s_and_b64 vcc, exec, s[4:5]
	s_cbranch_vccz .LBB244_288
; %bb.23:
	s_sub_i32 s10, s36, s10
	v_cmp_gt_u32_e32 vcc, s10, v0
                                        ; implicit-def: $vgpr4_vgpr5
	s_and_saveexec_b64 s[4:5], vcc
	s_cbranch_execz .LBB244_25
; %bb.24:
	v_lshlrev_b32_e32 v1, 2, v0
	global_load_dword v1, v1, s[8:9]
	s_mov_b32 s11, 0
	v_mov_b32_e32 v5, s11
	s_waitcnt vmcnt(0)
	v_cmp_neq_f32_e32 vcc, 0, v1
	s_nop 1
	v_cndmask_b32_e64 v4, 0, 1, vcc
.LBB244_25:
	s_or_b64 exec, exec, s[4:5]
	v_or_b32_e32 v1, 0x100, v0
	v_cmp_gt_u32_e32 vcc, s10, v1
	v_mov_b64_e32 v[2:3], 0
	v_mov_b64_e32 v[6:7], 0
	s_and_saveexec_b64 s[4:5], vcc
	s_cbranch_execz .LBB244_27
; %bb.26:
	v_lshlrev_b32_e32 v1, 2, v0
	global_load_dword v1, v1, s[8:9] offset:1024
	s_mov_b32 s11, 0
	v_mov_b32_e32 v7, s11
	s_waitcnt vmcnt(0)
	v_cmp_neq_f32_e32 vcc, 0, v1
	s_nop 1
	v_cndmask_b32_e64 v6, 0, 1, vcc
.LBB244_27:
	s_or_b64 exec, exec, s[4:5]
	v_or_b32_e32 v1, 0x200, v0
	v_cmp_gt_u32_e32 vcc, s10, v1
	s_and_saveexec_b64 s[4:5], vcc
	s_cbranch_execz .LBB244_29
; %bb.28:
	v_lshlrev_b32_e32 v1, 2, v0
	global_load_dword v1, v1, s[8:9] offset:2048
	s_mov_b32 s11, 0
	v_mov_b32_e32 v3, s11
	s_waitcnt vmcnt(0)
	v_cmp_neq_f32_e32 vcc, 0, v1
	s_nop 1
	v_cndmask_b32_e64 v2, 0, 1, vcc
.LBB244_29:
	s_or_b64 exec, exec, s[4:5]
	v_or_b32_e32 v1, 0x300, v0
	v_cmp_gt_u32_e32 vcc, s10, v1
	v_mov_b64_e32 v[8:9], 0
	v_mov_b64_e32 v[10:11], 0
	s_and_saveexec_b64 s[4:5], vcc
	s_cbranch_execz .LBB244_31
; %bb.30:
	v_lshlrev_b32_e32 v1, 2, v0
	global_load_dword v1, v1, s[8:9] offset:3072
	s_mov_b32 s11, 0
	v_mov_b32_e32 v11, s11
	s_waitcnt vmcnt(0)
	v_cmp_neq_f32_e32 vcc, 0, v1
	s_nop 1
	v_cndmask_b32_e64 v10, 0, 1, vcc
.LBB244_31:
	s_or_b64 exec, exec, s[4:5]
	v_or_b32_e32 v1, 0x400, v0
	v_cmp_gt_u32_e32 vcc, s10, v1
	s_and_saveexec_b64 s[4:5], vcc
	s_cbranch_execz .LBB244_33
; %bb.32:
	v_lshlrev_b32_e32 v1, 2, v1
	global_load_dword v1, v1, s[8:9]
	s_mov_b32 s11, 0
	v_mov_b32_e32 v9, s11
	s_waitcnt vmcnt(0)
	v_cmp_neq_f32_e32 vcc, 0, v1
	s_nop 1
	v_cndmask_b32_e64 v8, 0, 1, vcc
.LBB244_33:
	s_or_b64 exec, exec, s[4:5]
	v_or_b32_e32 v1, 0x500, v0
	v_cmp_gt_u32_e32 vcc, s10, v1
	v_mov_b64_e32 v[12:13], 0
	v_mov_b64_e32 v[14:15], 0
	s_and_saveexec_b64 s[4:5], vcc
	s_cbranch_execz .LBB244_35
; %bb.34:
	v_lshlrev_b32_e32 v1, 2, v1
	global_load_dword v1, v1, s[8:9]
	s_mov_b32 s11, 0
	v_mov_b32_e32 v15, s11
	s_waitcnt vmcnt(0)
	v_cmp_neq_f32_e32 vcc, 0, v1
	s_nop 1
	v_cndmask_b32_e64 v14, 0, 1, vcc
.LBB244_35:
	s_or_b64 exec, exec, s[4:5]
	v_or_b32_e32 v1, 0x600, v0
	v_cmp_gt_u32_e32 vcc, s10, v1
	s_and_saveexec_b64 s[4:5], vcc
	s_cbranch_execz .LBB244_37
; %bb.36:
	v_lshlrev_b32_e32 v1, 2, v1
	global_load_dword v1, v1, s[8:9]
	s_mov_b32 s11, 0
	v_mov_b32_e32 v13, s11
	s_waitcnt vmcnt(0)
	v_cmp_neq_f32_e32 vcc, 0, v1
	s_nop 1
	v_cndmask_b32_e64 v12, 0, 1, vcc
.LBB244_37:
	s_or_b64 exec, exec, s[4:5]
	v_or_b32_e32 v1, 0x700, v0
	v_cmp_gt_u32_e32 vcc, s10, v1
	v_mov_b64_e32 v[16:17], 0
	v_mov_b64_e32 v[18:19], 0
	s_and_saveexec_b64 s[4:5], vcc
	s_cbranch_execz .LBB244_39
; %bb.38:
	v_lshlrev_b32_e32 v1, 2, v1
	global_load_dword v1, v1, s[8:9]
	s_mov_b32 s11, 0
	v_mov_b32_e32 v19, s11
	s_waitcnt vmcnt(0)
	v_cmp_neq_f32_e32 vcc, 0, v1
	s_nop 1
	v_cndmask_b32_e64 v18, 0, 1, vcc
.LBB244_39:
	;; [unrolled: 32-line block ×61, first 2 shown]
	s_or_b64 exec, exec, s[4:5]
	v_or_b32_e32 v1, 0x7e00, v0
	v_cmp_gt_u32_e32 vcc, s10, v1
	s_and_saveexec_b64 s[4:5], vcc
	s_cbranch_execz .LBB244_277
; %bb.276:
	v_lshlrev_b32_e32 v1, 2, v1
	global_load_dword v1, v1, s[8:9]
	s_mov_b32 s11, 0
	v_mov_b32_e32 v253, s11
	s_waitcnt vmcnt(0)
	v_cmp_neq_f32_e32 vcc, 0, v1
	s_nop 1
	v_cndmask_b32_e64 v252, 0, 1, vcc
.LBB244_277:
	s_or_b64 exec, exec, s[4:5]
	v_accvgpr_write_b32 a2, v2
	v_or_b32_e32 v1, 0x7f00, v0
	v_accvgpr_write_b32 a3, v3
	v_cmp_gt_u32_e32 vcc, s10, v1
	v_mov_b64_e32 v[2:3], 0
	s_and_saveexec_b64 s[4:5], vcc
	s_cbranch_execz .LBB244_279
; %bb.278:
	v_lshlrev_b32_e32 v1, 2, v1
	global_load_dword v1, v1, s[8:9]
	s_mov_b32 s8, 0
	v_mov_b32_e32 v3, s8
	s_waitcnt vmcnt(0)
	v_cmp_neq_f32_e32 vcc, 0, v1
	s_nop 1
	v_cndmask_b32_e64 v2, 0, 1, vcc
.LBB244_279:
	s_or_b64 exec, exec, s[4:5]
	v_lshl_add_u64 v[6:7], v[6:7], 0, v[4:5]
	v_accvgpr_read_b32 v5, a3
	v_accvgpr_read_b32 v4, a2
	v_lshl_add_u64 v[4:5], v[6:7], 0, v[4:5]
	v_lshl_add_u64 v[4:5], v[4:5], 0, v[10:11]
	;; [unrolled: 1-line block ×123, first 2 shown]
	v_mbcnt_lo_u32_b32 v1, -1, 0
	v_lshl_add_u64 v[4:5], v[4:5], 0, v[254:255]
	v_mbcnt_hi_u32_b32 v1, -1, v1
	v_lshl_add_u64 v[4:5], v[4:5], 0, v[252:253]
	v_and_b32_e32 v9, 63, v1
	v_lshl_add_u64 v[2:3], v[4:5], 0, v[2:3]
	s_min_u32 s10, s10, 0x100
	v_and_b32_e32 v4, 0xc0, v0
	v_cmp_ne_u32_e32 vcc, 63, v9
	v_sub_u32_e64 v8, s10, v4 clamp
	v_add_u32_e32 v5, 1, v9
	v_addc_co_u32_e32 v4, vcc, 0, v1, vcc
	v_lshlrev_b32_e32 v6, 2, v4
	ds_bpermute_b32 v4, v6, v2
	ds_bpermute_b32 v7, v6, v3
	v_mov_b32_e32 v6, 0
	v_cmp_lt_u32_e32 vcc, v5, v8
	v_mov_b32_e32 v5, v6
	s_waitcnt lgkmcnt(1)
	v_lshl_add_u64 v[4:5], v[2:3], 0, v[4:5]
	s_waitcnt lgkmcnt(0)
	v_lshl_add_u64 v[6:7], v[6:7], 0, v[4:5]
	v_cmp_gt_u32_e64 s[4:5], 62, v9
	v_cndmask_b32_e32 v10, v2, v4, vcc
	v_cndmask_b32_e32 v4, v2, v6, vcc
	v_cndmask_b32_e64 v6, 0, 2, s[4:5]
	v_cndmask_b32_e32 v5, v3, v7, vcc
	v_add_lshl_u32 v7, v6, v1, 2
	ds_bpermute_b32 v6, v7, v10
	ds_bpermute_b32 v7, v7, v5
	v_add_u32_e32 v11, 2, v9
	v_cmp_lt_u32_e64 s[4:5], v11, v8
	v_add_u32_e32 v11, 4, v9
	s_waitcnt lgkmcnt(0)
	v_lshl_add_u64 v[6:7], v[6:7], 0, v[4:5]
	v_cndmask_b32_e64 v10, v10, v6, s[4:5]
	v_cndmask_b32_e64 v5, v5, v7, s[4:5]
	v_cndmask_b32_e64 v4, v4, v6, s[4:5]
	v_cmp_gt_u32_e64 s[4:5], 60, v9
	s_nop 1
	v_cndmask_b32_e64 v6, 0, 4, s[4:5]
	v_add_lshl_u32 v7, v6, v1, 2
	ds_bpermute_b32 v6, v7, v10
	ds_bpermute_b32 v7, v7, v5
	v_cmp_lt_u32_e64 s[4:5], v11, v8
	v_add_u32_e32 v11, 8, v9
	s_waitcnt lgkmcnt(0)
	v_lshl_add_u64 v[6:7], v[6:7], 0, v[4:5]
	v_cndmask_b32_e64 v10, v10, v6, s[4:5]
	v_cndmask_b32_e64 v5, v5, v7, s[4:5]
	v_cndmask_b32_e64 v4, v4, v6, s[4:5]
	v_cmp_gt_u32_e64 s[4:5], 56, v9
	s_nop 1
	v_cndmask_b32_e64 v6, 0, 8, s[4:5]
	v_add_lshl_u32 v7, v6, v1, 2
	ds_bpermute_b32 v6, v7, v10
	ds_bpermute_b32 v7, v7, v5
	;; [unrolled: 13-line block ×3, first 2 shown]
	v_cmp_lt_u32_e64 s[4:5], v11, v8
	s_waitcnt lgkmcnt(0)
	v_lshl_add_u64 v[6:7], v[6:7], 0, v[4:5]
	v_cndmask_b32_e64 v11, v10, v6, s[4:5]
	v_lshlrev_b32_e32 v10, 2, v1
	v_cndmask_b32_e64 v12, v5, v7, s[4:5]
	v_or_b32_e32 v13, 0x80, v10
	ds_bpermute_b32 v11, v13, v11
	ds_bpermute_b32 v12, v13, v12
	s_and_saveexec_b64 s[8:9], vcc
	s_cbranch_execz .LBB244_281
; %bb.280:
	v_add_u32_e32 v9, 32, v9
	v_cmp_lt_u32_e32 vcc, v9, v8
	v_cndmask_b32_e64 v3, v5, v7, s[4:5]
	v_cndmask_b32_e64 v2, v4, v6, s[4:5]
	s_waitcnt lgkmcnt(0)
	v_cndmask_b32_e32 v5, 0, v12, vcc
	v_cndmask_b32_e32 v4, 0, v11, vcc
	v_lshl_add_u64 v[2:3], v[4:5], 0, v[2:3]
.LBB244_281:
	s_or_b64 exec, exec, s[8:9]
	v_cmp_eq_u32_e32 vcc, 0, v1
	s_and_saveexec_b64 s[4:5], vcc
; %bb.282:
	v_lshrrev_b32_e32 v4, 3, v0
	v_and_b32_e32 v4, 24, v4
	ds_write_b64 v4, v[2:3] offset:256
; %bb.283:
	s_or_b64 exec, exec, s[4:5]
	v_cmp_gt_u32_e32 vcc, 4, v0
	s_waitcnt lgkmcnt(0)
	s_barrier
	s_and_saveexec_b64 s[4:5], vcc
	s_cbranch_execz .LBB244_287
; %bb.284:
	v_lshlrev_b32_e32 v2, 3, v1
	ds_read_b64 v[2:3], v2 offset:256
	v_and_b32_e32 v6, 3, v1
	v_cmp_ne_u32_e32 vcc, 3, v6
	v_mov_b32_e32 v8, 0
	s_add_i32 s10, s10, 63
	v_addc_co_u32_e32 v1, vcc, 0, v1, vcc
	v_lshlrev_b32_e32 v1, 2, v1
	s_waitcnt lgkmcnt(0)
	ds_bpermute_b32 v4, v1, v2
	ds_bpermute_b32 v9, v1, v3
	v_mov_b32_e32 v5, v8
	s_lshr_b32 s10, s10, 6
	v_add_u32_e32 v1, 1, v6
	s_waitcnt lgkmcnt(1)
	v_lshl_add_u64 v[12:13], v[2:3], 0, v[4:5]
	s_waitcnt lgkmcnt(0)
	v_lshl_add_u64 v[4:5], v[8:9], 0, v[12:13]
	v_cmp_gt_u32_e32 vcc, s10, v1
	v_or_b32_e32 v8, 8, v10
	s_nop 0
	v_cndmask_b32_e32 v7, v3, v5, vcc
	v_cndmask_b32_e32 v1, v2, v12, vcc
	ds_bpermute_b32 v1, v8, v1
	ds_bpermute_b32 v7, v8, v7
	s_and_saveexec_b64 s[8:9], vcc
	s_cbranch_execz .LBB244_286
; %bb.285:
	v_add_u32_e32 v2, 2, v6
	v_cmp_gt_u32_e32 vcc, s10, v2
	s_waitcnt lgkmcnt(0)
	s_nop 0
	v_cndmask_b32_e32 v3, 0, v7, vcc
	v_cndmask_b32_e32 v2, 0, v1, vcc
	v_lshl_add_u64 v[2:3], v[2:3], 0, v[4:5]
.LBB244_286:
	s_or_b64 exec, exec, s[8:9]
.LBB244_287:
	s_or_b64 exec, exec, s[4:5]
.LBB244_288:
	v_cmp_eq_u32_e64 s[4:5], 0, v0
	v_mov_b64_e32 v[4:5], s[2:3]
	s_and_b64 vcc, exec, s[6:7]
	s_cbranch_vccnz .LBB244_14
	s_branch .LBB244_429
.LBB244_289:
	s_mov_b64 s[8:9], -1
                                        ; implicit-def: $vgpr2_vgpr3
.LBB244_290:
	s_and_b64 vcc, exec, s[8:9]
	s_cbranch_vccz .LBB244_428
; %bb.291:
	s_sub_i32 s8, s36, s6
	v_cmp_gt_u32_e32 vcc, s8, v0
                                        ; implicit-def: $vgpr2_vgpr3
	s_and_saveexec_b64 s[6:7], vcc
	s_cbranch_execz .LBB244_293
; %bb.292:
	s_waitcnt lgkmcnt(1)
	v_lshlrev_b32_e32 v1, 2, v0
	global_load_dword v1, v1, s[4:5]
	s_mov_b32 s9, 0
	v_mov_b32_e32 v3, s9
	s_waitcnt vmcnt(0)
	v_cmp_neq_f32_e32 vcc, 0, v1
	s_nop 1
	v_cndmask_b32_e64 v2, 0, 1, vcc
.LBB244_293:
	s_or_b64 exec, exec, s[6:7]
	s_waitcnt lgkmcnt(1)
	v_or_b32_e32 v1, 0x100, v0
	v_cmp_gt_u32_e32 vcc, s8, v1
	v_mov_b64_e32 v[4:5], 0
	s_waitcnt lgkmcnt(0)
	v_mov_b64_e32 v[6:7], 0
	s_and_saveexec_b64 s[6:7], vcc
	s_cbranch_execz .LBB244_295
; %bb.294:
	v_lshlrev_b32_e32 v1, 2, v0
	global_load_dword v1, v1, s[4:5] offset:1024
	s_mov_b32 s9, 0
	v_mov_b32_e32 v7, s9
	s_waitcnt vmcnt(0)
	v_cmp_neq_f32_e32 vcc, 0, v1
	s_nop 1
	v_cndmask_b32_e64 v6, 0, 1, vcc
.LBB244_295:
	s_or_b64 exec, exec, s[6:7]
	v_or_b32_e32 v1, 0x200, v0
	v_cmp_gt_u32_e32 vcc, s8, v1
	s_and_saveexec_b64 s[6:7], vcc
	s_cbranch_execz .LBB244_297
; %bb.296:
	v_lshlrev_b32_e32 v1, 2, v0
	global_load_dword v1, v1, s[4:5] offset:2048
	s_mov_b32 s9, 0
	v_mov_b32_e32 v5, s9
	s_waitcnt vmcnt(0)
	v_cmp_neq_f32_e32 vcc, 0, v1
	s_nop 1
	v_cndmask_b32_e64 v4, 0, 1, vcc
.LBB244_297:
	s_or_b64 exec, exec, s[6:7]
	v_or_b32_e32 v1, 0x300, v0
	v_cmp_gt_u32_e32 vcc, s8, v1
	v_mov_b64_e32 v[8:9], 0
	v_mov_b64_e32 v[10:11], 0
	s_and_saveexec_b64 s[6:7], vcc
	s_cbranch_execz .LBB244_299
; %bb.298:
	v_lshlrev_b32_e32 v1, 2, v0
	global_load_dword v1, v1, s[4:5] offset:3072
	s_mov_b32 s9, 0
	v_mov_b32_e32 v11, s9
	s_waitcnt vmcnt(0)
	v_cmp_neq_f32_e32 vcc, 0, v1
	s_nop 1
	v_cndmask_b32_e64 v10, 0, 1, vcc
.LBB244_299:
	s_or_b64 exec, exec, s[6:7]
	v_or_b32_e32 v1, 0x400, v0
	v_cmp_gt_u32_e32 vcc, s8, v1
	s_and_saveexec_b64 s[6:7], vcc
	s_cbranch_execz .LBB244_301
; %bb.300:
	v_lshlrev_b32_e32 v1, 2, v1
	global_load_dword v1, v1, s[4:5]
	s_mov_b32 s9, 0
	v_mov_b32_e32 v9, s9
	s_waitcnt vmcnt(0)
	v_cmp_neq_f32_e32 vcc, 0, v1
	s_nop 1
	v_cndmask_b32_e64 v8, 0, 1, vcc
.LBB244_301:
	s_or_b64 exec, exec, s[6:7]
	v_or_b32_e32 v1, 0x500, v0
	v_cmp_gt_u32_e32 vcc, s8, v1
	v_mov_b64_e32 v[12:13], 0
	v_mov_b64_e32 v[14:15], 0
	s_and_saveexec_b64 s[6:7], vcc
	s_cbranch_execz .LBB244_303
; %bb.302:
	v_lshlrev_b32_e32 v1, 2, v1
	global_load_dword v1, v1, s[4:5]
	s_mov_b32 s9, 0
	v_mov_b32_e32 v15, s9
	s_waitcnt vmcnt(0)
	v_cmp_neq_f32_e32 vcc, 0, v1
	s_nop 1
	v_cndmask_b32_e64 v14, 0, 1, vcc
.LBB244_303:
	s_or_b64 exec, exec, s[6:7]
	v_or_b32_e32 v1, 0x600, v0
	v_cmp_gt_u32_e32 vcc, s8, v1
	s_and_saveexec_b64 s[6:7], vcc
	s_cbranch_execz .LBB244_305
; %bb.304:
	v_lshlrev_b32_e32 v1, 2, v1
	global_load_dword v1, v1, s[4:5]
	s_mov_b32 s9, 0
	v_mov_b32_e32 v13, s9
	s_waitcnt vmcnt(0)
	v_cmp_neq_f32_e32 vcc, 0, v1
	s_nop 1
	v_cndmask_b32_e64 v12, 0, 1, vcc
.LBB244_305:
	s_or_b64 exec, exec, s[6:7]
	v_or_b32_e32 v1, 0x700, v0
	v_cmp_gt_u32_e32 vcc, s8, v1
	v_mov_b64_e32 v[16:17], 0
	v_mov_b64_e32 v[18:19], 0
	s_and_saveexec_b64 s[6:7], vcc
	s_cbranch_execz .LBB244_307
; %bb.306:
	v_lshlrev_b32_e32 v1, 2, v1
	global_load_dword v1, v1, s[4:5]
	s_mov_b32 s9, 0
	v_mov_b32_e32 v19, s9
	s_waitcnt vmcnt(0)
	v_cmp_neq_f32_e32 vcc, 0, v1
	s_nop 1
	v_cndmask_b32_e64 v18, 0, 1, vcc
.LBB244_307:
	s_or_b64 exec, exec, s[6:7]
	v_or_b32_e32 v1, 0x800, v0
	v_cmp_gt_u32_e32 vcc, s8, v1
	s_and_saveexec_b64 s[6:7], vcc
	s_cbranch_execz .LBB244_309
; %bb.308:
	v_lshlrev_b32_e32 v1, 2, v1
	global_load_dword v1, v1, s[4:5]
	s_mov_b32 s9, 0
	v_mov_b32_e32 v17, s9
	s_waitcnt vmcnt(0)
	v_cmp_neq_f32_e32 vcc, 0, v1
	s_nop 1
	v_cndmask_b32_e64 v16, 0, 1, vcc
.LBB244_309:
	s_or_b64 exec, exec, s[6:7]
	v_or_b32_e32 v1, 0x900, v0
	v_cmp_gt_u32_e32 vcc, s8, v1
	v_mov_b64_e32 v[20:21], 0
	v_mov_b64_e32 v[22:23], 0
	s_and_saveexec_b64 s[6:7], vcc
	s_cbranch_execz .LBB244_311
; %bb.310:
	v_lshlrev_b32_e32 v1, 2, v1
	global_load_dword v1, v1, s[4:5]
	s_mov_b32 s9, 0
	v_mov_b32_e32 v23, s9
	s_waitcnt vmcnt(0)
	v_cmp_neq_f32_e32 vcc, 0, v1
	s_nop 1
	v_cndmask_b32_e64 v22, 0, 1, vcc
.LBB244_311:
	s_or_b64 exec, exec, s[6:7]
	v_or_b32_e32 v1, 0xa00, v0
	v_cmp_gt_u32_e32 vcc, s8, v1
	s_and_saveexec_b64 s[6:7], vcc
	s_cbranch_execz .LBB244_313
; %bb.312:
	v_lshlrev_b32_e32 v1, 2, v1
	global_load_dword v1, v1, s[4:5]
	s_mov_b32 s9, 0
	v_mov_b32_e32 v21, s9
	s_waitcnt vmcnt(0)
	v_cmp_neq_f32_e32 vcc, 0, v1
	s_nop 1
	v_cndmask_b32_e64 v20, 0, 1, vcc
.LBB244_313:
	s_or_b64 exec, exec, s[6:7]
	v_or_b32_e32 v1, 0xb00, v0
	v_cmp_gt_u32_e32 vcc, s8, v1
	v_mov_b64_e32 v[24:25], 0
	v_mov_b64_e32 v[26:27], 0
	s_and_saveexec_b64 s[6:7], vcc
	s_cbranch_execz .LBB244_315
; %bb.314:
	v_lshlrev_b32_e32 v1, 2, v1
	global_load_dword v1, v1, s[4:5]
	s_mov_b32 s9, 0
	v_mov_b32_e32 v27, s9
	s_waitcnt vmcnt(0)
	v_cmp_neq_f32_e32 vcc, 0, v1
	s_nop 1
	v_cndmask_b32_e64 v26, 0, 1, vcc
.LBB244_315:
	s_or_b64 exec, exec, s[6:7]
	v_or_b32_e32 v1, 0xc00, v0
	v_cmp_gt_u32_e32 vcc, s8, v1
	s_and_saveexec_b64 s[6:7], vcc
	s_cbranch_execz .LBB244_317
; %bb.316:
	v_lshlrev_b32_e32 v1, 2, v1
	global_load_dword v1, v1, s[4:5]
	s_mov_b32 s9, 0
	v_mov_b32_e32 v25, s9
	s_waitcnt vmcnt(0)
	v_cmp_neq_f32_e32 vcc, 0, v1
	s_nop 1
	v_cndmask_b32_e64 v24, 0, 1, vcc
.LBB244_317:
	s_or_b64 exec, exec, s[6:7]
	v_or_b32_e32 v1, 0xd00, v0
	v_cmp_gt_u32_e32 vcc, s8, v1
	v_mov_b64_e32 v[28:29], 0
	v_mov_b64_e32 v[30:31], 0
	s_and_saveexec_b64 s[6:7], vcc
	s_cbranch_execz .LBB244_319
; %bb.318:
	v_lshlrev_b32_e32 v1, 2, v1
	global_load_dword v1, v1, s[4:5]
	s_mov_b32 s9, 0
	v_mov_b32_e32 v31, s9
	s_waitcnt vmcnt(0)
	v_cmp_neq_f32_e32 vcc, 0, v1
	s_nop 1
	v_cndmask_b32_e64 v30, 0, 1, vcc
.LBB244_319:
	s_or_b64 exec, exec, s[6:7]
	v_or_b32_e32 v1, 0xe00, v0
	v_cmp_gt_u32_e32 vcc, s8, v1
	s_and_saveexec_b64 s[6:7], vcc
	s_cbranch_execz .LBB244_321
; %bb.320:
	v_lshlrev_b32_e32 v1, 2, v1
	global_load_dword v1, v1, s[4:5]
	s_mov_b32 s9, 0
	v_mov_b32_e32 v29, s9
	s_waitcnt vmcnt(0)
	v_cmp_neq_f32_e32 vcc, 0, v1
	s_nop 1
	v_cndmask_b32_e64 v28, 0, 1, vcc
.LBB244_321:
	s_or_b64 exec, exec, s[6:7]
	v_or_b32_e32 v1, 0xf00, v0
	v_cmp_gt_u32_e32 vcc, s8, v1
	v_mov_b64_e32 v[32:33], 0
	v_mov_b64_e32 v[34:35], 0
	s_and_saveexec_b64 s[6:7], vcc
	s_cbranch_execz .LBB244_323
; %bb.322:
	v_lshlrev_b32_e32 v1, 2, v1
	global_load_dword v1, v1, s[4:5]
	s_mov_b32 s9, 0
	v_mov_b32_e32 v35, s9
	s_waitcnt vmcnt(0)
	v_cmp_neq_f32_e32 vcc, 0, v1
	s_nop 1
	v_cndmask_b32_e64 v34, 0, 1, vcc
.LBB244_323:
	s_or_b64 exec, exec, s[6:7]
	v_or_b32_e32 v1, 0x1000, v0
	v_cmp_gt_u32_e32 vcc, s8, v1
	s_and_saveexec_b64 s[6:7], vcc
	s_cbranch_execz .LBB244_325
; %bb.324:
	v_lshlrev_b32_e32 v1, 2, v1
	global_load_dword v1, v1, s[4:5]
	s_mov_b32 s9, 0
	v_mov_b32_e32 v33, s9
	s_waitcnt vmcnt(0)
	v_cmp_neq_f32_e32 vcc, 0, v1
	s_nop 1
	v_cndmask_b32_e64 v32, 0, 1, vcc
.LBB244_325:
	s_or_b64 exec, exec, s[6:7]
	v_or_b32_e32 v1, 0x1100, v0
	v_cmp_gt_u32_e32 vcc, s8, v1
	v_mov_b64_e32 v[36:37], 0
	v_mov_b64_e32 v[38:39], 0
	s_and_saveexec_b64 s[6:7], vcc
	s_cbranch_execz .LBB244_327
; %bb.326:
	v_lshlrev_b32_e32 v1, 2, v1
	global_load_dword v1, v1, s[4:5]
	s_mov_b32 s9, 0
	v_mov_b32_e32 v39, s9
	s_waitcnt vmcnt(0)
	v_cmp_neq_f32_e32 vcc, 0, v1
	s_nop 1
	v_cndmask_b32_e64 v38, 0, 1, vcc
.LBB244_327:
	s_or_b64 exec, exec, s[6:7]
	v_or_b32_e32 v1, 0x1200, v0
	v_cmp_gt_u32_e32 vcc, s8, v1
	s_and_saveexec_b64 s[6:7], vcc
	s_cbranch_execz .LBB244_329
; %bb.328:
	v_lshlrev_b32_e32 v1, 2, v1
	global_load_dword v1, v1, s[4:5]
	s_mov_b32 s9, 0
	v_mov_b32_e32 v37, s9
	s_waitcnt vmcnt(0)
	v_cmp_neq_f32_e32 vcc, 0, v1
	s_nop 1
	v_cndmask_b32_e64 v36, 0, 1, vcc
.LBB244_329:
	s_or_b64 exec, exec, s[6:7]
	v_or_b32_e32 v1, 0x1300, v0
	v_cmp_gt_u32_e32 vcc, s8, v1
	v_mov_b64_e32 v[40:41], 0
	v_mov_b64_e32 v[42:43], 0
	s_and_saveexec_b64 s[6:7], vcc
	s_cbranch_execz .LBB244_331
; %bb.330:
	v_lshlrev_b32_e32 v1, 2, v1
	global_load_dword v1, v1, s[4:5]
	s_mov_b32 s9, 0
	v_mov_b32_e32 v43, s9
	s_waitcnt vmcnt(0)
	v_cmp_neq_f32_e32 vcc, 0, v1
	s_nop 1
	v_cndmask_b32_e64 v42, 0, 1, vcc
.LBB244_331:
	s_or_b64 exec, exec, s[6:7]
	v_or_b32_e32 v1, 0x1400, v0
	v_cmp_gt_u32_e32 vcc, s8, v1
	s_and_saveexec_b64 s[6:7], vcc
	s_cbranch_execz .LBB244_333
; %bb.332:
	v_lshlrev_b32_e32 v1, 2, v1
	global_load_dword v1, v1, s[4:5]
	s_mov_b32 s9, 0
	v_mov_b32_e32 v41, s9
	s_waitcnt vmcnt(0)
	v_cmp_neq_f32_e32 vcc, 0, v1
	s_nop 1
	v_cndmask_b32_e64 v40, 0, 1, vcc
.LBB244_333:
	s_or_b64 exec, exec, s[6:7]
	v_or_b32_e32 v1, 0x1500, v0
	v_cmp_gt_u32_e32 vcc, s8, v1
	v_mov_b64_e32 v[44:45], 0
	v_mov_b64_e32 v[46:47], 0
	s_and_saveexec_b64 s[6:7], vcc
	s_cbranch_execz .LBB244_335
; %bb.334:
	v_lshlrev_b32_e32 v1, 2, v1
	global_load_dword v1, v1, s[4:5]
	s_mov_b32 s9, 0
	v_mov_b32_e32 v47, s9
	s_waitcnt vmcnt(0)
	v_cmp_neq_f32_e32 vcc, 0, v1
	s_nop 1
	v_cndmask_b32_e64 v46, 0, 1, vcc
.LBB244_335:
	s_or_b64 exec, exec, s[6:7]
	v_or_b32_e32 v1, 0x1600, v0
	v_cmp_gt_u32_e32 vcc, s8, v1
	s_and_saveexec_b64 s[6:7], vcc
	s_cbranch_execz .LBB244_337
; %bb.336:
	v_lshlrev_b32_e32 v1, 2, v1
	global_load_dword v1, v1, s[4:5]
	s_mov_b32 s9, 0
	v_mov_b32_e32 v45, s9
	s_waitcnt vmcnt(0)
	v_cmp_neq_f32_e32 vcc, 0, v1
	s_nop 1
	v_cndmask_b32_e64 v44, 0, 1, vcc
.LBB244_337:
	s_or_b64 exec, exec, s[6:7]
	v_or_b32_e32 v1, 0x1700, v0
	v_cmp_gt_u32_e32 vcc, s8, v1
	v_mov_b64_e32 v[48:49], 0
	v_mov_b64_e32 v[50:51], 0
	s_and_saveexec_b64 s[6:7], vcc
	s_cbranch_execz .LBB244_339
; %bb.338:
	v_lshlrev_b32_e32 v1, 2, v1
	global_load_dword v1, v1, s[4:5]
	s_mov_b32 s9, 0
	v_mov_b32_e32 v51, s9
	s_waitcnt vmcnt(0)
	v_cmp_neq_f32_e32 vcc, 0, v1
	s_nop 1
	v_cndmask_b32_e64 v50, 0, 1, vcc
.LBB244_339:
	s_or_b64 exec, exec, s[6:7]
	v_or_b32_e32 v1, 0x1800, v0
	v_cmp_gt_u32_e32 vcc, s8, v1
	s_and_saveexec_b64 s[6:7], vcc
	s_cbranch_execz .LBB244_341
; %bb.340:
	v_lshlrev_b32_e32 v1, 2, v1
	global_load_dword v1, v1, s[4:5]
	s_mov_b32 s9, 0
	v_mov_b32_e32 v49, s9
	s_waitcnt vmcnt(0)
	v_cmp_neq_f32_e32 vcc, 0, v1
	s_nop 1
	v_cndmask_b32_e64 v48, 0, 1, vcc
.LBB244_341:
	s_or_b64 exec, exec, s[6:7]
	v_or_b32_e32 v1, 0x1900, v0
	v_cmp_gt_u32_e32 vcc, s8, v1
	v_mov_b64_e32 v[52:53], 0
	v_mov_b64_e32 v[54:55], 0
	s_and_saveexec_b64 s[6:7], vcc
	s_cbranch_execz .LBB244_343
; %bb.342:
	v_lshlrev_b32_e32 v1, 2, v1
	global_load_dword v1, v1, s[4:5]
	s_mov_b32 s9, 0
	v_mov_b32_e32 v55, s9
	s_waitcnt vmcnt(0)
	v_cmp_neq_f32_e32 vcc, 0, v1
	s_nop 1
	v_cndmask_b32_e64 v54, 0, 1, vcc
.LBB244_343:
	s_or_b64 exec, exec, s[6:7]
	v_or_b32_e32 v1, 0x1a00, v0
	v_cmp_gt_u32_e32 vcc, s8, v1
	s_and_saveexec_b64 s[6:7], vcc
	s_cbranch_execz .LBB244_345
; %bb.344:
	v_lshlrev_b32_e32 v1, 2, v1
	global_load_dword v1, v1, s[4:5]
	s_mov_b32 s9, 0
	v_mov_b32_e32 v53, s9
	s_waitcnt vmcnt(0)
	v_cmp_neq_f32_e32 vcc, 0, v1
	s_nop 1
	v_cndmask_b32_e64 v52, 0, 1, vcc
.LBB244_345:
	s_or_b64 exec, exec, s[6:7]
	v_or_b32_e32 v1, 0x1b00, v0
	v_cmp_gt_u32_e32 vcc, s8, v1
	v_mov_b64_e32 v[56:57], 0
	v_mov_b64_e32 v[58:59], 0
	s_and_saveexec_b64 s[6:7], vcc
	s_cbranch_execz .LBB244_347
; %bb.346:
	v_lshlrev_b32_e32 v1, 2, v1
	global_load_dword v1, v1, s[4:5]
	s_mov_b32 s9, 0
	v_mov_b32_e32 v59, s9
	s_waitcnt vmcnt(0)
	v_cmp_neq_f32_e32 vcc, 0, v1
	s_nop 1
	v_cndmask_b32_e64 v58, 0, 1, vcc
.LBB244_347:
	s_or_b64 exec, exec, s[6:7]
	v_or_b32_e32 v1, 0x1c00, v0
	v_cmp_gt_u32_e32 vcc, s8, v1
	s_and_saveexec_b64 s[6:7], vcc
	s_cbranch_execz .LBB244_349
; %bb.348:
	v_lshlrev_b32_e32 v1, 2, v1
	global_load_dword v1, v1, s[4:5]
	s_mov_b32 s9, 0
	v_mov_b32_e32 v57, s9
	s_waitcnt vmcnt(0)
	v_cmp_neq_f32_e32 vcc, 0, v1
	s_nop 1
	v_cndmask_b32_e64 v56, 0, 1, vcc
.LBB244_349:
	s_or_b64 exec, exec, s[6:7]
	v_or_b32_e32 v1, 0x1d00, v0
	v_cmp_gt_u32_e32 vcc, s8, v1
	v_mov_b64_e32 v[60:61], 0
	v_mov_b64_e32 v[62:63], 0
	s_and_saveexec_b64 s[6:7], vcc
	s_cbranch_execz .LBB244_351
; %bb.350:
	v_lshlrev_b32_e32 v1, 2, v1
	global_load_dword v1, v1, s[4:5]
	s_mov_b32 s9, 0
	v_mov_b32_e32 v63, s9
	s_waitcnt vmcnt(0)
	v_cmp_neq_f32_e32 vcc, 0, v1
	s_nop 1
	v_cndmask_b32_e64 v62, 0, 1, vcc
.LBB244_351:
	s_or_b64 exec, exec, s[6:7]
	v_or_b32_e32 v1, 0x1e00, v0
	v_cmp_gt_u32_e32 vcc, s8, v1
	s_and_saveexec_b64 s[6:7], vcc
	s_cbranch_execz .LBB244_353
; %bb.352:
	v_lshlrev_b32_e32 v1, 2, v1
	global_load_dword v1, v1, s[4:5]
	s_mov_b32 s9, 0
	v_mov_b32_e32 v61, s9
	s_waitcnt vmcnt(0)
	v_cmp_neq_f32_e32 vcc, 0, v1
	s_nop 1
	v_cndmask_b32_e64 v60, 0, 1, vcc
.LBB244_353:
	s_or_b64 exec, exec, s[6:7]
	v_or_b32_e32 v1, 0x1f00, v0
	v_cmp_gt_u32_e32 vcc, s8, v1
	v_mov_b64_e32 v[64:65], 0
	v_mov_b64_e32 v[66:67], 0
	s_and_saveexec_b64 s[6:7], vcc
	s_cbranch_execz .LBB244_355
; %bb.354:
	v_lshlrev_b32_e32 v1, 2, v1
	global_load_dword v1, v1, s[4:5]
	s_mov_b32 s9, 0
	v_mov_b32_e32 v67, s9
	s_waitcnt vmcnt(0)
	v_cmp_neq_f32_e32 vcc, 0, v1
	s_nop 1
	v_cndmask_b32_e64 v66, 0, 1, vcc
.LBB244_355:
	s_or_b64 exec, exec, s[6:7]
	v_or_b32_e32 v1, 0x2000, v0
	v_cmp_gt_u32_e32 vcc, s8, v1
	s_and_saveexec_b64 s[6:7], vcc
	s_cbranch_execz .LBB244_357
; %bb.356:
	v_lshlrev_b32_e32 v1, 2, v1
	global_load_dword v1, v1, s[4:5]
	s_mov_b32 s9, 0
	v_mov_b32_e32 v65, s9
	s_waitcnt vmcnt(0)
	v_cmp_neq_f32_e32 vcc, 0, v1
	s_nop 1
	v_cndmask_b32_e64 v64, 0, 1, vcc
.LBB244_357:
	s_or_b64 exec, exec, s[6:7]
	v_or_b32_e32 v1, 0x2100, v0
	v_cmp_gt_u32_e32 vcc, s8, v1
	v_mov_b64_e32 v[68:69], 0
	v_mov_b64_e32 v[70:71], 0
	s_and_saveexec_b64 s[6:7], vcc
	s_cbranch_execz .LBB244_359
; %bb.358:
	v_lshlrev_b32_e32 v1, 2, v1
	global_load_dword v1, v1, s[4:5]
	s_mov_b32 s9, 0
	v_mov_b32_e32 v71, s9
	s_waitcnt vmcnt(0)
	v_cmp_neq_f32_e32 vcc, 0, v1
	s_nop 1
	v_cndmask_b32_e64 v70, 0, 1, vcc
.LBB244_359:
	s_or_b64 exec, exec, s[6:7]
	v_or_b32_e32 v1, 0x2200, v0
	v_cmp_gt_u32_e32 vcc, s8, v1
	s_and_saveexec_b64 s[6:7], vcc
	s_cbranch_execz .LBB244_361
; %bb.360:
	v_lshlrev_b32_e32 v1, 2, v1
	global_load_dword v1, v1, s[4:5]
	s_mov_b32 s9, 0
	v_mov_b32_e32 v69, s9
	s_waitcnt vmcnt(0)
	v_cmp_neq_f32_e32 vcc, 0, v1
	s_nop 1
	v_cndmask_b32_e64 v68, 0, 1, vcc
.LBB244_361:
	s_or_b64 exec, exec, s[6:7]
	v_or_b32_e32 v1, 0x2300, v0
	v_cmp_gt_u32_e32 vcc, s8, v1
	v_mov_b64_e32 v[72:73], 0
	v_mov_b64_e32 v[74:75], 0
	s_and_saveexec_b64 s[6:7], vcc
	s_cbranch_execz .LBB244_363
; %bb.362:
	v_lshlrev_b32_e32 v1, 2, v1
	global_load_dword v1, v1, s[4:5]
	s_mov_b32 s9, 0
	v_mov_b32_e32 v75, s9
	s_waitcnt vmcnt(0)
	v_cmp_neq_f32_e32 vcc, 0, v1
	s_nop 1
	v_cndmask_b32_e64 v74, 0, 1, vcc
.LBB244_363:
	s_or_b64 exec, exec, s[6:7]
	v_or_b32_e32 v1, 0x2400, v0
	v_cmp_gt_u32_e32 vcc, s8, v1
	s_and_saveexec_b64 s[6:7], vcc
	s_cbranch_execz .LBB244_365
; %bb.364:
	v_lshlrev_b32_e32 v1, 2, v1
	global_load_dword v1, v1, s[4:5]
	s_mov_b32 s9, 0
	v_mov_b32_e32 v73, s9
	s_waitcnt vmcnt(0)
	v_cmp_neq_f32_e32 vcc, 0, v1
	s_nop 1
	v_cndmask_b32_e64 v72, 0, 1, vcc
.LBB244_365:
	s_or_b64 exec, exec, s[6:7]
	v_or_b32_e32 v1, 0x2500, v0
	v_cmp_gt_u32_e32 vcc, s8, v1
	v_mov_b64_e32 v[76:77], 0
	v_mov_b64_e32 v[78:79], 0
	s_and_saveexec_b64 s[6:7], vcc
	s_cbranch_execz .LBB244_367
; %bb.366:
	v_lshlrev_b32_e32 v1, 2, v1
	global_load_dword v1, v1, s[4:5]
	s_mov_b32 s9, 0
	v_mov_b32_e32 v79, s9
	s_waitcnt vmcnt(0)
	v_cmp_neq_f32_e32 vcc, 0, v1
	s_nop 1
	v_cndmask_b32_e64 v78, 0, 1, vcc
.LBB244_367:
	s_or_b64 exec, exec, s[6:7]
	v_or_b32_e32 v1, 0x2600, v0
	v_cmp_gt_u32_e32 vcc, s8, v1
	s_and_saveexec_b64 s[6:7], vcc
	s_cbranch_execz .LBB244_369
; %bb.368:
	v_lshlrev_b32_e32 v1, 2, v1
	global_load_dword v1, v1, s[4:5]
	s_mov_b32 s9, 0
	v_mov_b32_e32 v77, s9
	s_waitcnt vmcnt(0)
	v_cmp_neq_f32_e32 vcc, 0, v1
	s_nop 1
	v_cndmask_b32_e64 v76, 0, 1, vcc
.LBB244_369:
	s_or_b64 exec, exec, s[6:7]
	v_or_b32_e32 v1, 0x2700, v0
	v_cmp_gt_u32_e32 vcc, s8, v1
	v_mov_b64_e32 v[80:81], 0
	v_mov_b64_e32 v[82:83], 0
	s_and_saveexec_b64 s[6:7], vcc
	s_cbranch_execz .LBB244_371
; %bb.370:
	v_lshlrev_b32_e32 v1, 2, v1
	global_load_dword v1, v1, s[4:5]
	s_mov_b32 s9, 0
	v_mov_b32_e32 v83, s9
	s_waitcnt vmcnt(0)
	v_cmp_neq_f32_e32 vcc, 0, v1
	s_nop 1
	v_cndmask_b32_e64 v82, 0, 1, vcc
.LBB244_371:
	s_or_b64 exec, exec, s[6:7]
	v_or_b32_e32 v1, 0x2800, v0
	v_cmp_gt_u32_e32 vcc, s8, v1
	s_and_saveexec_b64 s[6:7], vcc
	s_cbranch_execz .LBB244_373
; %bb.372:
	v_lshlrev_b32_e32 v1, 2, v1
	global_load_dword v1, v1, s[4:5]
	s_mov_b32 s9, 0
	v_mov_b32_e32 v81, s9
	s_waitcnt vmcnt(0)
	v_cmp_neq_f32_e32 vcc, 0, v1
	s_nop 1
	v_cndmask_b32_e64 v80, 0, 1, vcc
.LBB244_373:
	s_or_b64 exec, exec, s[6:7]
	v_or_b32_e32 v1, 0x2900, v0
	v_cmp_gt_u32_e32 vcc, s8, v1
	v_mov_b64_e32 v[84:85], 0
	v_mov_b64_e32 v[86:87], 0
	s_and_saveexec_b64 s[6:7], vcc
	s_cbranch_execz .LBB244_375
; %bb.374:
	v_lshlrev_b32_e32 v1, 2, v1
	global_load_dword v1, v1, s[4:5]
	s_mov_b32 s9, 0
	v_mov_b32_e32 v87, s9
	s_waitcnt vmcnt(0)
	v_cmp_neq_f32_e32 vcc, 0, v1
	s_nop 1
	v_cndmask_b32_e64 v86, 0, 1, vcc
.LBB244_375:
	s_or_b64 exec, exec, s[6:7]
	v_or_b32_e32 v1, 0x2a00, v0
	v_cmp_gt_u32_e32 vcc, s8, v1
	s_and_saveexec_b64 s[6:7], vcc
	s_cbranch_execz .LBB244_377
; %bb.376:
	v_lshlrev_b32_e32 v1, 2, v1
	global_load_dword v1, v1, s[4:5]
	s_mov_b32 s9, 0
	v_mov_b32_e32 v85, s9
	s_waitcnt vmcnt(0)
	v_cmp_neq_f32_e32 vcc, 0, v1
	s_nop 1
	v_cndmask_b32_e64 v84, 0, 1, vcc
.LBB244_377:
	s_or_b64 exec, exec, s[6:7]
	v_or_b32_e32 v1, 0x2b00, v0
	v_cmp_gt_u32_e32 vcc, s8, v1
	v_mov_b64_e32 v[88:89], 0
	v_mov_b64_e32 v[90:91], 0
	s_and_saveexec_b64 s[6:7], vcc
	s_cbranch_execz .LBB244_379
; %bb.378:
	v_lshlrev_b32_e32 v1, 2, v1
	global_load_dword v1, v1, s[4:5]
	s_mov_b32 s9, 0
	v_mov_b32_e32 v91, s9
	s_waitcnt vmcnt(0)
	v_cmp_neq_f32_e32 vcc, 0, v1
	s_nop 1
	v_cndmask_b32_e64 v90, 0, 1, vcc
.LBB244_379:
	s_or_b64 exec, exec, s[6:7]
	v_or_b32_e32 v1, 0x2c00, v0
	v_cmp_gt_u32_e32 vcc, s8, v1
	s_and_saveexec_b64 s[6:7], vcc
	s_cbranch_execz .LBB244_381
; %bb.380:
	v_lshlrev_b32_e32 v1, 2, v1
	global_load_dword v1, v1, s[4:5]
	s_mov_b32 s9, 0
	v_mov_b32_e32 v89, s9
	s_waitcnt vmcnt(0)
	v_cmp_neq_f32_e32 vcc, 0, v1
	s_nop 1
	v_cndmask_b32_e64 v88, 0, 1, vcc
.LBB244_381:
	s_or_b64 exec, exec, s[6:7]
	v_or_b32_e32 v1, 0x2d00, v0
	v_cmp_gt_u32_e32 vcc, s8, v1
	v_mov_b64_e32 v[92:93], 0
	v_mov_b64_e32 v[94:95], 0
	s_and_saveexec_b64 s[6:7], vcc
	s_cbranch_execz .LBB244_383
; %bb.382:
	v_lshlrev_b32_e32 v1, 2, v1
	global_load_dword v1, v1, s[4:5]
	s_mov_b32 s9, 0
	v_mov_b32_e32 v95, s9
	s_waitcnt vmcnt(0)
	v_cmp_neq_f32_e32 vcc, 0, v1
	s_nop 1
	v_cndmask_b32_e64 v94, 0, 1, vcc
.LBB244_383:
	s_or_b64 exec, exec, s[6:7]
	v_or_b32_e32 v1, 0x2e00, v0
	v_cmp_gt_u32_e32 vcc, s8, v1
	s_and_saveexec_b64 s[6:7], vcc
	s_cbranch_execz .LBB244_385
; %bb.384:
	v_lshlrev_b32_e32 v1, 2, v1
	global_load_dword v1, v1, s[4:5]
	s_mov_b32 s9, 0
	v_mov_b32_e32 v93, s9
	s_waitcnt vmcnt(0)
	v_cmp_neq_f32_e32 vcc, 0, v1
	s_nop 1
	v_cndmask_b32_e64 v92, 0, 1, vcc
.LBB244_385:
	s_or_b64 exec, exec, s[6:7]
	v_or_b32_e32 v1, 0x2f00, v0
	v_cmp_gt_u32_e32 vcc, s8, v1
	v_mov_b64_e32 v[96:97], 0
	v_mov_b64_e32 v[98:99], 0
	s_and_saveexec_b64 s[6:7], vcc
	s_cbranch_execz .LBB244_387
; %bb.386:
	v_lshlrev_b32_e32 v1, 2, v1
	global_load_dword v1, v1, s[4:5]
	s_mov_b32 s9, 0
	v_mov_b32_e32 v99, s9
	s_waitcnt vmcnt(0)
	v_cmp_neq_f32_e32 vcc, 0, v1
	s_nop 1
	v_cndmask_b32_e64 v98, 0, 1, vcc
.LBB244_387:
	s_or_b64 exec, exec, s[6:7]
	v_or_b32_e32 v1, 0x3000, v0
	v_cmp_gt_u32_e32 vcc, s8, v1
	s_and_saveexec_b64 s[6:7], vcc
	s_cbranch_execz .LBB244_389
; %bb.388:
	v_lshlrev_b32_e32 v1, 2, v1
	global_load_dword v1, v1, s[4:5]
	s_mov_b32 s9, 0
	v_mov_b32_e32 v97, s9
	s_waitcnt vmcnt(0)
	v_cmp_neq_f32_e32 vcc, 0, v1
	s_nop 1
	v_cndmask_b32_e64 v96, 0, 1, vcc
.LBB244_389:
	s_or_b64 exec, exec, s[6:7]
	v_or_b32_e32 v1, 0x3100, v0
	v_cmp_gt_u32_e32 vcc, s8, v1
	v_mov_b64_e32 v[100:101], 0
	v_mov_b64_e32 v[102:103], 0
	s_and_saveexec_b64 s[6:7], vcc
	s_cbranch_execz .LBB244_391
; %bb.390:
	v_lshlrev_b32_e32 v1, 2, v1
	global_load_dword v1, v1, s[4:5]
	s_mov_b32 s9, 0
	v_mov_b32_e32 v103, s9
	s_waitcnt vmcnt(0)
	v_cmp_neq_f32_e32 vcc, 0, v1
	s_nop 1
	v_cndmask_b32_e64 v102, 0, 1, vcc
.LBB244_391:
	s_or_b64 exec, exec, s[6:7]
	v_or_b32_e32 v1, 0x3200, v0
	v_cmp_gt_u32_e32 vcc, s8, v1
	s_and_saveexec_b64 s[6:7], vcc
	s_cbranch_execz .LBB244_393
; %bb.392:
	v_lshlrev_b32_e32 v1, 2, v1
	global_load_dword v1, v1, s[4:5]
	s_mov_b32 s9, 0
	v_mov_b32_e32 v101, s9
	s_waitcnt vmcnt(0)
	v_cmp_neq_f32_e32 vcc, 0, v1
	s_nop 1
	v_cndmask_b32_e64 v100, 0, 1, vcc
.LBB244_393:
	s_or_b64 exec, exec, s[6:7]
	v_or_b32_e32 v1, 0x3300, v0
	v_cmp_gt_u32_e32 vcc, s8, v1
	v_mov_b64_e32 v[104:105], 0
	v_mov_b64_e32 v[106:107], 0
	s_and_saveexec_b64 s[6:7], vcc
	s_cbranch_execz .LBB244_395
; %bb.394:
	v_lshlrev_b32_e32 v1, 2, v1
	global_load_dword v1, v1, s[4:5]
	s_mov_b32 s9, 0
	v_mov_b32_e32 v107, s9
	s_waitcnt vmcnt(0)
	v_cmp_neq_f32_e32 vcc, 0, v1
	s_nop 1
	v_cndmask_b32_e64 v106, 0, 1, vcc
.LBB244_395:
	s_or_b64 exec, exec, s[6:7]
	v_or_b32_e32 v1, 0x3400, v0
	v_cmp_gt_u32_e32 vcc, s8, v1
	s_and_saveexec_b64 s[6:7], vcc
	s_cbranch_execz .LBB244_397
; %bb.396:
	v_lshlrev_b32_e32 v1, 2, v1
	global_load_dword v1, v1, s[4:5]
	s_mov_b32 s9, 0
	v_mov_b32_e32 v105, s9
	s_waitcnt vmcnt(0)
	v_cmp_neq_f32_e32 vcc, 0, v1
	s_nop 1
	v_cndmask_b32_e64 v104, 0, 1, vcc
.LBB244_397:
	s_or_b64 exec, exec, s[6:7]
	v_or_b32_e32 v1, 0x3500, v0
	v_cmp_gt_u32_e32 vcc, s8, v1
	v_mov_b64_e32 v[108:109], 0
	v_mov_b64_e32 v[110:111], 0
	s_and_saveexec_b64 s[6:7], vcc
	s_cbranch_execz .LBB244_399
; %bb.398:
	v_lshlrev_b32_e32 v1, 2, v1
	global_load_dword v1, v1, s[4:5]
	s_mov_b32 s9, 0
	v_mov_b32_e32 v111, s9
	s_waitcnt vmcnt(0)
	v_cmp_neq_f32_e32 vcc, 0, v1
	s_nop 1
	v_cndmask_b32_e64 v110, 0, 1, vcc
.LBB244_399:
	s_or_b64 exec, exec, s[6:7]
	v_or_b32_e32 v1, 0x3600, v0
	v_cmp_gt_u32_e32 vcc, s8, v1
	s_and_saveexec_b64 s[6:7], vcc
	s_cbranch_execz .LBB244_401
; %bb.400:
	v_lshlrev_b32_e32 v1, 2, v1
	global_load_dword v1, v1, s[4:5]
	s_mov_b32 s9, 0
	v_mov_b32_e32 v109, s9
	s_waitcnt vmcnt(0)
	v_cmp_neq_f32_e32 vcc, 0, v1
	s_nop 1
	v_cndmask_b32_e64 v108, 0, 1, vcc
.LBB244_401:
	s_or_b64 exec, exec, s[6:7]
	v_or_b32_e32 v1, 0x3700, v0
	v_cmp_gt_u32_e32 vcc, s8, v1
	v_mov_b64_e32 v[112:113], 0
	v_mov_b64_e32 v[114:115], 0
	s_and_saveexec_b64 s[6:7], vcc
	s_cbranch_execz .LBB244_403
; %bb.402:
	v_lshlrev_b32_e32 v1, 2, v1
	global_load_dword v1, v1, s[4:5]
	s_mov_b32 s9, 0
	v_mov_b32_e32 v115, s9
	s_waitcnt vmcnt(0)
	v_cmp_neq_f32_e32 vcc, 0, v1
	s_nop 1
	v_cndmask_b32_e64 v114, 0, 1, vcc
.LBB244_403:
	s_or_b64 exec, exec, s[6:7]
	v_or_b32_e32 v1, 0x3800, v0
	v_cmp_gt_u32_e32 vcc, s8, v1
	s_and_saveexec_b64 s[6:7], vcc
	s_cbranch_execz .LBB244_405
; %bb.404:
	v_lshlrev_b32_e32 v1, 2, v1
	global_load_dword v1, v1, s[4:5]
	s_mov_b32 s9, 0
	v_mov_b32_e32 v113, s9
	s_waitcnt vmcnt(0)
	v_cmp_neq_f32_e32 vcc, 0, v1
	s_nop 1
	v_cndmask_b32_e64 v112, 0, 1, vcc
.LBB244_405:
	s_or_b64 exec, exec, s[6:7]
	v_or_b32_e32 v1, 0x3900, v0
	v_cmp_gt_u32_e32 vcc, s8, v1
	v_mov_b64_e32 v[116:117], 0
	v_mov_b64_e32 v[118:119], 0
	s_and_saveexec_b64 s[6:7], vcc
	s_cbranch_execz .LBB244_407
; %bb.406:
	v_lshlrev_b32_e32 v1, 2, v1
	global_load_dword v1, v1, s[4:5]
	s_mov_b32 s9, 0
	v_mov_b32_e32 v119, s9
	s_waitcnt vmcnt(0)
	v_cmp_neq_f32_e32 vcc, 0, v1
	s_nop 1
	v_cndmask_b32_e64 v118, 0, 1, vcc
.LBB244_407:
	s_or_b64 exec, exec, s[6:7]
	v_or_b32_e32 v1, 0x3a00, v0
	v_cmp_gt_u32_e32 vcc, s8, v1
	s_and_saveexec_b64 s[6:7], vcc
	s_cbranch_execz .LBB244_409
; %bb.408:
	v_lshlrev_b32_e32 v1, 2, v1
	global_load_dword v1, v1, s[4:5]
	s_mov_b32 s9, 0
	v_mov_b32_e32 v117, s9
	s_waitcnt vmcnt(0)
	v_cmp_neq_f32_e32 vcc, 0, v1
	s_nop 1
	v_cndmask_b32_e64 v116, 0, 1, vcc
.LBB244_409:
	s_or_b64 exec, exec, s[6:7]
	v_or_b32_e32 v1, 0x3b00, v0
	v_cmp_gt_u32_e32 vcc, s8, v1
	v_mov_b64_e32 v[120:121], 0
	v_mov_b64_e32 v[122:123], 0
	s_and_saveexec_b64 s[6:7], vcc
	s_cbranch_execz .LBB244_411
; %bb.410:
	v_lshlrev_b32_e32 v1, 2, v1
	global_load_dword v1, v1, s[4:5]
	s_mov_b32 s9, 0
	v_mov_b32_e32 v123, s9
	s_waitcnt vmcnt(0)
	v_cmp_neq_f32_e32 vcc, 0, v1
	s_nop 1
	v_cndmask_b32_e64 v122, 0, 1, vcc
.LBB244_411:
	s_or_b64 exec, exec, s[6:7]
	v_or_b32_e32 v1, 0x3c00, v0
	v_cmp_gt_u32_e32 vcc, s8, v1
	s_and_saveexec_b64 s[6:7], vcc
	s_cbranch_execz .LBB244_413
; %bb.412:
	v_lshlrev_b32_e32 v1, 2, v1
	global_load_dword v1, v1, s[4:5]
	s_mov_b32 s9, 0
	v_mov_b32_e32 v121, s9
	s_waitcnt vmcnt(0)
	v_cmp_neq_f32_e32 vcc, 0, v1
	s_nop 1
	v_cndmask_b32_e64 v120, 0, 1, vcc
.LBB244_413:
	s_or_b64 exec, exec, s[6:7]
	v_or_b32_e32 v1, 0x3d00, v0
	v_cmp_gt_u32_e32 vcc, s8, v1
	v_mov_b64_e32 v[124:125], 0
	v_mov_b64_e32 v[126:127], 0
	s_and_saveexec_b64 s[6:7], vcc
	s_cbranch_execz .LBB244_415
; %bb.414:
	v_lshlrev_b32_e32 v1, 2, v1
	global_load_dword v1, v1, s[4:5]
	s_mov_b32 s9, 0
	v_mov_b32_e32 v127, s9
	s_waitcnt vmcnt(0)
	v_cmp_neq_f32_e32 vcc, 0, v1
	s_nop 1
	v_cndmask_b32_e64 v126, 0, 1, vcc
.LBB244_415:
	s_or_b64 exec, exec, s[6:7]
	v_or_b32_e32 v1, 0x3e00, v0
	v_cmp_gt_u32_e32 vcc, s8, v1
	s_and_saveexec_b64 s[6:7], vcc
	s_cbranch_execz .LBB244_417
; %bb.416:
	v_lshlrev_b32_e32 v1, 2, v1
	global_load_dword v1, v1, s[4:5]
	s_mov_b32 s9, 0
	v_mov_b32_e32 v125, s9
	s_waitcnt vmcnt(0)
	v_cmp_neq_f32_e32 vcc, 0, v1
	s_nop 1
	v_cndmask_b32_e64 v124, 0, 1, vcc
.LBB244_417:
	s_or_b64 exec, exec, s[6:7]
	v_or_b32_e32 v1, 0x3f00, v0
	v_cmp_gt_u32_e32 vcc, s8, v1
	v_mov_b64_e32 v[128:129], 0
	s_and_saveexec_b64 s[6:7], vcc
	s_cbranch_execz .LBB244_419
; %bb.418:
	v_lshlrev_b32_e32 v1, 2, v1
	global_load_dword v1, v1, s[4:5]
	s_mov_b32 s4, 0
	v_mov_b32_e32 v129, s4
	s_waitcnt vmcnt(0)
	v_cmp_neq_f32_e32 vcc, 0, v1
	s_nop 1
	v_cndmask_b32_e64 v128, 0, 1, vcc
.LBB244_419:
	s_or_b64 exec, exec, s[6:7]
	v_lshl_add_u64 v[2:3], v[6:7], 0, v[2:3]
	v_lshl_add_u64 v[2:3], v[2:3], 0, v[4:5]
	;; [unrolled: 1-line block ×58, first 2 shown]
	v_mbcnt_lo_u32_b32 v1, -1, 0
	v_lshl_add_u64 v[2:3], v[2:3], 0, v[122:123]
	v_mbcnt_hi_u32_b32 v1, -1, v1
	v_lshl_add_u64 v[2:3], v[2:3], 0, v[120:121]
	v_and_b32_e32 v9, 63, v1
	v_lshl_add_u64 v[2:3], v[2:3], 0, v[126:127]
	s_min_u32 s8, s8, 0x100
	v_and_b32_e32 v4, 0xc0, v0
	v_cmp_ne_u32_e32 vcc, 63, v9
	v_lshl_add_u64 v[2:3], v[2:3], 0, v[124:125]
	v_sub_u32_e64 v8, s8, v4 clamp
	v_addc_co_u32_e32 v4, vcc, 0, v1, vcc
	v_lshl_add_u64 v[2:3], v[2:3], 0, v[128:129]
	v_lshlrev_b32_e32 v5, 2, v4
	ds_bpermute_b32 v4, v5, v2
	ds_bpermute_b32 v7, v5, v3
	v_mov_b32_e32 v6, 0
	v_add_u32_e32 v10, 1, v9
	v_mov_b32_e32 v5, v6
	s_waitcnt lgkmcnt(1)
	v_lshl_add_u64 v[4:5], v[2:3], 0, v[4:5]
	v_cmp_lt_u32_e64 s[4:5], v10, v8
	v_cmp_gt_u32_e32 vcc, 62, v9
	s_waitcnt lgkmcnt(0)
	v_lshl_add_u64 v[6:7], v[6:7], 0, v[4:5]
	v_cndmask_b32_e64 v12, v2, v4, s[4:5]
	v_cndmask_b32_e64 v4, 0, 2, vcc
	v_cndmask_b32_e64 v5, v3, v7, s[4:5]
	v_add_lshl_u32 v4, v4, v1, 2
	ds_bpermute_b32 v10, v4, v12
	ds_bpermute_b32 v11, v4, v5
	v_cndmask_b32_e64 v4, v2, v6, s[4:5]
	v_add_u32_e32 v13, 2, v9
	v_cmp_lt_u32_e32 vcc, v13, v8
	v_cmp_gt_u32_e64 s[6:7], 60, v9
	s_waitcnt lgkmcnt(0)
	v_lshl_add_u64 v[6:7], v[10:11], 0, v[4:5]
	v_cndmask_b32_e32 v5, v5, v7, vcc
	v_cndmask_b32_e64 v7, 0, 4, s[6:7]
	v_cndmask_b32_e32 v12, v12, v6, vcc
	v_add_lshl_u32 v7, v7, v1, 2
	ds_bpermute_b32 v10, v7, v12
	ds_bpermute_b32 v11, v7, v5
	v_cndmask_b32_e32 v4, v4, v6, vcc
	v_add_u32_e32 v13, 4, v9
	v_cmp_lt_u32_e32 vcc, v13, v8
	v_cmp_gt_u32_e64 s[6:7], 56, v9
	s_waitcnt lgkmcnt(0)
	v_lshl_add_u64 v[6:7], v[10:11], 0, v[4:5]
	v_cndmask_b32_e32 v5, v5, v7, vcc
	v_cndmask_b32_e64 v7, 0, 8, s[6:7]
	v_cndmask_b32_e32 v12, v12, v6, vcc
	v_add_lshl_u32 v7, v7, v1, 2
	ds_bpermute_b32 v10, v7, v12
	ds_bpermute_b32 v11, v7, v5
	v_cndmask_b32_e32 v4, v4, v6, vcc
	;; [unrolled: 12-line block ×3, first 2 shown]
	v_add_u32_e32 v13, 16, v9
	v_cmp_lt_u32_e32 vcc, v13, v8
	s_waitcnt lgkmcnt(0)
	v_lshl_add_u64 v[6:7], v[10:11], 0, v[4:5]
	v_lshlrev_b32_e32 v10, 2, v1
	v_cndmask_b32_e32 v13, v5, v7, vcc
	v_cndmask_b32_e32 v11, v12, v6, vcc
	v_or_b32_e32 v12, 0x80, v10
	ds_bpermute_b32 v11, v12, v11
	ds_bpermute_b32 v12, v12, v13
	s_and_saveexec_b64 s[6:7], s[4:5]
	s_cbranch_execz .LBB244_421
; %bb.420:
	v_add_u32_e32 v9, 32, v9
	v_cndmask_b32_e32 v3, v5, v7, vcc
	v_cndmask_b32_e32 v2, v4, v6, vcc
	v_cmp_lt_u32_e32 vcc, v9, v8
	s_waitcnt lgkmcnt(0)
	s_nop 0
	v_cndmask_b32_e32 v5, 0, v12, vcc
	v_cndmask_b32_e32 v4, 0, v11, vcc
	v_lshl_add_u64 v[2:3], v[4:5], 0, v[2:3]
.LBB244_421:
	s_or_b64 exec, exec, s[6:7]
	v_cmp_eq_u32_e32 vcc, 0, v1
	s_and_saveexec_b64 s[4:5], vcc
; %bb.422:
	v_lshrrev_b32_e32 v4, 3, v0
	v_and_b32_e32 v4, 24, v4
	ds_write_b64 v4, v[2:3] offset:256
; %bb.423:
	s_or_b64 exec, exec, s[4:5]
	v_cmp_gt_u32_e32 vcc, 4, v0
	s_waitcnt lgkmcnt(0)
	s_barrier
	s_and_saveexec_b64 s[4:5], vcc
	s_cbranch_execz .LBB244_427
; %bb.424:
	v_lshlrev_b32_e32 v2, 3, v1
	ds_read_b64 v[2:3], v2 offset:256
	v_and_b32_e32 v6, 3, v1
	v_cmp_ne_u32_e32 vcc, 3, v6
	v_mov_b32_e32 v8, 0
	s_add_i32 s8, s8, 63
	v_addc_co_u32_e32 v1, vcc, 0, v1, vcc
	v_lshlrev_b32_e32 v1, 2, v1
	s_waitcnt lgkmcnt(0)
	ds_bpermute_b32 v4, v1, v2
	ds_bpermute_b32 v9, v1, v3
	v_mov_b32_e32 v5, v8
	s_lshr_b32 s8, s8, 6
	v_add_u32_e32 v1, 1, v6
	s_waitcnt lgkmcnt(1)
	v_lshl_add_u64 v[12:13], v[2:3], 0, v[4:5]
	s_waitcnt lgkmcnt(0)
	v_lshl_add_u64 v[4:5], v[8:9], 0, v[12:13]
	v_cmp_gt_u32_e32 vcc, s8, v1
	v_or_b32_e32 v8, 8, v10
	s_nop 0
	v_cndmask_b32_e32 v7, v3, v5, vcc
	v_cndmask_b32_e32 v1, v2, v12, vcc
	ds_bpermute_b32 v1, v8, v1
	ds_bpermute_b32 v7, v8, v7
	s_and_saveexec_b64 s[6:7], vcc
	s_cbranch_execz .LBB244_426
; %bb.425:
	v_add_u32_e32 v2, 2, v6
	v_cmp_gt_u32_e32 vcc, s8, v2
	s_waitcnt lgkmcnt(0)
	s_nop 0
	v_cndmask_b32_e32 v3, 0, v7, vcc
	v_cndmask_b32_e32 v2, 0, v1, vcc
	v_lshl_add_u64 v[2:3], v[2:3], 0, v[4:5]
.LBB244_426:
	s_or_b64 exec, exec, s[6:7]
.LBB244_427:
	s_or_b64 exec, exec, s[4:5]
.LBB244_428:
	v_cmp_eq_u32_e64 s[4:5], 0, v0
	v_mov_b64_e32 v[4:5], s[2:3]
.LBB244_429:
	s_branch .LBB244_567
.LBB244_430:
	s_cmp_gt_i32 s33, 31
	s_cbranch_scc0 .LBB244_438
; %bb.431:
	s_cmp_eq_u32 s33, 32
                                        ; implicit-def: $vgpr2_vgpr3
                                        ; implicit-def: $vgpr4_vgpr5
	s_cbranch_scc0 .LBB244_439
; %bb.432:
	s_mov_b32 s3, 0
	s_lshl_b32 s6, s2, 13
	s_mov_b32 s7, s3
	s_lshr_b64 s[8:9], s[36:37], 13
	s_lshl_b64 s[4:5], s[6:7], 2
	s_add_u32 s4, s40, s4
	s_addc_u32 s5, s41, s5
	s_cmp_lg_u64 s[8:9], s[2:3]
	s_cbranch_scc0 .LBB244_440
; %bb.433:
	v_lshlrev_b32_e32 v2, 2, v0
	v_mov_b32_e32 v3, 0
	v_lshl_add_u64 v[4:5], s[4:5], 0, v[2:3]
	s_waitcnt lgkmcnt(1)
	global_load_dword v1, v2, s[4:5] offset:3072
	v_add_co_u32_e32 v6, vcc, 0x1000, v4
	s_movk_i32 s8, 0x3000
	s_waitcnt lgkmcnt(0)
	v_addc_co_u32_e32 v7, vcc, 0, v5, vcc
	global_load_dword v10, v[6:7], off
	global_load_dword v12, v[6:7], off offset:1024
	global_load_dword v14, v[6:7], off offset:2048
	;; [unrolled: 1-line block ×3, first 2 shown]
	v_add_co_u32_e32 v6, vcc, s8, v4
	s_movk_i32 s7, 0x2000
	s_nop 0
	v_addc_co_u32_e32 v7, vcc, 0, v5, vcc
	global_load_dword v17, v[6:7], off offset:-4096
	v_add_co_u32_e32 v8, vcc, s7, v4
	s_movk_i32 s8, 0x5000
	s_nop 0
	v_addc_co_u32_e32 v9, vcc, 0, v5, vcc
	global_load_dword v18, v[8:9], off offset:1024
	global_load_dword v19, v[8:9], off offset:2048
	;; [unrolled: 1-line block ×3, first 2 shown]
	global_load_dword v22, v[6:7], off
	global_load_dword v24, v[6:7], off offset:1024
	global_load_dword v26, v[6:7], off offset:2048
	v_add_co_u32_e32 v8, vcc, s8, v4
	s_movk_i32 s7, 0x4000
	s_nop 0
	v_addc_co_u32_e32 v9, vcc, 0, v5, vcc
	global_load_dword v28, v[6:7], off offset:3072
	global_load_dword v30, v[8:9], off offset:-4096
	v_add_co_u32_e32 v6, vcc, s7, v4
	s_movk_i32 s8, 0x7000
	s_nop 0
	v_addc_co_u32_e32 v7, vcc, 0, v5, vcc
	global_load_dword v32, v[6:7], off offset:1024
	global_load_dword v34, v[6:7], off offset:2048
	;; [unrolled: 1-line block ×3, first 2 shown]
	global_load_dword v38, v[8:9], off
	global_load_dword v40, v[8:9], off offset:1024
	global_load_dword v42, v[8:9], off offset:2048
	v_add_co_u32_e32 v6, vcc, s8, v4
	s_movk_i32 s7, 0x6000
	s_nop 0
	v_addc_co_u32_e32 v7, vcc, 0, v5, vcc
	global_load_dword v44, v[8:9], off offset:3072
	global_load_dword v46, v[6:7], off offset:-4096
	v_add_co_u32_e32 v4, vcc, s7, v4
	v_mov_b32_e32 v9, s3
	s_nop 0
	v_addc_co_u32_e32 v5, vcc, 0, v5, vcc
	global_load_dword v48, v[4:5], off offset:1024
	global_load_dword v50, v[4:5], off offset:2048
	global_load_dword v62, v2, s[4:5] offset:1024
	global_load_dword v63, v2, s[4:5] offset:2048
	global_load_dword v52, v[4:5], off offset:3072
	global_load_dword v54, v[6:7], off
	global_load_dword v64, v2, s[4:5]
	global_load_dword v58, v[6:7], off offset:2048
	global_load_dword v60, v[6:7], off offset:3072
	v_mov_b32_e32 v5, s3
	global_load_dword v2, v[6:7], off offset:1024
	v_mov_b32_e32 v11, s3
	v_mov_b32_e32 v13, s3
	v_mov_b32_e32 v15, s3
	v_mov_b32_e32 v7, s3
	v_mov_b32_e32 v21, s3
	v_mov_b32_e32 v23, s3
	v_mov_b32_e32 v25, s3
	v_mov_b32_e32 v27, s3
	v_mov_b32_e32 v29, s3
	v_mov_b32_e32 v31, s3
	v_mov_b32_e32 v33, s3
	v_mov_b32_e32 v35, s3
	v_mov_b32_e32 v37, s3
	v_mov_b32_e32 v39, s3
	v_mov_b32_e32 v41, s3
	v_mov_b32_e32 v43, s3
	v_mov_b32_e32 v45, s3
	v_mov_b32_e32 v47, s3
	v_mov_b32_e32 v49, s3
	v_mov_b32_e32 v51, s3
	v_mov_b32_e32 v53, s3
	v_mov_b32_e32 v55, s3
	v_mov_b32_e32 v57, s3
	v_mov_b32_e32 v59, s3
	v_mov_b32_e32 v61, s3
	s_waitcnt vmcnt(31)
	v_cmp_neq_f32_e32 vcc, 0, v1
	s_nop 1
	v_cndmask_b32_e64 v4, 0, 1, vcc
	s_waitcnt vmcnt(30)
	v_cmp_neq_f32_e32 vcc, 0, v10
	s_nop 1
	v_cndmask_b32_e64 v8, 0, 1, vcc
	;; [unrolled: 4-line block ×5, first 2 shown]
	s_waitcnt vmcnt(26)
	v_cmp_neq_f32_e32 vcc, 0, v17
	v_mov_b32_e32 v17, s3
	s_nop 0
	v_cndmask_b32_e64 v6, 0, 1, vcc
	s_waitcnt vmcnt(25)
	v_cmp_neq_f32_e32 vcc, 0, v18
	s_nop 1
	v_cndmask_b32_e64 v16, 0, 1, vcc
	s_waitcnt vmcnt(24)
	v_cmp_neq_f32_e32 vcc, 0, v19
	v_mov_b32_e32 v19, s3
	s_nop 0
	v_cndmask_b32_e64 v18, 0, 1, vcc
	s_waitcnt vmcnt(23)
	v_cmp_neq_f32_e32 vcc, 0, v20
	s_nop 1
	v_cndmask_b32_e64 v20, 0, 1, vcc
	s_waitcnt vmcnt(22)
	v_cmp_neq_f32_e32 vcc, 0, v22
	s_nop 1
	v_cndmask_b32_e64 v22, 0, 1, vcc
	s_waitcnt vmcnt(21)
	v_cmp_neq_f32_e32 vcc, 0, v24
	s_nop 1
	v_cndmask_b32_e64 v24, 0, 1, vcc
	s_waitcnt vmcnt(20)
	v_cmp_neq_f32_e32 vcc, 0, v26
	s_nop 1
	v_cndmask_b32_e64 v26, 0, 1, vcc
	s_waitcnt vmcnt(19)
	v_cmp_neq_f32_e32 vcc, 0, v28
	s_nop 1
	v_cndmask_b32_e64 v28, 0, 1, vcc
	s_waitcnt vmcnt(18)
	v_cmp_neq_f32_e32 vcc, 0, v30
	s_nop 1
	v_cndmask_b32_e64 v30, 0, 1, vcc
	s_waitcnt vmcnt(17)
	v_cmp_neq_f32_e32 vcc, 0, v32
	s_nop 1
	v_cndmask_b32_e64 v32, 0, 1, vcc
	s_waitcnt vmcnt(16)
	v_cmp_neq_f32_e32 vcc, 0, v34
	s_nop 1
	v_cndmask_b32_e64 v34, 0, 1, vcc
	s_waitcnt vmcnt(15)
	v_cmp_neq_f32_e32 vcc, 0, v36
	s_nop 1
	v_cndmask_b32_e64 v36, 0, 1, vcc
	s_waitcnt vmcnt(14)
	v_cmp_neq_f32_e32 vcc, 0, v38
	s_nop 1
	v_cndmask_b32_e64 v38, 0, 1, vcc
	s_waitcnt vmcnt(13)
	v_cmp_neq_f32_e32 vcc, 0, v40
	s_nop 1
	v_cndmask_b32_e64 v40, 0, 1, vcc
	s_waitcnt vmcnt(12)
	v_cmp_neq_f32_e32 vcc, 0, v42
	s_nop 1
	v_cndmask_b32_e64 v42, 0, 1, vcc
	s_waitcnt vmcnt(11)
	v_cmp_neq_f32_e32 vcc, 0, v44
	s_nop 1
	v_cndmask_b32_e64 v44, 0, 1, vcc
	s_waitcnt vmcnt(10)
	v_cmp_neq_f32_e32 vcc, 0, v46
	s_nop 1
	v_cndmask_b32_e64 v46, 0, 1, vcc
	s_waitcnt vmcnt(9)
	v_cmp_neq_f32_e32 vcc, 0, v48
	s_nop 1
	v_cndmask_b32_e64 v48, 0, 1, vcc
	s_waitcnt vmcnt(8)
	v_cmp_neq_f32_e32 vcc, 0, v50
	s_nop 1
	v_cndmask_b32_e64 v50, 0, 1, vcc
	s_waitcnt vmcnt(5)
	v_cmp_neq_f32_e32 vcc, 0, v52
	s_nop 1
	v_cndmask_b32_e64 v52, 0, 1, vcc
	s_waitcnt vmcnt(4)
	v_cmp_neq_f32_e32 vcc, 0, v54
	s_nop 1
	v_cndmask_b32_e64 v54, 0, 1, vcc
	s_waitcnt vmcnt(0)
	v_cmp_neq_f32_e32 vcc, 0, v2
	s_nop 1
	v_cndmask_b32_e64 v56, 0, 1, vcc
	v_cmp_neq_f32_e32 vcc, 0, v58
	s_nop 1
	v_cndmask_b32_e64 v58, 0, 1, vcc
	v_cmp_neq_f32_e32 vcc, 0, v60
	;; [unrolled: 3-line block ×5, first 2 shown]
	s_nop 1
	v_addc_co_u32_e32 v2, vcc, v1, v2, vcc
	v_lshl_add_u64 v[4:5], v[2:3], 0, v[4:5]
	v_lshl_add_u64 v[4:5], v[4:5], 0, v[8:9]
	;; [unrolled: 1-line block ×29, first 2 shown]
	v_mov_b32_dpp v7, v3 quad_perm:[1,0,3,2] row_mask:0xf bank_mask:0xf bound_ctrl:1
	v_mov_b32_e32 v6, v3
	v_mov_b32_dpp v2, v4 quad_perm:[1,0,3,2] row_mask:0xf bank_mask:0xf bound_ctrl:1
	v_lshl_add_u64 v[4:5], v[4:5], 0, v[2:3]
	v_lshl_add_u64 v[6:7], v[6:7], 0, v[4:5]
	v_mbcnt_lo_u32_b32 v1, -1, 0
	v_mov_b32_dpp v2, v4 quad_perm:[2,3,0,1] row_mask:0xf bank_mask:0xf bound_ctrl:1
	v_mov_b32_dpp v5, v7 quad_perm:[2,3,0,1] row_mask:0xf bank_mask:0xf bound_ctrl:1
	v_mov_b32_e32 v4, v3
	v_lshl_add_u64 v[6:7], v[6:7], 0, v[2:3]
	v_lshl_add_u64 v[4:5], v[6:7], 0, v[4:5]
	v_mbcnt_hi_u32_b32 v1, -1, v1
	v_mov_b32_dpp v2, v6 row_ror:4 row_mask:0xf bank_mask:0xf bound_ctrl:1
	v_mov_b32_dpp v7, v5 row_ror:4 row_mask:0xf bank_mask:0xf bound_ctrl:1
	v_mov_b32_e32 v6, v3
	v_lshl_add_u64 v[4:5], v[4:5], 0, v[2:3]
	v_lshl_add_u64 v[6:7], v[4:5], 0, v[6:7]
	v_cmp_eq_u32_e32 vcc, 0, v1
	v_mov_b32_dpp v2, v4 row_ror:8 row_mask:0xf bank_mask:0xf bound_ctrl:1
	v_mov_b32_dpp v5, v7 row_ror:8 row_mask:0xf bank_mask:0xf bound_ctrl:1
	v_mov_b32_e32 v4, v3
	v_lshl_add_u64 v[6:7], v[6:7], 0, v[2:3]
	v_lshl_add_u64 v[4:5], v[6:7], 0, v[4:5]
	s_nop 0
	v_mov_b32_dpp v2, v6 row_bcast:15 row_mask:0xf bank_mask:0xf bound_ctrl:1
	v_mov_b32_dpp v7, v5 row_bcast:15 row_mask:0xf bank_mask:0xf bound_ctrl:1
	v_mov_b32_e32 v6, v3
	v_lshl_add_u64 v[4:5], v[4:5], 0, v[2:3]
	v_lshl_add_u64 v[6:7], v[4:5], 0, v[6:7]
	s_nop 0
	v_mov_b32_dpp v2, v4 row_bcast:31 row_mask:0xf bank_mask:0xf bound_ctrl:1
	v_lshl_add_u64 v[2:3], v[6:7], 0, v[2:3]
	v_lshlrev_b32_e32 v4, 2, v1
	v_or_b32_e32 v5, 0xfc, v4
	v_add_u32_dpp v3, v7, v3 row_bcast:31 row_mask:0xf bank_mask:0xf bound_ctrl:1
	ds_bpermute_b32 v2, v5, v2
	ds_bpermute_b32 v3, v5, v3
	s_and_saveexec_b64 s[8:9], vcc
	s_cbranch_execz .LBB244_435
; %bb.434:
	v_lshrrev_b32_e32 v5, 3, v0
	v_and_b32_e32 v5, 24, v5
	s_waitcnt lgkmcnt(0)
	ds_write_b64 v5, v[2:3] offset:128
.LBB244_435:
	s_or_b64 exec, exec, s[8:9]
	v_cmp_gt_u32_e32 vcc, 64, v0
	s_waitcnt lgkmcnt(0)
	s_barrier
	s_and_saveexec_b64 s[8:9], vcc
	s_cbranch_execz .LBB244_437
; %bb.436:
	v_and_b32_e32 v5, 3, v1
	v_lshlrev_b32_e32 v2, 3, v5
	ds_read_b64 v[2:3], v2 offset:128
	v_cmp_ne_u32_e32 vcc, 3, v5
	v_mov_b32_e32 v8, 0
	v_mov_b32_e32 v7, v8
	v_addc_co_u32_e32 v1, vcc, 0, v1, vcc
	v_lshlrev_b32_e32 v1, 2, v1
	s_waitcnt lgkmcnt(0)
	ds_bpermute_b32 v6, v1, v2
	ds_bpermute_b32 v9, v1, v3
	v_or_b32_e32 v1, 8, v4
	s_waitcnt lgkmcnt(1)
	v_lshl_add_u64 v[2:3], v[2:3], 0, v[6:7]
	s_waitcnt lgkmcnt(0)
	v_lshl_add_u64 v[4:5], v[8:9], 0, v[2:3]
	ds_bpermute_b32 v2, v1, v2
	ds_bpermute_b32 v9, v1, v5
	v_mov_b32_e32 v3, v8
	s_waitcnt lgkmcnt(1)
	v_lshl_add_u64 v[2:3], v[4:5], 0, v[2:3]
	s_waitcnt lgkmcnt(0)
	v_lshl_add_u64 v[2:3], v[2:3], 0, v[8:9]
.LBB244_437:
	s_or_b64 exec, exec, s[8:9]
	s_mov_b64 s[8:9], 0
	s_branch .LBB244_441
.LBB244_438:
                                        ; implicit-def: $vgpr2_vgpr3
                                        ; implicit-def: $vgpr4_vgpr5
	s_cbranch_execnz .LBB244_516
	s_branch .LBB244_567
.LBB244_439:
	s_branch .LBB244_567
.LBB244_440:
	s_mov_b64 s[8:9], -1
                                        ; implicit-def: $vgpr2_vgpr3
.LBB244_441:
	s_and_b64 vcc, exec, s[8:9]
	s_cbranch_vccz .LBB244_515
; %bb.442:
	s_sub_i32 s8, s36, s6
	v_cmp_gt_u32_e32 vcc, s8, v0
                                        ; implicit-def: $vgpr2_vgpr3
	s_and_saveexec_b64 s[6:7], vcc
	s_cbranch_execz .LBB244_444
; %bb.443:
	s_waitcnt lgkmcnt(1)
	v_lshlrev_b32_e32 v1, 2, v0
	global_load_dword v1, v1, s[4:5]
	s_mov_b32 s9, 0
	v_mov_b32_e32 v3, s9
	s_waitcnt vmcnt(0)
	v_cmp_neq_f32_e32 vcc, 0, v1
	s_nop 1
	v_cndmask_b32_e64 v2, 0, 1, vcc
.LBB244_444:
	s_or_b64 exec, exec, s[6:7]
	s_waitcnt lgkmcnt(1)
	v_or_b32_e32 v1, 0x100, v0
	v_cmp_gt_u32_e32 vcc, s8, v1
	v_mov_b64_e32 v[4:5], 0
	s_waitcnt lgkmcnt(0)
	v_mov_b64_e32 v[6:7], 0
	s_and_saveexec_b64 s[6:7], vcc
	s_cbranch_execz .LBB244_446
; %bb.445:
	v_lshlrev_b32_e32 v1, 2, v0
	global_load_dword v1, v1, s[4:5] offset:1024
	s_mov_b32 s9, 0
	v_mov_b32_e32 v7, s9
	s_waitcnt vmcnt(0)
	v_cmp_neq_f32_e32 vcc, 0, v1
	s_nop 1
	v_cndmask_b32_e64 v6, 0, 1, vcc
.LBB244_446:
	s_or_b64 exec, exec, s[6:7]
	v_or_b32_e32 v1, 0x200, v0
	v_cmp_gt_u32_e32 vcc, s8, v1
	s_and_saveexec_b64 s[6:7], vcc
	s_cbranch_execz .LBB244_448
; %bb.447:
	v_lshlrev_b32_e32 v1, 2, v0
	global_load_dword v1, v1, s[4:5] offset:2048
	s_mov_b32 s9, 0
	v_mov_b32_e32 v5, s9
	s_waitcnt vmcnt(0)
	v_cmp_neq_f32_e32 vcc, 0, v1
	s_nop 1
	v_cndmask_b32_e64 v4, 0, 1, vcc
.LBB244_448:
	s_or_b64 exec, exec, s[6:7]
	v_or_b32_e32 v1, 0x300, v0
	v_cmp_gt_u32_e32 vcc, s8, v1
	v_mov_b64_e32 v[8:9], 0
	v_mov_b64_e32 v[10:11], 0
	s_and_saveexec_b64 s[6:7], vcc
	s_cbranch_execz .LBB244_450
; %bb.449:
	v_lshlrev_b32_e32 v1, 2, v0
	global_load_dword v1, v1, s[4:5] offset:3072
	s_mov_b32 s9, 0
	v_mov_b32_e32 v11, s9
	s_waitcnt vmcnt(0)
	v_cmp_neq_f32_e32 vcc, 0, v1
	s_nop 1
	v_cndmask_b32_e64 v10, 0, 1, vcc
.LBB244_450:
	s_or_b64 exec, exec, s[6:7]
	v_or_b32_e32 v1, 0x400, v0
	v_cmp_gt_u32_e32 vcc, s8, v1
	s_and_saveexec_b64 s[6:7], vcc
	s_cbranch_execz .LBB244_452
; %bb.451:
	v_lshlrev_b32_e32 v1, 2, v1
	global_load_dword v1, v1, s[4:5]
	s_mov_b32 s9, 0
	v_mov_b32_e32 v9, s9
	s_waitcnt vmcnt(0)
	v_cmp_neq_f32_e32 vcc, 0, v1
	s_nop 1
	v_cndmask_b32_e64 v8, 0, 1, vcc
.LBB244_452:
	s_or_b64 exec, exec, s[6:7]
	v_or_b32_e32 v1, 0x500, v0
	v_cmp_gt_u32_e32 vcc, s8, v1
	v_mov_b64_e32 v[12:13], 0
	v_mov_b64_e32 v[14:15], 0
	s_and_saveexec_b64 s[6:7], vcc
	s_cbranch_execz .LBB244_454
; %bb.453:
	v_lshlrev_b32_e32 v1, 2, v1
	global_load_dword v1, v1, s[4:5]
	s_mov_b32 s9, 0
	v_mov_b32_e32 v15, s9
	s_waitcnt vmcnt(0)
	v_cmp_neq_f32_e32 vcc, 0, v1
	s_nop 1
	v_cndmask_b32_e64 v14, 0, 1, vcc
.LBB244_454:
	s_or_b64 exec, exec, s[6:7]
	v_or_b32_e32 v1, 0x600, v0
	v_cmp_gt_u32_e32 vcc, s8, v1
	s_and_saveexec_b64 s[6:7], vcc
	s_cbranch_execz .LBB244_456
; %bb.455:
	v_lshlrev_b32_e32 v1, 2, v1
	global_load_dword v1, v1, s[4:5]
	s_mov_b32 s9, 0
	v_mov_b32_e32 v13, s9
	s_waitcnt vmcnt(0)
	v_cmp_neq_f32_e32 vcc, 0, v1
	s_nop 1
	v_cndmask_b32_e64 v12, 0, 1, vcc
.LBB244_456:
	s_or_b64 exec, exec, s[6:7]
	v_or_b32_e32 v1, 0x700, v0
	v_cmp_gt_u32_e32 vcc, s8, v1
	v_mov_b64_e32 v[16:17], 0
	v_mov_b64_e32 v[18:19], 0
	s_and_saveexec_b64 s[6:7], vcc
	s_cbranch_execz .LBB244_458
; %bb.457:
	v_lshlrev_b32_e32 v1, 2, v1
	global_load_dword v1, v1, s[4:5]
	s_mov_b32 s9, 0
	v_mov_b32_e32 v19, s9
	s_waitcnt vmcnt(0)
	v_cmp_neq_f32_e32 vcc, 0, v1
	s_nop 1
	v_cndmask_b32_e64 v18, 0, 1, vcc
.LBB244_458:
	;; [unrolled: 32-line block ×13, first 2 shown]
	s_or_b64 exec, exec, s[6:7]
	v_or_b32_e32 v1, 0x1e00, v0
	v_cmp_gt_u32_e32 vcc, s8, v1
	s_and_saveexec_b64 s[6:7], vcc
	s_cbranch_execz .LBB244_504
; %bb.503:
	v_lshlrev_b32_e32 v1, 2, v1
	global_load_dword v1, v1, s[4:5]
	s_mov_b32 s9, 0
	v_mov_b32_e32 v61, s9
	s_waitcnt vmcnt(0)
	v_cmp_neq_f32_e32 vcc, 0, v1
	s_nop 1
	v_cndmask_b32_e64 v60, 0, 1, vcc
.LBB244_504:
	s_or_b64 exec, exec, s[6:7]
	v_or_b32_e32 v1, 0x1f00, v0
	v_cmp_gt_u32_e32 vcc, s8, v1
	v_mov_b64_e32 v[64:65], 0
	s_and_saveexec_b64 s[6:7], vcc
	s_cbranch_execz .LBB244_506
; %bb.505:
	v_lshlrev_b32_e32 v1, 2, v1
	global_load_dword v1, v1, s[4:5]
	s_mov_b32 s4, 0
	v_mov_b32_e32 v65, s4
	s_waitcnt vmcnt(0)
	v_cmp_neq_f32_e32 vcc, 0, v1
	s_nop 1
	v_cndmask_b32_e64 v64, 0, 1, vcc
.LBB244_506:
	s_or_b64 exec, exec, s[6:7]
	v_lshl_add_u64 v[2:3], v[6:7], 0, v[2:3]
	v_lshl_add_u64 v[2:3], v[2:3], 0, v[4:5]
	;; [unrolled: 1-line block ×26, first 2 shown]
	v_mbcnt_lo_u32_b32 v1, -1, 0
	v_lshl_add_u64 v[2:3], v[2:3], 0, v[58:59]
	v_mbcnt_hi_u32_b32 v1, -1, v1
	v_lshl_add_u64 v[2:3], v[2:3], 0, v[56:57]
	v_and_b32_e32 v9, 63, v1
	v_lshl_add_u64 v[2:3], v[2:3], 0, v[62:63]
	s_min_u32 s8, s8, 0x100
	v_and_b32_e32 v4, 0xc0, v0
	v_cmp_ne_u32_e32 vcc, 63, v9
	v_lshl_add_u64 v[2:3], v[2:3], 0, v[60:61]
	v_sub_u32_e64 v8, s8, v4 clamp
	v_addc_co_u32_e32 v4, vcc, 0, v1, vcc
	v_lshl_add_u64 v[2:3], v[2:3], 0, v[64:65]
	v_lshlrev_b32_e32 v5, 2, v4
	ds_bpermute_b32 v4, v5, v2
	ds_bpermute_b32 v7, v5, v3
	v_mov_b32_e32 v6, 0
	v_add_u32_e32 v10, 1, v9
	v_mov_b32_e32 v5, v6
	s_waitcnt lgkmcnt(1)
	v_lshl_add_u64 v[4:5], v[2:3], 0, v[4:5]
	v_cmp_lt_u32_e64 s[4:5], v10, v8
	v_cmp_gt_u32_e32 vcc, 62, v9
	s_waitcnt lgkmcnt(0)
	v_lshl_add_u64 v[6:7], v[6:7], 0, v[4:5]
	v_cndmask_b32_e64 v12, v2, v4, s[4:5]
	v_cndmask_b32_e64 v4, 0, 2, vcc
	v_cndmask_b32_e64 v5, v3, v7, s[4:5]
	v_add_lshl_u32 v4, v4, v1, 2
	ds_bpermute_b32 v10, v4, v12
	ds_bpermute_b32 v11, v4, v5
	v_cndmask_b32_e64 v4, v2, v6, s[4:5]
	v_add_u32_e32 v13, 2, v9
	v_cmp_lt_u32_e32 vcc, v13, v8
	v_cmp_gt_u32_e64 s[6:7], 60, v9
	s_waitcnt lgkmcnt(0)
	v_lshl_add_u64 v[6:7], v[10:11], 0, v[4:5]
	v_cndmask_b32_e32 v5, v5, v7, vcc
	v_cndmask_b32_e64 v7, 0, 4, s[6:7]
	v_cndmask_b32_e32 v12, v12, v6, vcc
	v_add_lshl_u32 v7, v7, v1, 2
	ds_bpermute_b32 v10, v7, v12
	ds_bpermute_b32 v11, v7, v5
	v_cndmask_b32_e32 v4, v4, v6, vcc
	v_add_u32_e32 v13, 4, v9
	v_cmp_lt_u32_e32 vcc, v13, v8
	v_cmp_gt_u32_e64 s[6:7], 56, v9
	s_waitcnt lgkmcnt(0)
	v_lshl_add_u64 v[6:7], v[10:11], 0, v[4:5]
	v_cndmask_b32_e32 v5, v5, v7, vcc
	v_cndmask_b32_e64 v7, 0, 8, s[6:7]
	v_cndmask_b32_e32 v12, v12, v6, vcc
	v_add_lshl_u32 v7, v7, v1, 2
	ds_bpermute_b32 v10, v7, v12
	ds_bpermute_b32 v11, v7, v5
	v_cndmask_b32_e32 v4, v4, v6, vcc
	;; [unrolled: 12-line block ×3, first 2 shown]
	v_add_u32_e32 v13, 16, v9
	v_cmp_lt_u32_e32 vcc, v13, v8
	s_waitcnt lgkmcnt(0)
	v_lshl_add_u64 v[6:7], v[10:11], 0, v[4:5]
	v_lshlrev_b32_e32 v10, 2, v1
	v_cndmask_b32_e32 v13, v5, v7, vcc
	v_cndmask_b32_e32 v11, v12, v6, vcc
	v_or_b32_e32 v12, 0x80, v10
	ds_bpermute_b32 v11, v12, v11
	ds_bpermute_b32 v12, v12, v13
	s_and_saveexec_b64 s[6:7], s[4:5]
	s_cbranch_execz .LBB244_508
; %bb.507:
	v_add_u32_e32 v9, 32, v9
	v_cndmask_b32_e32 v3, v5, v7, vcc
	v_cndmask_b32_e32 v2, v4, v6, vcc
	v_cmp_lt_u32_e32 vcc, v9, v8
	s_waitcnt lgkmcnt(0)
	s_nop 0
	v_cndmask_b32_e32 v5, 0, v12, vcc
	v_cndmask_b32_e32 v4, 0, v11, vcc
	v_lshl_add_u64 v[2:3], v[4:5], 0, v[2:3]
.LBB244_508:
	s_or_b64 exec, exec, s[6:7]
	v_cmp_eq_u32_e32 vcc, 0, v1
	s_and_saveexec_b64 s[4:5], vcc
; %bb.509:
	v_lshrrev_b32_e32 v4, 3, v0
	v_and_b32_e32 v4, 24, v4
	ds_write_b64 v4, v[2:3] offset:256
; %bb.510:
	s_or_b64 exec, exec, s[4:5]
	v_cmp_gt_u32_e32 vcc, 4, v0
	s_waitcnt lgkmcnt(0)
	s_barrier
	s_and_saveexec_b64 s[4:5], vcc
	s_cbranch_execz .LBB244_514
; %bb.511:
	v_lshlrev_b32_e32 v2, 3, v1
	ds_read_b64 v[2:3], v2 offset:256
	v_and_b32_e32 v6, 3, v1
	v_cmp_ne_u32_e32 vcc, 3, v6
	v_mov_b32_e32 v8, 0
	s_add_i32 s8, s8, 63
	v_addc_co_u32_e32 v1, vcc, 0, v1, vcc
	v_lshlrev_b32_e32 v1, 2, v1
	s_waitcnt lgkmcnt(0)
	ds_bpermute_b32 v4, v1, v2
	ds_bpermute_b32 v9, v1, v3
	v_mov_b32_e32 v5, v8
	s_lshr_b32 s8, s8, 6
	v_add_u32_e32 v1, 1, v6
	s_waitcnt lgkmcnt(1)
	v_lshl_add_u64 v[12:13], v[2:3], 0, v[4:5]
	s_waitcnt lgkmcnt(0)
	v_lshl_add_u64 v[4:5], v[8:9], 0, v[12:13]
	v_cmp_gt_u32_e32 vcc, s8, v1
	v_or_b32_e32 v8, 8, v10
	s_nop 0
	v_cndmask_b32_e32 v7, v3, v5, vcc
	v_cndmask_b32_e32 v1, v2, v12, vcc
	ds_bpermute_b32 v1, v8, v1
	ds_bpermute_b32 v7, v8, v7
	s_and_saveexec_b64 s[6:7], vcc
	s_cbranch_execz .LBB244_513
; %bb.512:
	v_add_u32_e32 v2, 2, v6
	v_cmp_gt_u32_e32 vcc, s8, v2
	s_waitcnt lgkmcnt(0)
	s_nop 0
	v_cndmask_b32_e32 v3, 0, v7, vcc
	v_cndmask_b32_e32 v2, 0, v1, vcc
	v_lshl_add_u64 v[2:3], v[2:3], 0, v[4:5]
.LBB244_513:
	s_or_b64 exec, exec, s[6:7]
.LBB244_514:
	s_or_b64 exec, exec, s[4:5]
.LBB244_515:
	v_cmp_eq_u32_e64 s[4:5], 0, v0
	v_mov_b64_e32 v[4:5], s[2:3]
	s_branch .LBB244_567
.LBB244_516:
	s_cmp_eq_u32 s33, 16
                                        ; implicit-def: $vgpr2_vgpr3
                                        ; implicit-def: $vgpr4_vgpr5
	s_cbranch_scc0 .LBB244_567
; %bb.517:
	s_mov_b32 s3, 0
	s_lshl_b32 s4, s2, 12
	s_mov_b32 s5, s3
	s_lshr_b64 s[6:7], s[36:37], 12
	s_lshl_b64 s[8:9], s[4:5], 2
	s_add_u32 s34, s40, s8
	s_addc_u32 s35, s41, s9
	s_cmp_lg_u64 s[6:7], s[2:3]
	s_cbranch_scc0 .LBB244_523
; %bb.518:
	v_lshlrev_b32_e32 v2, 2, v0
	global_load_dword v10, v2, s[34:35] offset:1024
	global_load_dword v12, v2, s[34:35] offset:2048
	;; [unrolled: 1-line block ×3, first 2 shown]
	v_mov_b32_e32 v3, 0
	v_lshl_add_u64 v[4:5], s[34:35], 0, v[2:3]
	global_load_dword v2, v2, s[34:35]
	s_movk_i32 s5, 0x3000
	v_add_co_u32_e32 v6, vcc, s5, v4
	s_movk_i32 s5, 0x2000
	s_waitcnt lgkmcnt(0)
	v_addc_co_u32_e32 v7, vcc, 0, v5, vcc
	global_load_dword v16, v[6:7], off offset:-4096
	global_load_dword v18, v[6:7], off
	global_load_dword v20, v[6:7], off offset:1024
	global_load_dword v26, v[6:7], off offset:2048
	;; [unrolled: 1-line block ×3, first 2 shown]
	v_add_co_u32_e32 v8, vcc, 0x1000, v4
	v_mov_b32_e32 v7, s3
	s_nop 0
	v_addc_co_u32_e32 v9, vcc, 0, v5, vcc
	global_load_dword v6, v[8:9], off
	global_load_dword v32, v[8:9], off offset:1024
	global_load_dword v33, v[8:9], off offset:2048
	;; [unrolled: 1-line block ×3, first 2 shown]
	v_add_co_u32_e32 v4, vcc, s5, v4
	v_mov_b32_e32 v9, s3
	s_nop 0
	v_addc_co_u32_e32 v5, vcc, 0, v5, vcc
	global_load_dword v35, v[4:5], off offset:1024
	global_load_dword v36, v[4:5], off offset:2048
	;; [unrolled: 1-line block ×3, first 2 shown]
	v_mov_b32_e32 v5, s3
	v_mov_b32_e32 v11, s3
	;; [unrolled: 1-line block ×11, first 2 shown]
	v_mov_b32_dpp v31, v3 quad_perm:[1,0,3,2] row_mask:0xf bank_mask:0xf bound_ctrl:1
	v_mov_b32_e32 v30, v3
	v_mbcnt_lo_u32_b32 v1, -1, 0
	v_mbcnt_hi_u32_b32 v1, -1, v1
	s_waitcnt vmcnt(13)
	v_cmp_neq_f32_e32 vcc, 0, v14
	s_nop 1
	v_cndmask_b32_e64 v4, 0, 1, vcc
	v_cmp_neq_f32_e32 vcc, 0, v10
	s_nop 1
	v_cndmask_b32_e64 v8, 0, 1, vcc
	s_waitcnt vmcnt(12)
	v_cmp_neq_f32_e32 vcc, 0, v2
	s_nop 1
	v_cndmask_b32_e64 v2, 0, 1, vcc
	v_cmp_neq_f32_e32 vcc, 0, v12
	s_nop 1
	v_addc_co_u32_e32 v2, vcc, v8, v2, vcc
	s_waitcnt vmcnt(11)
	v_cmp_neq_f32_e32 vcc, 0, v16
	v_lshl_add_u64 v[4:5], v[2:3], 0, v[4:5]
	s_nop 0
	v_cndmask_b32_e64 v14, 0, 1, vcc
	s_waitcnt vmcnt(10)
	v_cmp_neq_f32_e32 vcc, 0, v18
	s_nop 1
	v_cndmask_b32_e64 v22, 0, 1, vcc
	s_waitcnt vmcnt(9)
	v_cmp_neq_f32_e32 vcc, 0, v20
	;; [unrolled: 4-line block ×6, first 2 shown]
	v_lshl_add_u64 v[4:5], v[4:5], 0, v[6:7]
	s_nop 0
	v_cndmask_b32_e64 v8, 0, 1, vcc
	s_waitcnt vmcnt(4)
	v_cmp_neq_f32_e32 vcc, 0, v33
	v_lshl_add_u64 v[4:5], v[4:5], 0, v[8:9]
	s_nop 0
	v_cndmask_b32_e64 v10, 0, 1, vcc
	s_waitcnt vmcnt(3)
	v_cmp_neq_f32_e32 vcc, 0, v34
	;; [unrolled: 5-line block ×3, first 2 shown]
	v_lshl_add_u64 v[4:5], v[4:5], 0, v[12:13]
	v_lshl_add_u64 v[4:5], v[4:5], 0, v[14:15]
	v_cndmask_b32_e64 v16, 0, 1, vcc
	s_waitcnt vmcnt(1)
	v_cmp_neq_f32_e32 vcc, 0, v36
	v_lshl_add_u64 v[4:5], v[4:5], 0, v[16:17]
	s_nop 0
	v_cndmask_b32_e64 v18, 0, 1, vcc
	s_waitcnt vmcnt(0)
	v_cmp_neq_f32_e32 vcc, 0, v37
	v_lshl_add_u64 v[4:5], v[4:5], 0, v[18:19]
	s_nop 0
	v_cndmask_b32_e64 v20, 0, 1, vcc
	v_lshl_add_u64 v[4:5], v[4:5], 0, v[20:21]
	v_lshl_add_u64 v[4:5], v[4:5], 0, v[22:23]
	;; [unrolled: 1-line block ×5, first 2 shown]
	v_cmp_eq_u32_e32 vcc, 0, v1
	s_nop 0
	v_mov_b32_dpp v2, v4 quad_perm:[1,0,3,2] row_mask:0xf bank_mask:0xf bound_ctrl:1
	v_lshl_add_u64 v[4:5], v[4:5], 0, v[2:3]
	v_lshl_add_u64 v[6:7], v[30:31], 0, v[4:5]
	s_nop 0
	v_mov_b32_dpp v2, v4 quad_perm:[2,3,0,1] row_mask:0xf bank_mask:0xf bound_ctrl:1
	v_mov_b32_dpp v5, v7 quad_perm:[2,3,0,1] row_mask:0xf bank_mask:0xf bound_ctrl:1
	v_mov_b32_e32 v4, v3
	v_lshl_add_u64 v[6:7], v[6:7], 0, v[2:3]
	v_lshl_add_u64 v[4:5], v[6:7], 0, v[4:5]
	s_nop 0
	v_mov_b32_dpp v2, v6 row_ror:4 row_mask:0xf bank_mask:0xf bound_ctrl:1
	v_mov_b32_dpp v7, v5 row_ror:4 row_mask:0xf bank_mask:0xf bound_ctrl:1
	v_mov_b32_e32 v6, v3
	v_lshl_add_u64 v[4:5], v[4:5], 0, v[2:3]
	v_lshl_add_u64 v[6:7], v[4:5], 0, v[6:7]
	s_nop 0
	v_mov_b32_dpp v2, v4 row_ror:8 row_mask:0xf bank_mask:0xf bound_ctrl:1
	v_mov_b32_dpp v5, v7 row_ror:8 row_mask:0xf bank_mask:0xf bound_ctrl:1
	v_mov_b32_e32 v4, v3
	v_lshl_add_u64 v[6:7], v[6:7], 0, v[2:3]
	v_lshl_add_u64 v[4:5], v[6:7], 0, v[4:5]
	s_nop 0
	v_mov_b32_dpp v2, v6 row_bcast:15 row_mask:0xf bank_mask:0xf bound_ctrl:1
	v_mov_b32_dpp v7, v5 row_bcast:15 row_mask:0xf bank_mask:0xf bound_ctrl:1
	v_mov_b32_e32 v6, v3
	v_lshl_add_u64 v[4:5], v[4:5], 0, v[2:3]
	v_lshl_add_u64 v[6:7], v[4:5], 0, v[6:7]
	s_nop 0
	v_mov_b32_dpp v2, v4 row_bcast:31 row_mask:0xf bank_mask:0xf bound_ctrl:1
	v_lshl_add_u64 v[2:3], v[6:7], 0, v[2:3]
	v_lshlrev_b32_e32 v4, 2, v1
	v_or_b32_e32 v5, 0xfc, v4
	v_add_u32_dpp v3, v7, v3 row_bcast:31 row_mask:0xf bank_mask:0xf bound_ctrl:1
	ds_bpermute_b32 v2, v5, v2
	ds_bpermute_b32 v3, v5, v3
	s_and_saveexec_b64 s[6:7], vcc
	s_cbranch_execz .LBB244_520
; %bb.519:
	v_lshrrev_b32_e32 v5, 3, v0
	v_and_b32_e32 v5, 24, v5
	s_waitcnt lgkmcnt(0)
	ds_write_b64 v5, v[2:3] offset:32
.LBB244_520:
	s_or_b64 exec, exec, s[6:7]
	v_cmp_gt_u32_e32 vcc, 64, v0
	s_waitcnt lgkmcnt(0)
	s_barrier
	s_and_saveexec_b64 s[6:7], vcc
	s_cbranch_execz .LBB244_522
; %bb.521:
	v_and_b32_e32 v5, 3, v1
	v_lshlrev_b32_e32 v2, 3, v5
	ds_read_b64 v[2:3], v2 offset:32
	v_cmp_ne_u32_e32 vcc, 3, v5
	v_mov_b32_e32 v8, 0
	v_mov_b32_e32 v7, v8
	v_addc_co_u32_e32 v1, vcc, 0, v1, vcc
	v_lshlrev_b32_e32 v1, 2, v1
	s_waitcnt lgkmcnt(0)
	ds_bpermute_b32 v6, v1, v2
	ds_bpermute_b32 v9, v1, v3
	v_or_b32_e32 v1, 8, v4
	s_waitcnt lgkmcnt(1)
	v_lshl_add_u64 v[2:3], v[2:3], 0, v[6:7]
	s_waitcnt lgkmcnt(0)
	v_lshl_add_u64 v[4:5], v[8:9], 0, v[2:3]
	ds_bpermute_b32 v2, v1, v2
	ds_bpermute_b32 v9, v1, v5
	v_mov_b32_e32 v3, v8
	s_waitcnt lgkmcnt(1)
	v_lshl_add_u64 v[2:3], v[4:5], 0, v[2:3]
	s_waitcnt lgkmcnt(0)
	v_lshl_add_u64 v[2:3], v[2:3], 0, v[8:9]
.LBB244_522:
	s_or_b64 exec, exec, s[6:7]
	s_mov_b64 s[6:7], 0
	s_branch .LBB244_524
.LBB244_523:
	s_mov_b64 s[6:7], -1
                                        ; implicit-def: $vgpr2_vgpr3
.LBB244_524:
	s_and_b64 vcc, exec, s[6:7]
	s_cbranch_vccz .LBB244_566
; %bb.525:
	s_sub_i32 s44, s36, s4
	v_mov_b32_e32 v2, 0
	v_cmp_gt_u32_e32 vcc, s44, v0
	v_mov_b32_e32 v3, v2
	v_mov_b32_e32 v4, v2
	;; [unrolled: 1-line block ×4, first 2 shown]
	s_waitcnt lgkmcnt(0)
	v_mov_b32_e32 v7, v2
	v_mov_b32_e32 v8, v2
	;; [unrolled: 1-line block ×27, first 2 shown]
	s_and_saveexec_b64 s[4:5], vcc
	s_cbranch_execz .LBB244_527
; %bb.526:
	v_lshlrev_b32_e32 v1, 2, v0
	global_load_dword v1, v1, s[34:35]
	v_mov_b32_e32 v3, v2
	v_mov_b32_e32 v4, v2
	;; [unrolled: 1-line block ×31, first 2 shown]
	s_waitcnt vmcnt(0)
	v_cmp_neq_f32_e32 vcc, 0, v1
	s_nop 1
	v_cndmask_b32_e64 v2, 0, 1, vcc
.LBB244_527:
	s_or_b64 exec, exec, s[4:5]
	v_or_b32_e32 v1, 0x100, v0
	v_cmp_gt_u32_e32 vcc, s44, v1
	s_and_saveexec_b64 s[6:7], vcc
	s_cbranch_execz .LBB244_529
; %bb.528:
	v_lshlrev_b32_e32 v1, 2, v0
	global_load_dword v1, v1, s[34:35] offset:1024
	s_mov_b32 s8, 0
	v_mov_b32_e32 v5, s8
	s_waitcnt vmcnt(0)
	v_cmp_neq_f32_e64 s[4:5], 0, v1
	s_nop 1
	v_cndmask_b32_e64 v4, 0, 1, s[4:5]
.LBB244_529:
	s_or_b64 exec, exec, s[6:7]
	v_or_b32_e32 v1, 0x200, v0
	v_cmp_gt_u32_e64 s[4:5], s44, v1
	s_and_saveexec_b64 s[8:9], s[4:5]
	s_cbranch_execz .LBB244_531
; %bb.530:
	v_lshlrev_b32_e32 v1, 2, v0
	global_load_dword v1, v1, s[34:35] offset:2048
	s_mov_b32 s10, 0
	v_mov_b32_e32 v7, s10
	s_waitcnt vmcnt(0)
	v_cmp_neq_f32_e64 s[6:7], 0, v1
	s_nop 1
	v_cndmask_b32_e64 v6, 0, 1, s[6:7]
.LBB244_531:
	s_or_b64 exec, exec, s[8:9]
	v_or_b32_e32 v1, 0x300, v0
	v_cmp_gt_u32_e64 s[6:7], s44, v1
	s_and_saveexec_b64 s[10:11], s[6:7]
	;; [unrolled: 15-line block ×3, first 2 shown]
	s_cbranch_execz .LBB244_535
; %bb.534:
	v_lshlrev_b32_e32 v1, 2, v1
	global_load_dword v1, v1, s[34:35]
	s_mov_b32 s14, 0
	v_mov_b32_e32 v11, s14
	s_waitcnt vmcnt(0)
	v_cmp_neq_f32_e64 s[10:11], 0, v1
	s_nop 1
	v_cndmask_b32_e64 v10, 0, 1, s[10:11]
.LBB244_535:
	s_or_b64 exec, exec, s[12:13]
	v_or_b32_e32 v1, 0x500, v0
	v_cmp_gt_u32_e64 s[10:11], s44, v1
	s_and_saveexec_b64 s[14:15], s[10:11]
	s_cbranch_execz .LBB244_537
; %bb.536:
	v_lshlrev_b32_e32 v1, 2, v1
	global_load_dword v1, v1, s[34:35]
	s_mov_b32 s16, 0
	v_mov_b32_e32 v13, s16
	s_waitcnt vmcnt(0)
	v_cmp_neq_f32_e64 s[12:13], 0, v1
	s_nop 1
	v_cndmask_b32_e64 v12, 0, 1, s[12:13]
.LBB244_537:
	s_or_b64 exec, exec, s[14:15]
	v_or_b32_e32 v1, 0x600, v0
	v_cmp_gt_u32_e64 s[12:13], s44, v1
	s_and_saveexec_b64 s[16:17], s[12:13]
	;; [unrolled: 15-line block ×11, first 2 shown]
	s_cbranch_execz .LBB244_557
; %bb.556:
	v_lshlrev_b32_e32 v1, 2, v1
	global_load_dword v1, v1, s[34:35]
	s_mov_b32 s45, 0
	v_mov_b32_e32 v33, s45
	s_waitcnt vmcnt(0)
	v_cmp_neq_f32_e64 s[34:35], 0, v1
	s_nop 1
	v_cndmask_b32_e64 v32, 0, 1, s[34:35]
.LBB244_557:
	s_or_b64 exec, exec, s[42:43]
	v_cndmask_b32_e32 v5, 0, v5, vcc
	v_cndmask_b32_e32 v4, 0, v4, vcc
	v_lshl_add_u64 v[2:3], v[4:5], 0, v[2:3]
	v_cndmask_b32_e64 v5, 0, v7, s[4:5]
	v_cndmask_b32_e64 v4, 0, v6, s[4:5]
	v_lshl_add_u64 v[2:3], v[2:3], 0, v[4:5]
	v_cndmask_b32_e64 v5, 0, v9, s[6:7]
	v_cndmask_b32_e64 v4, 0, v8, s[6:7]
	v_lshl_add_u64 v[2:3], v[2:3], 0, v[4:5]
	v_cndmask_b32_e64 v5, 0, v11, s[8:9]
	v_cndmask_b32_e64 v4, 0, v10, s[8:9]
	v_lshl_add_u64 v[2:3], v[2:3], 0, v[4:5]
	v_cndmask_b32_e64 v5, 0, v13, s[10:11]
	v_cndmask_b32_e64 v4, 0, v12, s[10:11]
	v_lshl_add_u64 v[2:3], v[2:3], 0, v[4:5]
	v_cndmask_b32_e64 v5, 0, v15, s[12:13]
	v_cndmask_b32_e64 v4, 0, v14, s[12:13]
	v_lshl_add_u64 v[2:3], v[2:3], 0, v[4:5]
	v_cndmask_b32_e64 v5, 0, v17, s[14:15]
	v_cndmask_b32_e64 v4, 0, v16, s[14:15]
	v_lshl_add_u64 v[2:3], v[2:3], 0, v[4:5]
	v_cndmask_b32_e64 v5, 0, v19, s[16:17]
	v_cndmask_b32_e64 v4, 0, v18, s[16:17]
	v_lshl_add_u64 v[2:3], v[2:3], 0, v[4:5]
	v_cndmask_b32_e64 v5, 0, v21, s[18:19]
	v_cndmask_b32_e64 v4, 0, v20, s[18:19]
	v_lshl_add_u64 v[2:3], v[2:3], 0, v[4:5]
	v_cndmask_b32_e64 v5, 0, v23, s[20:21]
	v_cndmask_b32_e64 v4, 0, v22, s[20:21]
	v_lshl_add_u64 v[2:3], v[2:3], 0, v[4:5]
	v_cndmask_b32_e64 v5, 0, v25, s[22:23]
	v_cndmask_b32_e64 v4, 0, v24, s[22:23]
	v_lshl_add_u64 v[2:3], v[2:3], 0, v[4:5]
	v_cndmask_b32_e64 v5, 0, v27, s[24:25]
	v_cndmask_b32_e64 v4, 0, v26, s[24:25]
	v_lshl_add_u64 v[2:3], v[2:3], 0, v[4:5]
	v_cndmask_b32_e64 v5, 0, v29, s[26:27]
	v_cndmask_b32_e64 v4, 0, v28, s[26:27]
	v_mbcnt_lo_u32_b32 v1, -1, 0
	v_lshl_add_u64 v[2:3], v[2:3], 0, v[4:5]
	v_cndmask_b32_e64 v5, 0, v31, s[28:29]
	v_cndmask_b32_e64 v4, 0, v30, s[28:29]
	v_mbcnt_hi_u32_b32 v1, -1, v1
	v_lshl_add_u64 v[2:3], v[2:3], 0, v[4:5]
	v_cndmask_b32_e64 v5, 0, v33, s[30:31]
	v_cndmask_b32_e64 v4, 0, v32, s[30:31]
	v_and_b32_e32 v9, 63, v1
	v_lshl_add_u64 v[2:3], v[2:3], 0, v[4:5]
	s_min_u32 s8, s44, 0x100
	v_and_b32_e32 v4, 0xc0, v0
	v_cmp_ne_u32_e32 vcc, 63, v9
	v_sub_u32_e64 v8, s8, v4 clamp
	v_mov_b32_e32 v6, 0
	v_addc_co_u32_e32 v4, vcc, 0, v1, vcc
	v_lshlrev_b32_e32 v5, 2, v4
	ds_bpermute_b32 v4, v5, v2
	ds_bpermute_b32 v7, v5, v3
	v_add_u32_e32 v10, 1, v9
	v_mov_b32_e32 v5, v6
	v_cmp_lt_u32_e64 s[4:5], v10, v8
	s_waitcnt lgkmcnt(1)
	v_lshl_add_u64 v[4:5], v[2:3], 0, v[4:5]
	v_cmp_gt_u32_e32 vcc, 62, v9
	s_waitcnt lgkmcnt(0)
	v_lshl_add_u64 v[6:7], v[4:5], 0, v[6:7]
	v_cndmask_b32_e64 v12, v2, v4, s[4:5]
	v_cndmask_b32_e64 v4, 0, 2, vcc
	v_cndmask_b32_e64 v5, v3, v7, s[4:5]
	v_add_lshl_u32 v4, v4, v1, 2
	ds_bpermute_b32 v10, v4, v12
	ds_bpermute_b32 v11, v4, v5
	v_cndmask_b32_e64 v4, v2, v6, s[4:5]
	v_add_u32_e32 v13, 2, v9
	v_cmp_lt_u32_e32 vcc, v13, v8
	v_cmp_gt_u32_e64 s[6:7], 60, v9
	s_waitcnt lgkmcnt(0)
	v_lshl_add_u64 v[6:7], v[10:11], 0, v[4:5]
	v_cndmask_b32_e32 v5, v5, v7, vcc
	v_cndmask_b32_e64 v7, 0, 4, s[6:7]
	v_cndmask_b32_e32 v12, v12, v6, vcc
	v_add_lshl_u32 v7, v7, v1, 2
	ds_bpermute_b32 v10, v7, v12
	ds_bpermute_b32 v11, v7, v5
	v_cndmask_b32_e32 v4, v4, v6, vcc
	v_add_u32_e32 v13, 4, v9
	v_cmp_lt_u32_e32 vcc, v13, v8
	v_cmp_gt_u32_e64 s[6:7], 56, v9
	s_waitcnt lgkmcnt(0)
	v_lshl_add_u64 v[6:7], v[10:11], 0, v[4:5]
	v_cndmask_b32_e32 v5, v5, v7, vcc
	v_cndmask_b32_e64 v7, 0, 8, s[6:7]
	v_cndmask_b32_e32 v12, v12, v6, vcc
	v_add_lshl_u32 v7, v7, v1, 2
	ds_bpermute_b32 v10, v7, v12
	ds_bpermute_b32 v11, v7, v5
	v_cndmask_b32_e32 v4, v4, v6, vcc
	;; [unrolled: 12-line block ×3, first 2 shown]
	v_add_u32_e32 v13, 16, v9
	v_cmp_lt_u32_e32 vcc, v13, v8
	s_waitcnt lgkmcnt(0)
	v_lshl_add_u64 v[6:7], v[10:11], 0, v[4:5]
	v_lshlrev_b32_e32 v10, 2, v1
	v_cndmask_b32_e32 v13, v5, v7, vcc
	v_cndmask_b32_e32 v11, v12, v6, vcc
	v_or_b32_e32 v12, 0x80, v10
	ds_bpermute_b32 v11, v12, v11
	ds_bpermute_b32 v12, v12, v13
	s_and_saveexec_b64 s[6:7], s[4:5]
	s_cbranch_execz .LBB244_559
; %bb.558:
	v_add_u32_e32 v9, 32, v9
	v_cndmask_b32_e32 v3, v5, v7, vcc
	v_cndmask_b32_e32 v2, v4, v6, vcc
	v_cmp_lt_u32_e32 vcc, v9, v8
	s_waitcnt lgkmcnt(0)
	s_nop 0
	v_cndmask_b32_e32 v5, 0, v12, vcc
	v_cndmask_b32_e32 v4, 0, v11, vcc
	v_lshl_add_u64 v[2:3], v[2:3], 0, v[4:5]
.LBB244_559:
	s_or_b64 exec, exec, s[6:7]
	v_cmp_eq_u32_e32 vcc, 0, v1
	s_and_saveexec_b64 s[4:5], vcc
; %bb.560:
	v_lshrrev_b32_e32 v4, 3, v0
	v_and_b32_e32 v4, 24, v4
	ds_write_b64 v4, v[2:3] offset:256
; %bb.561:
	s_or_b64 exec, exec, s[4:5]
	v_cmp_gt_u32_e32 vcc, 4, v0
	s_waitcnt lgkmcnt(0)
	s_barrier
	s_and_saveexec_b64 s[4:5], vcc
	s_cbranch_execz .LBB244_565
; %bb.562:
	v_lshlrev_b32_e32 v2, 3, v1
	ds_read_b64 v[2:3], v2 offset:256
	v_and_b32_e32 v6, 3, v1
	v_cmp_ne_u32_e32 vcc, 3, v6
	v_mov_b32_e32 v8, 0
	s_add_i32 s8, s8, 63
	v_addc_co_u32_e32 v1, vcc, 0, v1, vcc
	v_lshlrev_b32_e32 v1, 2, v1
	s_waitcnt lgkmcnt(0)
	ds_bpermute_b32 v4, v1, v2
	ds_bpermute_b32 v9, v1, v3
	v_mov_b32_e32 v5, v8
	s_lshr_b32 s8, s8, 6
	v_add_u32_e32 v1, 1, v6
	s_waitcnt lgkmcnt(1)
	v_lshl_add_u64 v[12:13], v[2:3], 0, v[4:5]
	s_waitcnt lgkmcnt(0)
	v_lshl_add_u64 v[4:5], v[8:9], 0, v[12:13]
	v_cmp_gt_u32_e32 vcc, s8, v1
	v_or_b32_e32 v8, 8, v10
	s_nop 0
	v_cndmask_b32_e32 v7, v3, v5, vcc
	v_cndmask_b32_e32 v1, v2, v12, vcc
	ds_bpermute_b32 v1, v8, v1
	ds_bpermute_b32 v7, v8, v7
	s_and_saveexec_b64 s[6:7], vcc
	s_cbranch_execz .LBB244_564
; %bb.563:
	v_add_u32_e32 v2, 2, v6
	v_cmp_gt_u32_e32 vcc, s8, v2
	s_waitcnt lgkmcnt(0)
	s_nop 0
	v_cndmask_b32_e32 v3, 0, v7, vcc
	v_cndmask_b32_e32 v2, 0, v1, vcc
	v_lshl_add_u64 v[2:3], v[2:3], 0, v[4:5]
.LBB244_564:
	s_or_b64 exec, exec, s[6:7]
.LBB244_565:
	s_or_b64 exec, exec, s[4:5]
.LBB244_566:
	v_cmp_eq_u32_e64 s[4:5], 0, v0
	v_mov_b64_e32 v[4:5], s[2:3]
.LBB244_567:
	s_branch .LBB244_683
.LBB244_568:
	s_cmp_gt_i32 s33, 3
	s_cbranch_scc0 .LBB244_577
; %bb.569:
	s_cmp_gt_i32 s33, 7
	s_cbranch_scc0 .LBB244_578
; %bb.570:
	s_cmp_eq_u32 s33, 8
                                        ; implicit-def: $vgpr2_vgpr3
                                        ; implicit-def: $vgpr4_vgpr5
	s_cbranch_scc0 .LBB244_579
; %bb.571:
	s_mov_b32 s3, 0
	s_lshl_b32 s4, s2, 11
	s_mov_b32 s5, s3
	s_lshr_b64 s[6:7], s[36:37], 11
	s_lshl_b64 s[8:9], s[4:5], 2
	s_add_u32 s16, s40, s8
	s_addc_u32 s17, s41, s9
	s_cmp_lg_u64 s[6:7], s[2:3]
	s_cbranch_scc0 .LBB244_580
; %bb.572:
	v_lshlrev_b32_e32 v2, 2, v0
	global_load_dword v8, v2, s[16:17]
	global_load_dword v6, v2, s[16:17] offset:3072
	global_load_dword v10, v2, s[16:17] offset:1024
	;; [unrolled: 1-line block ×3, first 2 shown]
	v_mov_b32_e32 v3, 0
	v_lshl_add_u64 v[4:5], s[16:17], 0, v[2:3]
	v_add_co_u32_e32 v4, vcc, 0x1000, v4
	s_waitcnt lgkmcnt(0)
	v_mov_b32_e32 v7, s3
	v_addc_co_u32_e32 v5, vcc, 0, v5, vcc
	global_load_dword v14, v[4:5], off
	global_load_dword v19, v[4:5], off offset:1024
	global_load_dword v21, v[4:5], off offset:2048
	;; [unrolled: 1-line block ×3, first 2 shown]
	v_mov_b32_e32 v9, s3
	v_mov_b32_e32 v11, s3
	v_mov_b32_e32 v13, s3
	v_mov_b32_e32 v15, s3
	v_mov_b32_dpp v17, v3 quad_perm:[1,0,3,2] row_mask:0xf bank_mask:0xf bound_ctrl:1
	v_mov_b32_e32 v16, v3
	v_mov_b32_e32 v18, v3
	;; [unrolled: 1-line block ×4, first 2 shown]
	v_mbcnt_lo_u32_b32 v1, -1, 0
	v_mov_b32_e32 v24, v3
	v_mbcnt_hi_u32_b32 v1, -1, v1
	v_lshlrev_b32_e32 v4, 2, v1
	v_or_b32_e32 v5, 0xfc, v4
	s_waitcnt vmcnt(6)
	v_cmp_neq_f32_e32 vcc, 0, v6
	s_nop 1
	v_cndmask_b32_e64 v6, 0, 1, vcc
	s_waitcnt vmcnt(5)
	v_cmp_neq_f32_e32 vcc, 0, v10
	s_nop 1
	v_cndmask_b32_e64 v2, 0, 1, vcc
	v_cmp_neq_f32_e32 vcc, 0, v8
	s_nop 1
	v_cndmask_b32_e64 v8, 0, 1, vcc
	s_waitcnt vmcnt(4)
	v_cmp_neq_f32_e32 vcc, 0, v12
	s_nop 1
	v_addc_co_u32_e32 v2, vcc, v2, v8, vcc
	s_waitcnt vmcnt(3)
	v_cmp_neq_f32_e32 vcc, 0, v14
	v_lshl_add_u64 v[6:7], v[2:3], 0, v[6:7]
	s_nop 0
	v_cndmask_b32_e64 v8, 0, 1, vcc
	s_waitcnt vmcnt(2)
	v_cmp_neq_f32_e32 vcc, 0, v19
	v_lshl_add_u64 v[6:7], v[6:7], 0, v[8:9]
	s_nop 0
	v_cndmask_b32_e64 v10, 0, 1, vcc
	;; [unrolled: 5-line block ×4, first 2 shown]
	v_lshl_add_u64 v[6:7], v[6:7], 0, v[14:15]
	v_cmp_eq_u32_e32 vcc, 0, v1
	s_nop 0
	v_mov_b32_dpp v2, v6 quad_perm:[1,0,3,2] row_mask:0xf bank_mask:0xf bound_ctrl:1
	v_lshl_add_u64 v[6:7], v[6:7], 0, v[2:3]
	v_lshl_add_u64 v[8:9], v[16:17], 0, v[6:7]
	s_nop 0
	v_mov_b32_dpp v2, v6 quad_perm:[2,3,0,1] row_mask:0xf bank_mask:0xf bound_ctrl:1
	v_mov_b32_dpp v19, v9 quad_perm:[2,3,0,1] row_mask:0xf bank_mask:0xf bound_ctrl:1
	v_lshl_add_u64 v[6:7], v[8:9], 0, v[2:3]
	v_lshl_add_u64 v[8:9], v[6:7], 0, v[18:19]
	s_nop 0
	v_mov_b32_dpp v2, v6 row_ror:4 row_mask:0xf bank_mask:0xf bound_ctrl:1
	v_mov_b32_dpp v21, v9 row_ror:4 row_mask:0xf bank_mask:0xf bound_ctrl:1
	v_lshl_add_u64 v[6:7], v[8:9], 0, v[2:3]
	v_lshl_add_u64 v[8:9], v[6:7], 0, v[20:21]
	s_nop 0
	v_mov_b32_dpp v2, v6 row_ror:8 row_mask:0xf bank_mask:0xf bound_ctrl:1
	v_mov_b32_dpp v23, v9 row_ror:8 row_mask:0xf bank_mask:0xf bound_ctrl:1
	v_lshl_add_u64 v[6:7], v[8:9], 0, v[2:3]
	v_lshl_add_u64 v[8:9], v[6:7], 0, v[22:23]
	s_nop 0
	v_mov_b32_dpp v2, v6 row_bcast:15 row_mask:0xf bank_mask:0xf bound_ctrl:1
	v_mov_b32_dpp v25, v9 row_bcast:15 row_mask:0xf bank_mask:0xf bound_ctrl:1
	v_lshl_add_u64 v[6:7], v[8:9], 0, v[2:3]
	v_lshl_add_u64 v[8:9], v[6:7], 0, v[24:25]
	s_nop 0
	v_mov_b32_dpp v2, v6 row_bcast:31 row_mask:0xf bank_mask:0xf bound_ctrl:1
	v_lshl_add_u64 v[2:3], v[8:9], 0, v[2:3]
	ds_bpermute_b32 v2, v5, v2
	s_nop 0
	v_add_u32_dpp v3, v9, v3 row_bcast:31 row_mask:0xf bank_mask:0xf bound_ctrl:1
	ds_bpermute_b32 v3, v5, v3
	s_and_saveexec_b64 s[6:7], vcc
	s_cbranch_execz .LBB244_574
; %bb.573:
	v_lshrrev_b32_e32 v5, 3, v0
	v_and_b32_e32 v5, 24, v5
	s_waitcnt lgkmcnt(0)
	ds_write_b64 v5, v[2:3] offset:224
.LBB244_574:
	s_or_b64 exec, exec, s[6:7]
	v_cmp_gt_u32_e32 vcc, 64, v0
	s_waitcnt lgkmcnt(0)
	s_barrier
	s_and_saveexec_b64 s[6:7], vcc
	s_cbranch_execz .LBB244_576
; %bb.575:
	v_and_b32_e32 v5, 3, v1
	v_lshlrev_b32_e32 v2, 3, v5
	ds_read_b64 v[2:3], v2 offset:224
	v_cmp_ne_u32_e32 vcc, 3, v5
	v_mov_b32_e32 v8, 0
	v_mov_b32_e32 v7, v8
	v_addc_co_u32_e32 v1, vcc, 0, v1, vcc
	v_lshlrev_b32_e32 v1, 2, v1
	s_waitcnt lgkmcnt(0)
	ds_bpermute_b32 v6, v1, v2
	ds_bpermute_b32 v9, v1, v3
	v_or_b32_e32 v1, 8, v4
	s_waitcnt lgkmcnt(1)
	v_lshl_add_u64 v[2:3], v[2:3], 0, v[6:7]
	s_waitcnt lgkmcnt(0)
	v_lshl_add_u64 v[4:5], v[8:9], 0, v[2:3]
	ds_bpermute_b32 v2, v1, v2
	ds_bpermute_b32 v9, v1, v5
	v_mov_b32_e32 v3, v8
	s_waitcnt lgkmcnt(1)
	v_lshl_add_u64 v[2:3], v[4:5], 0, v[2:3]
	s_waitcnt lgkmcnt(0)
	v_lshl_add_u64 v[2:3], v[2:3], 0, v[8:9]
.LBB244_576:
	s_or_b64 exec, exec, s[6:7]
	s_mov_b64 s[6:7], 0
	s_branch .LBB244_581
.LBB244_577:
                                        ; implicit-def: $vgpr2_vgpr3
                                        ; implicit-def: $vgpr4_vgpr5
	s_cbranch_execnz .LBB244_636
	s_branch .LBB244_683
.LBB244_578:
                                        ; implicit-def: $vgpr2_vgpr3
                                        ; implicit-def: $vgpr4_vgpr5
	s_cbranch_execnz .LBB244_608
	s_branch .LBB244_635
.LBB244_579:
	s_branch .LBB244_635
.LBB244_580:
	s_mov_b64 s[6:7], -1
                                        ; implicit-def: $vgpr2_vgpr3
.LBB244_581:
	s_and_b64 vcc, exec, s[6:7]
	s_cbranch_vccz .LBB244_607
; %bb.582:
	s_sub_i32 s20, s36, s4
	v_mov_b32_e32 v2, 0
	v_cmp_gt_u32_e32 vcc, s20, v0
	v_mov_b32_e32 v3, v2
	v_mov_b32_e32 v4, v2
	;; [unrolled: 1-line block ×4, first 2 shown]
	s_waitcnt lgkmcnt(0)
	v_mov_b32_e32 v7, v2
	v_mov_b32_e32 v8, v2
	;; [unrolled: 1-line block ×11, first 2 shown]
	s_and_saveexec_b64 s[4:5], vcc
	s_cbranch_execz .LBB244_584
; %bb.583:
	v_lshlrev_b32_e32 v1, 2, v0
	global_load_dword v1, v1, s[16:17]
	v_mov_b32_e32 v5, v2
	v_mov_b32_e32 v6, v2
	;; [unrolled: 1-line block ×15, first 2 shown]
	s_waitcnt vmcnt(0)
	v_cmp_neq_f32_e32 vcc, 0, v1
	s_nop 1
	v_cndmask_b32_e64 v1, 0, 1, vcc
	v_and_b32_e32 v4, 0xffff, v1
	v_mov_b64_e32 v[2:3], v[4:5]
	v_mov_b64_e32 v[4:5], v[6:7]
	;; [unrolled: 1-line block ×8, first 2 shown]
.LBB244_584:
	s_or_b64 exec, exec, s[4:5]
	v_or_b32_e32 v1, 0x100, v0
	v_cmp_gt_u32_e32 vcc, s20, v1
	s_and_saveexec_b64 s[6:7], vcc
	s_cbranch_execz .LBB244_586
; %bb.585:
	v_lshlrev_b32_e32 v1, 2, v0
	global_load_dword v1, v1, s[16:17] offset:1024
	s_mov_b32 s8, 0
	v_mov_b32_e32 v5, s8
	s_waitcnt vmcnt(0)
	v_cmp_neq_f32_e64 s[4:5], 0, v1
	s_nop 1
	v_cndmask_b32_e64 v4, 0, 1, s[4:5]
.LBB244_586:
	s_or_b64 exec, exec, s[6:7]
	v_or_b32_e32 v1, 0x200, v0
	v_cmp_gt_u32_e64 s[4:5], s20, v1
	s_and_saveexec_b64 s[8:9], s[4:5]
	s_cbranch_execz .LBB244_588
; %bb.587:
	v_lshlrev_b32_e32 v1, 2, v0
	global_load_dword v1, v1, s[16:17] offset:2048
	s_mov_b32 s10, 0
	v_mov_b32_e32 v7, s10
	s_waitcnt vmcnt(0)
	v_cmp_neq_f32_e64 s[6:7], 0, v1
	s_nop 1
	v_cndmask_b32_e64 v6, 0, 1, s[6:7]
.LBB244_588:
	s_or_b64 exec, exec, s[8:9]
	v_or_b32_e32 v1, 0x300, v0
	v_cmp_gt_u32_e64 s[6:7], s20, v1
	s_and_saveexec_b64 s[10:11], s[6:7]
	;; [unrolled: 15-line block ×3, first 2 shown]
	s_cbranch_execz .LBB244_592
; %bb.591:
	v_lshlrev_b32_e32 v1, 2, v1
	global_load_dword v1, v1, s[16:17]
	s_mov_b32 s14, 0
	v_mov_b32_e32 v11, s14
	s_waitcnt vmcnt(0)
	v_cmp_neq_f32_e64 s[10:11], 0, v1
	s_nop 1
	v_cndmask_b32_e64 v10, 0, 1, s[10:11]
.LBB244_592:
	s_or_b64 exec, exec, s[12:13]
	v_or_b32_e32 v1, 0x500, v0
	v_cmp_gt_u32_e64 s[10:11], s20, v1
	s_and_saveexec_b64 s[14:15], s[10:11]
	s_cbranch_execz .LBB244_594
; %bb.593:
	v_lshlrev_b32_e32 v1, 2, v1
	global_load_dword v1, v1, s[16:17]
	s_mov_b32 s18, 0
	v_mov_b32_e32 v13, s18
	s_waitcnt vmcnt(0)
	v_cmp_neq_f32_e64 s[12:13], 0, v1
	s_nop 1
	v_cndmask_b32_e64 v12, 0, 1, s[12:13]
.LBB244_594:
	s_or_b64 exec, exec, s[14:15]
	v_or_b32_e32 v1, 0x600, v0
	v_cmp_gt_u32_e64 s[12:13], s20, v1
	s_and_saveexec_b64 s[18:19], s[12:13]
	;; [unrolled: 15-line block ×3, first 2 shown]
	s_cbranch_execz .LBB244_598
; %bb.597:
	v_lshlrev_b32_e32 v1, 2, v1
	global_load_dword v1, v1, s[16:17]
	s_mov_b32 s21, 0
	v_mov_b32_e32 v17, s21
	s_waitcnt vmcnt(0)
	v_cmp_neq_f32_e64 s[16:17], 0, v1
	s_nop 1
	v_cndmask_b32_e64 v16, 0, 1, s[16:17]
.LBB244_598:
	s_or_b64 exec, exec, s[18:19]
	v_cndmask_b32_e32 v5, 0, v5, vcc
	v_cndmask_b32_e32 v4, 0, v4, vcc
	v_lshl_add_u64 v[2:3], v[4:5], 0, v[2:3]
	v_cndmask_b32_e64 v5, 0, v7, s[4:5]
	v_cndmask_b32_e64 v4, 0, v6, s[4:5]
	v_lshl_add_u64 v[2:3], v[2:3], 0, v[4:5]
	v_cndmask_b32_e64 v5, 0, v9, s[6:7]
	v_cndmask_b32_e64 v4, 0, v8, s[6:7]
	;; [unrolled: 3-line block ×4, first 2 shown]
	v_mbcnt_lo_u32_b32 v1, -1, 0
	v_lshl_add_u64 v[2:3], v[2:3], 0, v[4:5]
	v_cndmask_b32_e64 v5, 0, v15, s[12:13]
	v_cndmask_b32_e64 v4, 0, v14, s[12:13]
	v_mbcnt_hi_u32_b32 v1, -1, v1
	v_lshl_add_u64 v[2:3], v[2:3], 0, v[4:5]
	v_cndmask_b32_e64 v5, 0, v17, s[14:15]
	v_cndmask_b32_e64 v4, 0, v16, s[14:15]
	v_and_b32_e32 v9, 63, v1
	v_lshl_add_u64 v[2:3], v[2:3], 0, v[4:5]
	s_min_u32 s8, s20, 0x100
	v_and_b32_e32 v4, 0xc0, v0
	v_cmp_ne_u32_e32 vcc, 63, v9
	v_sub_u32_e64 v8, s8, v4 clamp
	v_mov_b32_e32 v6, 0
	v_addc_co_u32_e32 v4, vcc, 0, v1, vcc
	v_lshlrev_b32_e32 v5, 2, v4
	ds_bpermute_b32 v4, v5, v2
	ds_bpermute_b32 v7, v5, v3
	v_add_u32_e32 v10, 1, v9
	v_mov_b32_e32 v5, v6
	v_cmp_lt_u32_e64 s[4:5], v10, v8
	s_waitcnt lgkmcnt(1)
	v_lshl_add_u64 v[4:5], v[2:3], 0, v[4:5]
	v_cmp_gt_u32_e32 vcc, 62, v9
	s_waitcnt lgkmcnt(0)
	v_lshl_add_u64 v[6:7], v[4:5], 0, v[6:7]
	v_cndmask_b32_e64 v12, v2, v4, s[4:5]
	v_cndmask_b32_e64 v4, 0, 2, vcc
	v_cndmask_b32_e64 v5, v3, v7, s[4:5]
	v_add_lshl_u32 v4, v4, v1, 2
	ds_bpermute_b32 v10, v4, v12
	ds_bpermute_b32 v11, v4, v5
	v_cndmask_b32_e64 v4, v2, v6, s[4:5]
	v_add_u32_e32 v13, 2, v9
	v_cmp_lt_u32_e32 vcc, v13, v8
	v_cmp_gt_u32_e64 s[6:7], 60, v9
	s_waitcnt lgkmcnt(0)
	v_lshl_add_u64 v[6:7], v[10:11], 0, v[4:5]
	v_cndmask_b32_e32 v5, v5, v7, vcc
	v_cndmask_b32_e64 v7, 0, 4, s[6:7]
	v_cndmask_b32_e32 v12, v12, v6, vcc
	v_add_lshl_u32 v7, v7, v1, 2
	ds_bpermute_b32 v10, v7, v12
	ds_bpermute_b32 v11, v7, v5
	v_cndmask_b32_e32 v4, v4, v6, vcc
	v_add_u32_e32 v13, 4, v9
	v_cmp_lt_u32_e32 vcc, v13, v8
	v_cmp_gt_u32_e64 s[6:7], 56, v9
	s_waitcnt lgkmcnt(0)
	v_lshl_add_u64 v[6:7], v[10:11], 0, v[4:5]
	v_cndmask_b32_e32 v5, v5, v7, vcc
	v_cndmask_b32_e64 v7, 0, 8, s[6:7]
	v_cndmask_b32_e32 v12, v12, v6, vcc
	v_add_lshl_u32 v7, v7, v1, 2
	ds_bpermute_b32 v10, v7, v12
	ds_bpermute_b32 v11, v7, v5
	v_cndmask_b32_e32 v4, v4, v6, vcc
	;; [unrolled: 12-line block ×3, first 2 shown]
	v_add_u32_e32 v13, 16, v9
	v_cmp_lt_u32_e32 vcc, v13, v8
	s_waitcnt lgkmcnt(0)
	v_lshl_add_u64 v[6:7], v[10:11], 0, v[4:5]
	v_lshlrev_b32_e32 v10, 2, v1
	v_cndmask_b32_e32 v13, v5, v7, vcc
	v_cndmask_b32_e32 v11, v12, v6, vcc
	v_or_b32_e32 v12, 0x80, v10
	ds_bpermute_b32 v11, v12, v11
	ds_bpermute_b32 v12, v12, v13
	s_and_saveexec_b64 s[6:7], s[4:5]
	s_cbranch_execz .LBB244_600
; %bb.599:
	v_add_u32_e32 v9, 32, v9
	v_cndmask_b32_e32 v3, v5, v7, vcc
	v_cndmask_b32_e32 v2, v4, v6, vcc
	v_cmp_lt_u32_e32 vcc, v9, v8
	s_waitcnt lgkmcnt(0)
	s_nop 0
	v_cndmask_b32_e32 v5, 0, v12, vcc
	v_cndmask_b32_e32 v4, 0, v11, vcc
	v_lshl_add_u64 v[2:3], v[2:3], 0, v[4:5]
.LBB244_600:
	s_or_b64 exec, exec, s[6:7]
	v_cmp_eq_u32_e32 vcc, 0, v1
	s_and_saveexec_b64 s[4:5], vcc
; %bb.601:
	v_lshrrev_b32_e32 v4, 3, v0
	v_and_b32_e32 v4, 24, v4
	ds_write_b64 v4, v[2:3] offset:256
; %bb.602:
	s_or_b64 exec, exec, s[4:5]
	v_cmp_gt_u32_e32 vcc, 4, v0
	s_waitcnt lgkmcnt(0)
	s_barrier
	s_and_saveexec_b64 s[4:5], vcc
	s_cbranch_execz .LBB244_606
; %bb.603:
	v_lshlrev_b32_e32 v2, 3, v1
	ds_read_b64 v[2:3], v2 offset:256
	v_and_b32_e32 v6, 3, v1
	v_cmp_ne_u32_e32 vcc, 3, v6
	v_mov_b32_e32 v8, 0
	s_add_i32 s8, s8, 63
	v_addc_co_u32_e32 v1, vcc, 0, v1, vcc
	v_lshlrev_b32_e32 v1, 2, v1
	s_waitcnt lgkmcnt(0)
	ds_bpermute_b32 v4, v1, v2
	ds_bpermute_b32 v9, v1, v3
	v_mov_b32_e32 v5, v8
	s_lshr_b32 s8, s8, 6
	v_add_u32_e32 v1, 1, v6
	s_waitcnt lgkmcnt(1)
	v_lshl_add_u64 v[12:13], v[2:3], 0, v[4:5]
	s_waitcnt lgkmcnt(0)
	v_lshl_add_u64 v[4:5], v[8:9], 0, v[12:13]
	v_cmp_gt_u32_e32 vcc, s8, v1
	v_or_b32_e32 v8, 8, v10
	s_nop 0
	v_cndmask_b32_e32 v7, v3, v5, vcc
	v_cndmask_b32_e32 v1, v2, v12, vcc
	ds_bpermute_b32 v1, v8, v1
	ds_bpermute_b32 v7, v8, v7
	s_and_saveexec_b64 s[6:7], vcc
	s_cbranch_execz .LBB244_605
; %bb.604:
	v_add_u32_e32 v2, 2, v6
	v_cmp_gt_u32_e32 vcc, s8, v2
	s_waitcnt lgkmcnt(0)
	s_nop 0
	v_cndmask_b32_e32 v3, 0, v7, vcc
	v_cndmask_b32_e32 v2, 0, v1, vcc
	v_lshl_add_u64 v[2:3], v[2:3], 0, v[4:5]
.LBB244_605:
	s_or_b64 exec, exec, s[6:7]
.LBB244_606:
	s_or_b64 exec, exec, s[4:5]
.LBB244_607:
	v_cmp_eq_u32_e64 s[4:5], 0, v0
	v_mov_b64_e32 v[4:5], s[2:3]
	s_branch .LBB244_635
.LBB244_608:
	s_cmp_eq_u32 s33, 4
                                        ; implicit-def: $vgpr2_vgpr3
                                        ; implicit-def: $vgpr4_vgpr5
	s_cbranch_scc0 .LBB244_635
; %bb.609:
	s_mov_b32 s3, 0
	s_lshl_b32 s4, s2, 10
	s_mov_b32 s5, s3
	s_lshr_b64 s[6:7], s[36:37], 10
	s_lshl_b64 s[8:9], s[4:5], 2
	s_add_u32 s8, s40, s8
	s_addc_u32 s9, s41, s9
	s_cmp_lg_u64 s[6:7], s[2:3]
	s_cbranch_scc0 .LBB244_615
; %bb.610:
	s_waitcnt lgkmcnt(1)
	v_lshlrev_b32_e32 v1, 2, v0
	global_load_dword v2, v1, s[8:9] offset:3072
	global_load_dword v5, v1, s[8:9] offset:1024
	global_load_dword v6, v1, s[8:9]
	global_load_dword v11, v1, s[8:9] offset:2048
	v_mov_b32_e32 v3, s3
	s_waitcnt lgkmcnt(0)
	v_mov_b32_e32 v7, 0
	v_mov_b32_e32 v8, v7
	;; [unrolled: 1-line block ×3, first 2 shown]
	v_mov_b32_dpp v9, v7 quad_perm:[1,0,3,2] row_mask:0xf bank_mask:0xf bound_ctrl:1
	v_mov_b32_e32 v12, v7
	v_mov_b32_e32 v14, v7
	v_mbcnt_lo_u32_b32 v1, -1, 0
	v_mov_b32_e32 v16, v7
	v_mbcnt_hi_u32_b32 v1, -1, v1
	v_lshlrev_b32_e32 v4, 2, v1
	v_or_b32_e32 v18, 0xfc, v4
	s_waitcnt vmcnt(3)
	v_cmp_neq_f32_e32 vcc, 0, v2
	s_nop 1
	v_cndmask_b32_e64 v2, 0, 1, vcc
	s_waitcnt vmcnt(2)
	v_cmp_neq_f32_e32 vcc, 0, v5
	s_nop 1
	v_cndmask_b32_e64 v5, 0, 1, vcc
	;; [unrolled: 4-line block ×3, first 2 shown]
	s_waitcnt vmcnt(0)
	v_cmp_neq_f32_e32 vcc, 0, v11
	s_nop 1
	v_addc_co_u32_e32 v6, vcc, v5, v6, vcc
	v_lshl_add_u64 v[2:3], v[6:7], 0, v[2:3]
	v_cmp_eq_u32_e32 vcc, 0, v1
	s_nop 0
	v_mov_b32_dpp v6, v2 quad_perm:[1,0,3,2] row_mask:0xf bank_mask:0xf bound_ctrl:1
	v_lshl_add_u64 v[2:3], v[2:3], 0, v[6:7]
	v_lshl_add_u64 v[8:9], v[8:9], 0, v[2:3]
	s_nop 0
	v_mov_b32_dpp v6, v2 quad_perm:[2,3,0,1] row_mask:0xf bank_mask:0xf bound_ctrl:1
	v_mov_b32_dpp v11, v9 quad_perm:[2,3,0,1] row_mask:0xf bank_mask:0xf bound_ctrl:1
	v_lshl_add_u64 v[2:3], v[8:9], 0, v[6:7]
	v_lshl_add_u64 v[8:9], v[2:3], 0, v[10:11]
	s_nop 0
	v_mov_b32_dpp v6, v2 row_ror:4 row_mask:0xf bank_mask:0xf bound_ctrl:1
	v_mov_b32_dpp v13, v9 row_ror:4 row_mask:0xf bank_mask:0xf bound_ctrl:1
	v_lshl_add_u64 v[2:3], v[8:9], 0, v[6:7]
	v_lshl_add_u64 v[8:9], v[2:3], 0, v[12:13]
	s_nop 0
	v_mov_b32_dpp v6, v2 row_ror:8 row_mask:0xf bank_mask:0xf bound_ctrl:1
	v_mov_b32_dpp v15, v9 row_ror:8 row_mask:0xf bank_mask:0xf bound_ctrl:1
	v_lshl_add_u64 v[2:3], v[8:9], 0, v[6:7]
	v_lshl_add_u64 v[8:9], v[2:3], 0, v[14:15]
	s_nop 0
	v_mov_b32_dpp v6, v2 row_bcast:15 row_mask:0xf bank_mask:0xf bound_ctrl:1
	v_mov_b32_dpp v17, v9 row_bcast:15 row_mask:0xf bank_mask:0xf bound_ctrl:1
	v_lshl_add_u64 v[2:3], v[8:9], 0, v[6:7]
	v_lshl_add_u64 v[8:9], v[2:3], 0, v[16:17]
	s_nop 0
	v_mov_b32_dpp v6, v2 row_bcast:31 row_mask:0xf bank_mask:0xf bound_ctrl:1
	v_lshl_add_u64 v[2:3], v[8:9], 0, v[6:7]
	ds_bpermute_b32 v2, v18, v2
	s_nop 0
	v_add_u32_dpp v3, v9, v3 row_bcast:31 row_mask:0xf bank_mask:0xf bound_ctrl:1
	ds_bpermute_b32 v3, v18, v3
	s_and_saveexec_b64 s[6:7], vcc
	s_cbranch_execz .LBB244_612
; %bb.611:
	v_lshrrev_b32_e32 v5, 3, v0
	v_and_b32_e32 v5, 24, v5
	s_waitcnt lgkmcnt(0)
	ds_write_b64 v5, v[2:3] offset:160
.LBB244_612:
	s_or_b64 exec, exec, s[6:7]
	v_cmp_gt_u32_e32 vcc, 64, v0
	s_waitcnt lgkmcnt(0)
	s_barrier
	s_and_saveexec_b64 s[6:7], vcc
	s_cbranch_execz .LBB244_614
; %bb.613:
	v_and_b32_e32 v5, 3, v1
	v_lshlrev_b32_e32 v2, 3, v5
	ds_read_b64 v[2:3], v2 offset:160
	v_cmp_ne_u32_e32 vcc, 3, v5
	v_mov_b32_e32 v8, 0
	v_mov_b32_e32 v7, v8
	v_addc_co_u32_e32 v1, vcc, 0, v1, vcc
	v_lshlrev_b32_e32 v1, 2, v1
	s_waitcnt lgkmcnt(0)
	ds_bpermute_b32 v6, v1, v2
	ds_bpermute_b32 v9, v1, v3
	v_or_b32_e32 v1, 8, v4
	s_waitcnt lgkmcnt(1)
	v_lshl_add_u64 v[2:3], v[2:3], 0, v[6:7]
	s_waitcnt lgkmcnt(0)
	v_lshl_add_u64 v[4:5], v[8:9], 0, v[2:3]
	ds_bpermute_b32 v2, v1, v2
	ds_bpermute_b32 v9, v1, v5
	v_mov_b32_e32 v3, v8
	s_waitcnt lgkmcnt(1)
	v_lshl_add_u64 v[2:3], v[4:5], 0, v[2:3]
	s_waitcnt lgkmcnt(0)
	v_lshl_add_u64 v[2:3], v[2:3], 0, v[8:9]
.LBB244_614:
	s_or_b64 exec, exec, s[6:7]
	s_mov_b64 s[6:7], 0
	s_branch .LBB244_616
.LBB244_615:
	s_mov_b64 s[6:7], -1
                                        ; implicit-def: $vgpr2_vgpr3
.LBB244_616:
	s_and_b64 vcc, exec, s[6:7]
	s_cbranch_vccz .LBB244_634
; %bb.617:
	s_sub_i32 s12, s36, s4
	v_mov_b32_e32 v2, 0
	v_cmp_gt_u32_e32 vcc, s12, v0
	v_mov_b32_e32 v3, v2
	v_mov_b32_e32 v4, v2
	;; [unrolled: 1-line block ×4, first 2 shown]
	s_waitcnt lgkmcnt(0)
	v_mov_b32_e32 v7, v2
	v_mov_b32_e32 v8, v2
	;; [unrolled: 1-line block ×3, first 2 shown]
	s_and_saveexec_b64 s[4:5], vcc
	s_cbranch_execz .LBB244_619
; %bb.618:
	v_lshlrev_b32_e32 v1, 2, v0
	global_load_dword v1, v1, s[8:9]
	v_mov_b32_e32 v5, v2
	v_mov_b32_e32 v6, v2
	;; [unrolled: 1-line block ×7, first 2 shown]
	s_waitcnt vmcnt(0)
	v_cmp_neq_f32_e32 vcc, 0, v1
	s_nop 1
	v_cndmask_b32_e64 v1, 0, 1, vcc
	v_and_b32_e32 v4, 0xffff, v1
	v_mov_b64_e32 v[2:3], v[4:5]
	v_mov_b64_e32 v[4:5], v[6:7]
	;; [unrolled: 1-line block ×4, first 2 shown]
.LBB244_619:
	s_or_b64 exec, exec, s[4:5]
	v_or_b32_e32 v1, 0x100, v0
	v_cmp_gt_u32_e32 vcc, s12, v1
	s_and_saveexec_b64 s[6:7], vcc
	s_cbranch_execz .LBB244_621
; %bb.620:
	v_lshlrev_b32_e32 v1, 2, v0
	global_load_dword v1, v1, s[8:9] offset:1024
	s_mov_b32 s10, 0
	v_mov_b32_e32 v5, s10
	s_waitcnt vmcnt(0)
	v_cmp_neq_f32_e64 s[4:5], 0, v1
	s_nop 1
	v_cndmask_b32_e64 v4, 0, 1, s[4:5]
.LBB244_621:
	s_or_b64 exec, exec, s[6:7]
	v_or_b32_e32 v1, 0x200, v0
	v_cmp_gt_u32_e64 s[4:5], s12, v1
	s_and_saveexec_b64 s[10:11], s[4:5]
	s_cbranch_execz .LBB244_623
; %bb.622:
	v_lshlrev_b32_e32 v1, 2, v0
	global_load_dword v1, v1, s[8:9] offset:2048
	s_mov_b32 s13, 0
	v_mov_b32_e32 v7, s13
	s_waitcnt vmcnt(0)
	v_cmp_neq_f32_e64 s[6:7], 0, v1
	s_nop 1
	v_cndmask_b32_e64 v6, 0, 1, s[6:7]
.LBB244_623:
	s_or_b64 exec, exec, s[10:11]
	v_or_b32_e32 v1, 0x300, v0
	v_cmp_gt_u32_e64 s[6:7], s12, v1
	s_and_saveexec_b64 s[10:11], s[6:7]
	s_cbranch_execz .LBB244_625
; %bb.624:
	v_lshlrev_b32_e32 v1, 2, v0
	global_load_dword v1, v1, s[8:9] offset:3072
	s_mov_b32 s13, 0
	v_mov_b32_e32 v9, s13
	s_waitcnt vmcnt(0)
	v_cmp_neq_f32_e64 s[8:9], 0, v1
	s_nop 1
	v_cndmask_b32_e64 v8, 0, 1, s[8:9]
.LBB244_625:
	s_or_b64 exec, exec, s[10:11]
	v_cndmask_b32_e32 v5, 0, v5, vcc
	v_cndmask_b32_e32 v4, 0, v4, vcc
	v_mbcnt_lo_u32_b32 v1, -1, 0
	v_lshl_add_u64 v[2:3], v[4:5], 0, v[2:3]
	v_cndmask_b32_e64 v5, 0, v7, s[4:5]
	v_cndmask_b32_e64 v4, 0, v6, s[4:5]
	v_mbcnt_hi_u32_b32 v1, -1, v1
	v_lshl_add_u64 v[2:3], v[2:3], 0, v[4:5]
	v_cndmask_b32_e64 v5, 0, v9, s[6:7]
	v_cndmask_b32_e64 v4, 0, v8, s[6:7]
	v_and_b32_e32 v9, 63, v1
	v_lshl_add_u64 v[2:3], v[2:3], 0, v[4:5]
	s_min_u32 s8, s12, 0x100
	v_and_b32_e32 v4, 0xc0, v0
	v_cmp_ne_u32_e32 vcc, 63, v9
	v_sub_u32_e64 v8, s8, v4 clamp
	v_mov_b32_e32 v6, 0
	v_addc_co_u32_e32 v4, vcc, 0, v1, vcc
	v_lshlrev_b32_e32 v5, 2, v4
	ds_bpermute_b32 v4, v5, v2
	ds_bpermute_b32 v7, v5, v3
	v_add_u32_e32 v10, 1, v9
	v_mov_b32_e32 v5, v6
	v_cmp_lt_u32_e64 s[4:5], v10, v8
	s_waitcnt lgkmcnt(1)
	v_lshl_add_u64 v[4:5], v[2:3], 0, v[4:5]
	v_cmp_gt_u32_e32 vcc, 62, v9
	s_waitcnt lgkmcnt(0)
	v_lshl_add_u64 v[6:7], v[6:7], 0, v[4:5]
	v_cndmask_b32_e64 v12, v2, v4, s[4:5]
	v_cndmask_b32_e64 v4, 0, 2, vcc
	v_cndmask_b32_e64 v5, v3, v7, s[4:5]
	v_add_lshl_u32 v4, v4, v1, 2
	ds_bpermute_b32 v10, v4, v12
	ds_bpermute_b32 v11, v4, v5
	v_cndmask_b32_e64 v4, v2, v6, s[4:5]
	v_add_u32_e32 v13, 2, v9
	v_cmp_lt_u32_e32 vcc, v13, v8
	v_cmp_gt_u32_e64 s[6:7], 60, v9
	s_waitcnt lgkmcnt(0)
	v_lshl_add_u64 v[6:7], v[10:11], 0, v[4:5]
	v_cndmask_b32_e32 v5, v5, v7, vcc
	v_cndmask_b32_e64 v7, 0, 4, s[6:7]
	v_cndmask_b32_e32 v12, v12, v6, vcc
	v_add_lshl_u32 v7, v7, v1, 2
	ds_bpermute_b32 v10, v7, v12
	ds_bpermute_b32 v11, v7, v5
	v_cndmask_b32_e32 v4, v4, v6, vcc
	v_add_u32_e32 v13, 4, v9
	v_cmp_lt_u32_e32 vcc, v13, v8
	v_cmp_gt_u32_e64 s[6:7], 56, v9
	s_waitcnt lgkmcnt(0)
	v_lshl_add_u64 v[6:7], v[10:11], 0, v[4:5]
	v_cndmask_b32_e32 v5, v5, v7, vcc
	v_cndmask_b32_e64 v7, 0, 8, s[6:7]
	v_cndmask_b32_e32 v12, v12, v6, vcc
	v_add_lshl_u32 v7, v7, v1, 2
	ds_bpermute_b32 v10, v7, v12
	ds_bpermute_b32 v11, v7, v5
	v_cndmask_b32_e32 v4, v4, v6, vcc
	;; [unrolled: 12-line block ×3, first 2 shown]
	v_add_u32_e32 v13, 16, v9
	v_cmp_lt_u32_e32 vcc, v13, v8
	s_waitcnt lgkmcnt(0)
	v_lshl_add_u64 v[6:7], v[10:11], 0, v[4:5]
	v_lshlrev_b32_e32 v10, 2, v1
	v_cndmask_b32_e32 v13, v5, v7, vcc
	v_cndmask_b32_e32 v11, v12, v6, vcc
	v_or_b32_e32 v12, 0x80, v10
	ds_bpermute_b32 v11, v12, v11
	ds_bpermute_b32 v12, v12, v13
	s_and_saveexec_b64 s[6:7], s[4:5]
	s_cbranch_execz .LBB244_627
; %bb.626:
	v_add_u32_e32 v9, 32, v9
	v_cndmask_b32_e32 v3, v5, v7, vcc
	v_cndmask_b32_e32 v2, v4, v6, vcc
	v_cmp_lt_u32_e32 vcc, v9, v8
	s_waitcnt lgkmcnt(0)
	s_nop 0
	v_cndmask_b32_e32 v5, 0, v12, vcc
	v_cndmask_b32_e32 v4, 0, v11, vcc
	v_lshl_add_u64 v[2:3], v[4:5], 0, v[2:3]
.LBB244_627:
	s_or_b64 exec, exec, s[6:7]
	v_cmp_eq_u32_e32 vcc, 0, v1
	s_and_saveexec_b64 s[4:5], vcc
; %bb.628:
	v_lshrrev_b32_e32 v4, 3, v0
	v_and_b32_e32 v4, 24, v4
	ds_write_b64 v4, v[2:3] offset:256
; %bb.629:
	s_or_b64 exec, exec, s[4:5]
	v_cmp_gt_u32_e32 vcc, 4, v0
	s_waitcnt lgkmcnt(0)
	s_barrier
	s_and_saveexec_b64 s[4:5], vcc
	s_cbranch_execz .LBB244_633
; %bb.630:
	v_lshlrev_b32_e32 v2, 3, v1
	ds_read_b64 v[2:3], v2 offset:256
	v_and_b32_e32 v6, 3, v1
	v_cmp_ne_u32_e32 vcc, 3, v6
	v_mov_b32_e32 v8, 0
	s_add_i32 s8, s8, 63
	v_addc_co_u32_e32 v1, vcc, 0, v1, vcc
	v_lshlrev_b32_e32 v1, 2, v1
	s_waitcnt lgkmcnt(0)
	ds_bpermute_b32 v4, v1, v2
	ds_bpermute_b32 v9, v1, v3
	v_mov_b32_e32 v5, v8
	s_lshr_b32 s8, s8, 6
	v_add_u32_e32 v1, 1, v6
	s_waitcnt lgkmcnt(1)
	v_lshl_add_u64 v[12:13], v[2:3], 0, v[4:5]
	s_waitcnt lgkmcnt(0)
	v_lshl_add_u64 v[4:5], v[8:9], 0, v[12:13]
	v_cmp_gt_u32_e32 vcc, s8, v1
	v_or_b32_e32 v8, 8, v10
	s_nop 0
	v_cndmask_b32_e32 v7, v3, v5, vcc
	v_cndmask_b32_e32 v1, v2, v12, vcc
	ds_bpermute_b32 v1, v8, v1
	ds_bpermute_b32 v7, v8, v7
	s_and_saveexec_b64 s[6:7], vcc
	s_cbranch_execz .LBB244_632
; %bb.631:
	v_add_u32_e32 v2, 2, v6
	v_cmp_gt_u32_e32 vcc, s8, v2
	s_waitcnt lgkmcnt(0)
	s_nop 0
	v_cndmask_b32_e32 v3, 0, v7, vcc
	v_cndmask_b32_e32 v2, 0, v1, vcc
	v_lshl_add_u64 v[2:3], v[2:3], 0, v[4:5]
.LBB244_632:
	s_or_b64 exec, exec, s[6:7]
.LBB244_633:
	s_or_b64 exec, exec, s[4:5]
.LBB244_634:
	v_cmp_eq_u32_e64 s[4:5], 0, v0
	v_mov_b64_e32 v[4:5], s[2:3]
.LBB244_635:
	s_branch .LBB244_683
.LBB244_636:
	s_cmp_gt_i32 s33, 1
	s_cbranch_scc0 .LBB244_644
; %bb.637:
	s_cmp_eq_u32 s33, 2
                                        ; implicit-def: $vgpr2_vgpr3
                                        ; implicit-def: $vgpr4_vgpr5
	s_cbranch_scc0 .LBB244_645
; %bb.638:
	s_mov_b32 s3, 0
	s_lshl_b32 s6, s2, 9
	s_mov_b32 s7, s3
	s_lshr_b64 s[8:9], s[36:37], 9
	s_lshl_b64 s[4:5], s[6:7], 2
	s_add_u32 s4, s40, s4
	s_addc_u32 s5, s41, s5
	s_cmp_lg_u64 s[8:9], s[2:3]
	s_cbranch_scc0 .LBB244_646
; %bb.639:
	s_waitcnt lgkmcnt(1)
	v_lshlrev_b32_e32 v1, 2, v0
	global_load_dword v2, v1, s[4:5]
	global_load_dword v5, v1, s[4:5] offset:1024
	v_mov_b32_e32 v3, 0
	v_mov_b32_e32 v9, v3
	;; [unrolled: 1-line block ×3, first 2 shown]
	s_waitcnt lgkmcnt(0)
	v_mov_b32_dpp v7, v3 quad_perm:[1,0,3,2] row_mask:0xf bank_mask:0xf bound_ctrl:1
	v_mov_b32_e32 v10, v3
	v_mov_b32_e32 v12, v3
	;; [unrolled: 1-line block ×3, first 2 shown]
	v_mbcnt_lo_u32_b32 v1, -1, 0
	v_mov_b32_e32 v16, v3
	v_mbcnt_hi_u32_b32 v1, -1, v1
	v_lshlrev_b32_e32 v4, 2, v1
	v_or_b32_e32 v18, 0xfc, v4
	s_waitcnt vmcnt(1)
	v_cmp_neq_f32_e32 vcc, 0, v2
	s_nop 1
	v_cndmask_b32_e64 v2, 0, 1, vcc
	s_waitcnt vmcnt(0)
	v_cmp_neq_f32_e32 vcc, 0, v5
	s_nop 1
	v_addc_co_u32_e32 v2, vcc, 0, v2, vcc
	v_cmp_eq_u32_e32 vcc, 0, v1
	s_nop 0
	v_mov_b32_dpp v8, v2 quad_perm:[1,0,3,2] row_mask:0xf bank_mask:0xf bound_ctrl:1
	v_lshl_add_u64 v[8:9], v[2:3], 0, v[8:9]
	v_lshl_add_u64 v[6:7], v[6:7], 0, v[8:9]
	s_nop 0
	v_mov_b32_dpp v2, v8 quad_perm:[2,3,0,1] row_mask:0xf bank_mask:0xf bound_ctrl:1
	v_mov_b32_dpp v11, v7 quad_perm:[2,3,0,1] row_mask:0xf bank_mask:0xf bound_ctrl:1
	v_lshl_add_u64 v[6:7], v[6:7], 0, v[2:3]
	v_lshl_add_u64 v[8:9], v[6:7], 0, v[10:11]
	s_nop 0
	v_mov_b32_dpp v2, v6 row_ror:4 row_mask:0xf bank_mask:0xf bound_ctrl:1
	v_mov_b32_dpp v13, v9 row_ror:4 row_mask:0xf bank_mask:0xf bound_ctrl:1
	v_lshl_add_u64 v[6:7], v[8:9], 0, v[2:3]
	v_lshl_add_u64 v[8:9], v[6:7], 0, v[12:13]
	s_nop 0
	v_mov_b32_dpp v2, v6 row_ror:8 row_mask:0xf bank_mask:0xf bound_ctrl:1
	v_mov_b32_dpp v15, v9 row_ror:8 row_mask:0xf bank_mask:0xf bound_ctrl:1
	v_lshl_add_u64 v[6:7], v[8:9], 0, v[2:3]
	v_lshl_add_u64 v[8:9], v[6:7], 0, v[14:15]
	s_nop 0
	v_mov_b32_dpp v2, v6 row_bcast:15 row_mask:0xf bank_mask:0xf bound_ctrl:1
	v_mov_b32_dpp v17, v9 row_bcast:15 row_mask:0xf bank_mask:0xf bound_ctrl:1
	v_lshl_add_u64 v[6:7], v[8:9], 0, v[2:3]
	v_lshl_add_u64 v[8:9], v[6:7], 0, v[16:17]
	s_nop 0
	v_mov_b32_dpp v2, v6 row_bcast:31 row_mask:0xf bank_mask:0xf bound_ctrl:1
	v_lshl_add_u64 v[2:3], v[8:9], 0, v[2:3]
	ds_bpermute_b32 v2, v18, v2
	s_nop 0
	v_add_u32_dpp v3, v9, v3 row_bcast:31 row_mask:0xf bank_mask:0xf bound_ctrl:1
	ds_bpermute_b32 v3, v18, v3
	s_and_saveexec_b64 s[8:9], vcc
	s_cbranch_execz .LBB244_641
; %bb.640:
	v_lshrrev_b32_e32 v5, 3, v0
	v_and_b32_e32 v5, 24, v5
	s_waitcnt lgkmcnt(0)
	ds_write_b64 v5, v[2:3] offset:96
.LBB244_641:
	s_or_b64 exec, exec, s[8:9]
	v_cmp_gt_u32_e32 vcc, 64, v0
	s_waitcnt lgkmcnt(0)
	s_barrier
	s_and_saveexec_b64 s[8:9], vcc
	s_cbranch_execz .LBB244_643
; %bb.642:
	v_and_b32_e32 v5, 3, v1
	v_lshlrev_b32_e32 v2, 3, v5
	ds_read_b64 v[2:3], v2 offset:96
	v_cmp_ne_u32_e32 vcc, 3, v5
	v_mov_b32_e32 v8, 0
	v_mov_b32_e32 v7, v8
	v_addc_co_u32_e32 v1, vcc, 0, v1, vcc
	v_lshlrev_b32_e32 v1, 2, v1
	s_waitcnt lgkmcnt(0)
	ds_bpermute_b32 v6, v1, v2
	ds_bpermute_b32 v9, v1, v3
	v_or_b32_e32 v1, 8, v4
	s_waitcnt lgkmcnt(1)
	v_lshl_add_u64 v[2:3], v[2:3], 0, v[6:7]
	s_waitcnt lgkmcnt(0)
	v_lshl_add_u64 v[4:5], v[8:9], 0, v[2:3]
	ds_bpermute_b32 v2, v1, v2
	ds_bpermute_b32 v9, v1, v5
	v_mov_b32_e32 v3, v8
	s_waitcnt lgkmcnt(1)
	v_lshl_add_u64 v[2:3], v[4:5], 0, v[2:3]
	s_waitcnt lgkmcnt(0)
	v_lshl_add_u64 v[2:3], v[2:3], 0, v[8:9]
.LBB244_643:
	s_or_b64 exec, exec, s[8:9]
	s_mov_b64 s[8:9], 0
	s_branch .LBB244_647
.LBB244_644:
                                        ; implicit-def: $vgpr2_vgpr3
                                        ; implicit-def: $vgpr4_vgpr5
	s_cbranch_execnz .LBB244_662
	s_branch .LBB244_683
.LBB244_645:
	s_branch .LBB244_683
.LBB244_646:
	s_mov_b64 s[8:9], -1
                                        ; implicit-def: $vgpr2_vgpr3
.LBB244_647:
	s_and_b64 vcc, exec, s[8:9]
	s_cbranch_vccz .LBB244_661
; %bb.648:
	s_sub_i32 s8, s36, s6
	v_mov_b32_e32 v2, 0
	v_cmp_gt_u32_e32 vcc, s8, v0
	v_mov_b32_e32 v3, v2
	v_mov_b32_e32 v4, v2
	;; [unrolled: 1-line block ×3, first 2 shown]
	s_and_saveexec_b64 s[6:7], vcc
	s_cbranch_execz .LBB244_650
; %bb.649:
	s_waitcnt lgkmcnt(1)
	v_lshlrev_b32_e32 v1, 2, v0
	global_load_dword v1, v1, s[4:5]
	v_mov_b32_e32 v5, v2
	v_mov_b32_e32 v6, v2
	s_waitcnt lgkmcnt(0)
	v_mov_b32_e32 v7, v2
	s_waitcnt vmcnt(0)
	v_cmp_neq_f32_e32 vcc, 0, v1
	s_nop 1
	v_cndmask_b32_e64 v1, 0, 1, vcc
	v_and_b32_e32 v4, 0xffff, v1
	v_mov_b64_e32 v[2:3], v[4:5]
	v_mov_b64_e32 v[4:5], v[6:7]
.LBB244_650:
	s_or_b64 exec, exec, s[6:7]
	s_waitcnt lgkmcnt(1)
	v_or_b32_e32 v1, 0x100, v0
	v_cmp_gt_u32_e32 vcc, s8, v1
	s_and_saveexec_b64 s[6:7], vcc
	s_cbranch_execz .LBB244_652
; %bb.651:
	v_lshlrev_b32_e32 v1, 2, v0
	global_load_dword v1, v1, s[4:5] offset:1024
	s_mov_b32 s9, 0
	v_mov_b32_e32 v5, s9
	s_waitcnt vmcnt(0)
	v_cmp_neq_f32_e64 s[4:5], 0, v1
	s_nop 1
	v_cndmask_b32_e64 v4, 0, 1, s[4:5]
.LBB244_652:
	s_or_b64 exec, exec, s[6:7]
	v_mbcnt_lo_u32_b32 v1, -1, 0
	v_mbcnt_hi_u32_b32 v1, -1, v1
	v_cndmask_b32_e32 v5, 0, v5, vcc
	v_cndmask_b32_e32 v4, 0, v4, vcc
	v_and_b32_e32 v9, 63, v1
	v_lshl_add_u64 v[2:3], v[4:5], 0, v[2:3]
	s_min_u32 s8, s8, 0x100
	v_and_b32_e32 v4, 0xc0, v0
	v_cmp_ne_u32_e32 vcc, 63, v9
	v_sub_u32_e64 v8, s8, v4 clamp
	v_mov_b32_e32 v6, 0
	v_addc_co_u32_e32 v4, vcc, 0, v1, vcc
	v_lshlrev_b32_e32 v5, 2, v4
	ds_bpermute_b32 v4, v5, v2
	s_waitcnt lgkmcnt(1)
	ds_bpermute_b32 v7, v5, v3
	v_add_u32_e32 v10, 1, v9
	v_mov_b32_e32 v5, v6
	v_cmp_lt_u32_e64 s[4:5], v10, v8
	s_waitcnt lgkmcnt(1)
	v_lshl_add_u64 v[4:5], v[2:3], 0, v[4:5]
	v_cmp_gt_u32_e32 vcc, 62, v9
	s_waitcnt lgkmcnt(0)
	v_lshl_add_u64 v[6:7], v[6:7], 0, v[4:5]
	v_cndmask_b32_e64 v12, v2, v4, s[4:5]
	v_cndmask_b32_e64 v4, 0, 2, vcc
	v_cndmask_b32_e64 v5, v3, v7, s[4:5]
	v_add_lshl_u32 v4, v4, v1, 2
	ds_bpermute_b32 v10, v4, v12
	ds_bpermute_b32 v11, v4, v5
	v_cndmask_b32_e64 v4, v2, v6, s[4:5]
	v_add_u32_e32 v13, 2, v9
	v_cmp_lt_u32_e32 vcc, v13, v8
	v_cmp_gt_u32_e64 s[6:7], 60, v9
	s_waitcnt lgkmcnt(0)
	v_lshl_add_u64 v[6:7], v[10:11], 0, v[4:5]
	v_cndmask_b32_e32 v5, v5, v7, vcc
	v_cndmask_b32_e64 v7, 0, 4, s[6:7]
	v_cndmask_b32_e32 v12, v12, v6, vcc
	v_add_lshl_u32 v7, v7, v1, 2
	ds_bpermute_b32 v10, v7, v12
	ds_bpermute_b32 v11, v7, v5
	v_cndmask_b32_e32 v4, v4, v6, vcc
	v_add_u32_e32 v13, 4, v9
	v_cmp_lt_u32_e32 vcc, v13, v8
	v_cmp_gt_u32_e64 s[6:7], 56, v9
	s_waitcnt lgkmcnt(0)
	v_lshl_add_u64 v[6:7], v[10:11], 0, v[4:5]
	v_cndmask_b32_e32 v5, v5, v7, vcc
	v_cndmask_b32_e64 v7, 0, 8, s[6:7]
	v_cndmask_b32_e32 v12, v12, v6, vcc
	v_add_lshl_u32 v7, v7, v1, 2
	ds_bpermute_b32 v10, v7, v12
	ds_bpermute_b32 v11, v7, v5
	v_cndmask_b32_e32 v4, v4, v6, vcc
	;; [unrolled: 12-line block ×3, first 2 shown]
	v_add_u32_e32 v13, 16, v9
	v_cmp_lt_u32_e32 vcc, v13, v8
	s_waitcnt lgkmcnt(0)
	v_lshl_add_u64 v[6:7], v[10:11], 0, v[4:5]
	v_lshlrev_b32_e32 v10, 2, v1
	v_cndmask_b32_e32 v13, v5, v7, vcc
	v_cndmask_b32_e32 v11, v12, v6, vcc
	v_or_b32_e32 v12, 0x80, v10
	ds_bpermute_b32 v11, v12, v11
	ds_bpermute_b32 v12, v12, v13
	s_and_saveexec_b64 s[6:7], s[4:5]
	s_cbranch_execz .LBB244_654
; %bb.653:
	v_add_u32_e32 v9, 32, v9
	v_cndmask_b32_e32 v3, v5, v7, vcc
	v_cndmask_b32_e32 v2, v4, v6, vcc
	v_cmp_lt_u32_e32 vcc, v9, v8
	s_waitcnt lgkmcnt(0)
	s_nop 0
	v_cndmask_b32_e32 v5, 0, v12, vcc
	v_cndmask_b32_e32 v4, 0, v11, vcc
	v_lshl_add_u64 v[2:3], v[4:5], 0, v[2:3]
.LBB244_654:
	s_or_b64 exec, exec, s[6:7]
	v_cmp_eq_u32_e32 vcc, 0, v1
	s_and_saveexec_b64 s[4:5], vcc
; %bb.655:
	v_lshrrev_b32_e32 v4, 3, v0
	v_and_b32_e32 v4, 24, v4
	ds_write_b64 v4, v[2:3] offset:256
; %bb.656:
	s_or_b64 exec, exec, s[4:5]
	v_cmp_gt_u32_e32 vcc, 4, v0
	s_waitcnt lgkmcnt(0)
	s_barrier
	s_and_saveexec_b64 s[4:5], vcc
	s_cbranch_execz .LBB244_660
; %bb.657:
	v_lshlrev_b32_e32 v2, 3, v1
	ds_read_b64 v[2:3], v2 offset:256
	v_and_b32_e32 v6, 3, v1
	v_cmp_ne_u32_e32 vcc, 3, v6
	v_mov_b32_e32 v8, 0
	s_add_i32 s8, s8, 63
	v_addc_co_u32_e32 v1, vcc, 0, v1, vcc
	v_lshlrev_b32_e32 v1, 2, v1
	s_waitcnt lgkmcnt(0)
	ds_bpermute_b32 v4, v1, v2
	ds_bpermute_b32 v9, v1, v3
	v_mov_b32_e32 v5, v8
	s_lshr_b32 s8, s8, 6
	v_add_u32_e32 v1, 1, v6
	s_waitcnt lgkmcnt(1)
	v_lshl_add_u64 v[12:13], v[2:3], 0, v[4:5]
	s_waitcnt lgkmcnt(0)
	v_lshl_add_u64 v[4:5], v[8:9], 0, v[12:13]
	v_cmp_gt_u32_e32 vcc, s8, v1
	v_or_b32_e32 v8, 8, v10
	s_nop 0
	v_cndmask_b32_e32 v7, v3, v5, vcc
	v_cndmask_b32_e32 v1, v2, v12, vcc
	ds_bpermute_b32 v1, v8, v1
	ds_bpermute_b32 v7, v8, v7
	s_and_saveexec_b64 s[6:7], vcc
	s_cbranch_execz .LBB244_659
; %bb.658:
	v_add_u32_e32 v2, 2, v6
	v_cmp_gt_u32_e32 vcc, s8, v2
	s_waitcnt lgkmcnt(0)
	s_nop 0
	v_cndmask_b32_e32 v3, 0, v7, vcc
	v_cndmask_b32_e32 v2, 0, v1, vcc
	v_lshl_add_u64 v[2:3], v[2:3], 0, v[4:5]
.LBB244_659:
	s_or_b64 exec, exec, s[6:7]
.LBB244_660:
	s_or_b64 exec, exec, s[4:5]
.LBB244_661:
	v_cmp_eq_u32_e64 s[4:5], 0, v0
	v_mov_b64_e32 v[4:5], s[2:3]
	s_branch .LBB244_683
.LBB244_662:
	s_cmp_eq_u32 s33, 1
                                        ; implicit-def: $vgpr2_vgpr3
                                        ; implicit-def: $vgpr4_vgpr5
	s_cbranch_scc0 .LBB244_683
; %bb.663:
	s_mov_b32 s5, 0
	s_lshl_b32 s4, s2, 8
	s_mov_b32 s3, s5
	s_lshr_b64 s[6:7], s[36:37], 8
	s_cmp_lg_u64 s[6:7], s[2:3]
	s_waitcnt lgkmcnt(1)
	v_mbcnt_lo_u32_b32 v1, -1, 0
	s_cbranch_scc0 .LBB244_669
; %bb.664:
	s_lshl_b64 s[6:7], s[4:5], 2
	s_add_u32 s6, s40, s6
	s_addc_u32 s7, s41, s7
	v_lshlrev_b32_e32 v2, 2, v0
	global_load_dword v2, v2, s[6:7]
	v_mov_b32_e32 v6, 0
	v_mov_b32_e32 v3, s5
	;; [unrolled: 1-line block ×3, first 2 shown]
	s_waitcnt lgkmcnt(0)
	v_mov_b32_dpp v7, v6 quad_perm:[1,0,3,2] row_mask:0xf bank_mask:0xf bound_ctrl:1
	v_mov_b32_e32 v11, v6
	v_mov_b32_e32 v13, v6
	;; [unrolled: 1-line block ×4, first 2 shown]
	v_mbcnt_hi_u32_b32 v4, -1, v1
	v_mov_b32_e32 v19, v6
	v_lshlrev_b32_e32 v5, 2, v4
	v_or_b32_e32 v20, 0xfc, v5
	s_waitcnt vmcnt(0)
	v_cmp_neq_f32_e32 vcc, 0, v2
	s_nop 1
	v_cndmask_b32_e64 v2, 0, 1, vcc
	v_cmp_eq_u32_e32 vcc, 0, v4
	s_nop 0
	v_mov_b32_dpp v8, v2 quad_perm:[1,0,3,2] row_mask:0xf bank_mask:0xf bound_ctrl:1
	v_lshl_add_u64 v[2:3], v[8:9], 0, v[2:3]
	v_lshl_add_u64 v[8:9], v[6:7], 0, v[2:3]
	s_nop 0
	v_mov_b32_dpp v10, v2 quad_perm:[2,3,0,1] row_mask:0xf bank_mask:0xf bound_ctrl:1
	v_mov_b32_dpp v7, v9 quad_perm:[2,3,0,1] row_mask:0xf bank_mask:0xf bound_ctrl:1
	v_lshl_add_u64 v[2:3], v[8:9], 0, v[10:11]
	v_lshl_add_u64 v[8:9], v[2:3], 0, v[6:7]
	s_nop 0
	v_mov_b32_dpp v12, v2 row_ror:4 row_mask:0xf bank_mask:0xf bound_ctrl:1
	v_mov_b32_dpp v7, v9 row_ror:4 row_mask:0xf bank_mask:0xf bound_ctrl:1
	v_lshl_add_u64 v[2:3], v[8:9], 0, v[12:13]
	v_lshl_add_u64 v[8:9], v[2:3], 0, v[6:7]
	s_nop 0
	v_mov_b32_dpp v14, v2 row_ror:8 row_mask:0xf bank_mask:0xf bound_ctrl:1
	v_mov_b32_dpp v7, v9 row_ror:8 row_mask:0xf bank_mask:0xf bound_ctrl:1
	v_lshl_add_u64 v[2:3], v[8:9], 0, v[14:15]
	v_lshl_add_u64 v[8:9], v[2:3], 0, v[6:7]
	s_nop 0
	v_mov_b32_dpp v16, v2 row_bcast:15 row_mask:0xf bank_mask:0xf bound_ctrl:1
	v_mov_b32_dpp v7, v9 row_bcast:15 row_mask:0xf bank_mask:0xf bound_ctrl:1
	v_lshl_add_u64 v[2:3], v[8:9], 0, v[16:17]
	v_lshl_add_u64 v[6:7], v[2:3], 0, v[6:7]
	s_nop 0
	v_mov_b32_dpp v18, v2 row_bcast:31 row_mask:0xf bank_mask:0xf bound_ctrl:1
	v_lshl_add_u64 v[2:3], v[6:7], 0, v[18:19]
	ds_bpermute_b32 v2, v20, v2
	s_nop 0
	v_add_u32_dpp v3, v7, v3 row_bcast:31 row_mask:0xf bank_mask:0xf bound_ctrl:1
	ds_bpermute_b32 v3, v20, v3
	s_and_saveexec_b64 s[6:7], vcc
	s_cbranch_execz .LBB244_666
; %bb.665:
	v_lshrrev_b32_e32 v6, 3, v0
	v_and_b32_e32 v6, 24, v6
	s_waitcnt lgkmcnt(0)
	ds_write_b64 v6, v[2:3] offset:64
.LBB244_666:
	s_or_b64 exec, exec, s[6:7]
	v_cmp_gt_u32_e32 vcc, 64, v0
	s_waitcnt lgkmcnt(0)
	s_barrier
	s_and_saveexec_b64 s[6:7], vcc
	s_cbranch_execz .LBB244_668
; %bb.667:
	v_and_b32_e32 v6, 3, v4
	v_lshlrev_b32_e32 v2, 3, v6
	ds_read_b64 v[2:3], v2 offset:64
	v_cmp_ne_u32_e32 vcc, 3, v6
	v_or_b32_e32 v8, 8, v5
	s_nop 0
	v_addc_co_u32_e32 v4, vcc, 0, v4, vcc
	v_lshlrev_b32_e32 v6, 2, v4
	s_waitcnt lgkmcnt(0)
	ds_bpermute_b32 v4, v6, v2
	ds_bpermute_b32 v7, v6, v3
	v_mov_b32_e32 v6, 0
	v_mov_b32_e32 v5, v6
	s_waitcnt lgkmcnt(1)
	v_lshl_add_u64 v[2:3], v[2:3], 0, v[4:5]
	s_waitcnt lgkmcnt(0)
	v_lshl_add_u64 v[4:5], v[6:7], 0, v[2:3]
	ds_bpermute_b32 v2, v8, v2
	ds_bpermute_b32 v7, v8, v5
	v_mov_b32_e32 v3, v6
	s_waitcnt lgkmcnt(1)
	v_lshl_add_u64 v[2:3], v[4:5], 0, v[2:3]
	s_waitcnt lgkmcnt(0)
	v_lshl_add_u64 v[2:3], v[2:3], 0, v[6:7]
.LBB244_668:
	s_or_b64 exec, exec, s[6:7]
	s_mov_b64 s[6:7], 0
	s_branch .LBB244_670
.LBB244_669:
	s_mov_b64 s[6:7], -1
                                        ; implicit-def: $vgpr2_vgpr3
.LBB244_670:
	s_and_b64 vcc, exec, s[6:7]
	s_cbranch_vccz .LBB244_682
; %bb.671:
	s_sub_i32 s8, s36, s4
	v_cmp_gt_u32_e32 vcc, s8, v0
                                        ; implicit-def: $vgpr2_vgpr3
	s_and_saveexec_b64 s[6:7], vcc
	s_cbranch_execz .LBB244_673
; %bb.672:
	s_lshl_b64 s[4:5], s[4:5], 2
	s_add_u32 s4, s40, s4
	s_addc_u32 s5, s41, s5
	v_lshlrev_b32_e32 v2, 2, v0
	global_load_dword v2, v2, s[4:5]
	s_mov_b32 s4, 0
	v_mov_b32_e32 v3, s4
	s_waitcnt vmcnt(0)
	v_cmp_neq_f32_e32 vcc, 0, v2
	s_nop 1
	v_cndmask_b32_e64 v2, 0, 1, vcc
.LBB244_673:
	s_or_b64 exec, exec, s[6:7]
	v_mbcnt_hi_u32_b32 v1, -1, v1
	v_and_b32_e32 v9, 63, v1
	s_min_u32 s8, s8, 0x100
	v_and_b32_e32 v4, 0xc0, v0
	v_cmp_ne_u32_e32 vcc, 63, v9
	v_sub_u32_e64 v8, s8, v4 clamp
	v_mov_b32_e32 v6, 0
	v_addc_co_u32_e32 v4, vcc, 0, v1, vcc
	v_lshlrev_b32_e32 v5, 2, v4
	ds_bpermute_b32 v4, v5, v2
	s_waitcnt lgkmcnt(1)
	ds_bpermute_b32 v7, v5, v3
	v_add_u32_e32 v10, 1, v9
	v_mov_b32_e32 v5, v6
	v_cmp_lt_u32_e64 s[4:5], v10, v8
	s_waitcnt lgkmcnt(1)
	v_lshl_add_u64 v[4:5], v[2:3], 0, v[4:5]
	v_cmp_gt_u32_e32 vcc, 62, v9
	s_waitcnt lgkmcnt(0)
	v_lshl_add_u64 v[6:7], v[6:7], 0, v[4:5]
	v_cndmask_b32_e64 v12, v2, v4, s[4:5]
	v_cndmask_b32_e64 v4, 0, 2, vcc
	v_cndmask_b32_e64 v5, v3, v7, s[4:5]
	v_add_lshl_u32 v4, v4, v1, 2
	ds_bpermute_b32 v10, v4, v12
	ds_bpermute_b32 v11, v4, v5
	v_cndmask_b32_e64 v4, v2, v6, s[4:5]
	v_add_u32_e32 v13, 2, v9
	v_cmp_lt_u32_e32 vcc, v13, v8
	v_cmp_gt_u32_e64 s[6:7], 60, v9
	s_waitcnt lgkmcnt(0)
	v_lshl_add_u64 v[6:7], v[10:11], 0, v[4:5]
	v_cndmask_b32_e32 v5, v5, v7, vcc
	v_cndmask_b32_e64 v7, 0, 4, s[6:7]
	v_cndmask_b32_e32 v12, v12, v6, vcc
	v_add_lshl_u32 v7, v7, v1, 2
	ds_bpermute_b32 v10, v7, v12
	ds_bpermute_b32 v11, v7, v5
	v_cndmask_b32_e32 v4, v4, v6, vcc
	v_add_u32_e32 v13, 4, v9
	v_cmp_lt_u32_e32 vcc, v13, v8
	v_cmp_gt_u32_e64 s[6:7], 56, v9
	s_waitcnt lgkmcnt(0)
	v_lshl_add_u64 v[6:7], v[10:11], 0, v[4:5]
	v_cndmask_b32_e32 v5, v5, v7, vcc
	v_cndmask_b32_e64 v7, 0, 8, s[6:7]
	v_cndmask_b32_e32 v12, v12, v6, vcc
	v_add_lshl_u32 v7, v7, v1, 2
	ds_bpermute_b32 v10, v7, v12
	ds_bpermute_b32 v11, v7, v5
	v_cndmask_b32_e32 v4, v4, v6, vcc
	v_add_u32_e32 v13, 8, v9
	v_cmp_lt_u32_e32 vcc, v13, v8
	v_cmp_gt_u32_e64 s[6:7], 48, v9
	s_waitcnt lgkmcnt(0)
	v_lshl_add_u64 v[6:7], v[10:11], 0, v[4:5]
	v_cndmask_b32_e32 v5, v5, v7, vcc
	v_cndmask_b32_e64 v7, 0, 16, s[6:7]
	v_cndmask_b32_e32 v12, v12, v6, vcc
	v_add_lshl_u32 v7, v7, v1, 2
	ds_bpermute_b32 v10, v7, v12
	ds_bpermute_b32 v11, v7, v5
	v_cndmask_b32_e32 v4, v4, v6, vcc
	v_add_u32_e32 v13, 16, v9
	v_cmp_lt_u32_e32 vcc, v13, v8
	s_waitcnt lgkmcnt(0)
	v_lshl_add_u64 v[6:7], v[10:11], 0, v[4:5]
	v_lshlrev_b32_e32 v10, 2, v1
	v_cndmask_b32_e32 v13, v5, v7, vcc
	v_cndmask_b32_e32 v11, v12, v6, vcc
	v_or_b32_e32 v12, 0x80, v10
	ds_bpermute_b32 v11, v12, v11
	ds_bpermute_b32 v12, v12, v13
	s_and_saveexec_b64 s[6:7], s[4:5]
	s_cbranch_execz .LBB244_675
; %bb.674:
	v_add_u32_e32 v9, 32, v9
	v_cndmask_b32_e32 v3, v5, v7, vcc
	v_cndmask_b32_e32 v2, v4, v6, vcc
	v_cmp_lt_u32_e32 vcc, v9, v8
	s_waitcnt lgkmcnt(0)
	s_nop 0
	v_cndmask_b32_e32 v5, 0, v12, vcc
	v_cndmask_b32_e32 v4, 0, v11, vcc
	v_lshl_add_u64 v[2:3], v[4:5], 0, v[2:3]
.LBB244_675:
	s_or_b64 exec, exec, s[6:7]
	v_cmp_eq_u32_e32 vcc, 0, v1
	s_and_saveexec_b64 s[4:5], vcc
; %bb.676:
	v_lshrrev_b32_e32 v4, 3, v0
	v_and_b32_e32 v4, 24, v4
	ds_write_b64 v4, v[2:3] offset:256
; %bb.677:
	s_or_b64 exec, exec, s[4:5]
	v_cmp_gt_u32_e32 vcc, 4, v0
	s_waitcnt lgkmcnt(0)
	s_barrier
	s_and_saveexec_b64 s[4:5], vcc
	s_cbranch_execz .LBB244_681
; %bb.678:
	v_lshlrev_b32_e32 v2, 3, v1
	ds_read_b64 v[2:3], v2 offset:256
	v_and_b32_e32 v6, 3, v1
	v_cmp_ne_u32_e32 vcc, 3, v6
	v_mov_b32_e32 v8, 0
	s_add_i32 s8, s8, 63
	v_addc_co_u32_e32 v1, vcc, 0, v1, vcc
	v_lshlrev_b32_e32 v1, 2, v1
	s_waitcnt lgkmcnt(0)
	ds_bpermute_b32 v4, v1, v2
	ds_bpermute_b32 v9, v1, v3
	v_mov_b32_e32 v5, v8
	s_lshr_b32 s8, s8, 6
	v_add_u32_e32 v1, 1, v6
	s_waitcnt lgkmcnt(1)
	v_lshl_add_u64 v[12:13], v[2:3], 0, v[4:5]
	s_waitcnt lgkmcnt(0)
	v_lshl_add_u64 v[4:5], v[8:9], 0, v[12:13]
	v_cmp_gt_u32_e32 vcc, s8, v1
	v_or_b32_e32 v8, 8, v10
	s_nop 0
	v_cndmask_b32_e32 v7, v3, v5, vcc
	v_cndmask_b32_e32 v1, v2, v12, vcc
	ds_bpermute_b32 v1, v8, v1
	ds_bpermute_b32 v7, v8, v7
	s_and_saveexec_b64 s[6:7], vcc
	s_cbranch_execz .LBB244_680
; %bb.679:
	v_add_u32_e32 v2, 2, v6
	v_cmp_gt_u32_e32 vcc, s8, v2
	s_waitcnt lgkmcnt(0)
	s_nop 0
	v_cndmask_b32_e32 v3, 0, v7, vcc
	v_cndmask_b32_e32 v2, 0, v1, vcc
	v_lshl_add_u64 v[2:3], v[2:3], 0, v[4:5]
.LBB244_680:
	s_or_b64 exec, exec, s[6:7]
.LBB244_681:
	s_or_b64 exec, exec, s[4:5]
.LBB244_682:
	v_cmp_eq_u32_e64 s[4:5], 0, v0
	v_mov_b64_e32 v[4:5], s[2:3]
.LBB244_683:
	s_and_saveexec_b64 s[2:3], s[4:5]
	s_cbranch_execz .LBB244_685
; %bb.684:
	s_load_dwordx2 s[0:1], s[0:1], 0x28
	s_cmp_lg_u64 s[36:37], 0
	s_cselect_b64 vcc, -1, 0
	s_waitcnt lgkmcnt(0)
	v_lshlrev_b64 v[0:1], 3, v[4:5]
	v_cndmask_b32_e32 v3, 0, v3, vcc
	v_cndmask_b32_e32 v2, 0, v2, vcc
	v_lshl_add_u64 v[0:1], s[38:39], 0, v[0:1]
	v_lshl_add_u64 v[2:3], v[2:3], 0, s[0:1]
	global_store_dwordx2 v[0:1], v[2:3], off
.LBB244_685:
	s_endpgm
	.section	.rodata,"a",@progbits
	.p2align	6, 0x0
	.amdhsa_kernel _ZN7rocprim17ROCPRIM_400000_NS6detail17trampoline_kernelINS0_14default_configENS1_22reduce_config_selectorIbEEZNS1_11reduce_implILb1ES3_N6hipcub16HIPCUB_304000_NS22TransformInputIteratorIb7NonZeroIfEPflEEPllNS8_6detail34convert_binary_result_type_wrapperINS8_3SumESD_lEEEE10hipError_tPvRmT1_T2_T3_mT4_P12ihipStream_tbEUlT_E1_NS1_11comp_targetILNS1_3genE0ELNS1_11target_archE4294967295ELNS1_3gpuE0ELNS1_3repE0EEENS1_30default_config_static_selectorELNS0_4arch9wavefront6targetE1EEEvSM_
		.amdhsa_group_segment_fixed_size 288
		.amdhsa_private_segment_fixed_size 0
		.amdhsa_kernarg_size 56
		.amdhsa_user_sgpr_count 2
		.amdhsa_user_sgpr_dispatch_ptr 0
		.amdhsa_user_sgpr_queue_ptr 0
		.amdhsa_user_sgpr_kernarg_segment_ptr 1
		.amdhsa_user_sgpr_dispatch_id 0
		.amdhsa_user_sgpr_kernarg_preload_length 0
		.amdhsa_user_sgpr_kernarg_preload_offset 0
		.amdhsa_user_sgpr_private_segment_size 0
		.amdhsa_uses_dynamic_stack 0
		.amdhsa_enable_private_segment 0
		.amdhsa_system_sgpr_workgroup_id_x 1
		.amdhsa_system_sgpr_workgroup_id_y 0
		.amdhsa_system_sgpr_workgroup_id_z 0
		.amdhsa_system_sgpr_workgroup_info 0
		.amdhsa_system_vgpr_workitem_id 0
		.amdhsa_next_free_vgpr 260
		.amdhsa_next_free_sgpr 46
		.amdhsa_accum_offset 256
		.amdhsa_reserve_vcc 1
		.amdhsa_float_round_mode_32 0
		.amdhsa_float_round_mode_16_64 0
		.amdhsa_float_denorm_mode_32 3
		.amdhsa_float_denorm_mode_16_64 3
		.amdhsa_dx10_clamp 1
		.amdhsa_ieee_mode 1
		.amdhsa_fp16_overflow 0
		.amdhsa_tg_split 0
		.amdhsa_exception_fp_ieee_invalid_op 0
		.amdhsa_exception_fp_denorm_src 0
		.amdhsa_exception_fp_ieee_div_zero 0
		.amdhsa_exception_fp_ieee_overflow 0
		.amdhsa_exception_fp_ieee_underflow 0
		.amdhsa_exception_fp_ieee_inexact 0
		.amdhsa_exception_int_div_zero 0
	.end_amdhsa_kernel
	.section	.text._ZN7rocprim17ROCPRIM_400000_NS6detail17trampoline_kernelINS0_14default_configENS1_22reduce_config_selectorIbEEZNS1_11reduce_implILb1ES3_N6hipcub16HIPCUB_304000_NS22TransformInputIteratorIb7NonZeroIfEPflEEPllNS8_6detail34convert_binary_result_type_wrapperINS8_3SumESD_lEEEE10hipError_tPvRmT1_T2_T3_mT4_P12ihipStream_tbEUlT_E1_NS1_11comp_targetILNS1_3genE0ELNS1_11target_archE4294967295ELNS1_3gpuE0ELNS1_3repE0EEENS1_30default_config_static_selectorELNS0_4arch9wavefront6targetE1EEEvSM_,"axG",@progbits,_ZN7rocprim17ROCPRIM_400000_NS6detail17trampoline_kernelINS0_14default_configENS1_22reduce_config_selectorIbEEZNS1_11reduce_implILb1ES3_N6hipcub16HIPCUB_304000_NS22TransformInputIteratorIb7NonZeroIfEPflEEPllNS8_6detail34convert_binary_result_type_wrapperINS8_3SumESD_lEEEE10hipError_tPvRmT1_T2_T3_mT4_P12ihipStream_tbEUlT_E1_NS1_11comp_targetILNS1_3genE0ELNS1_11target_archE4294967295ELNS1_3gpuE0ELNS1_3repE0EEENS1_30default_config_static_selectorELNS0_4arch9wavefront6targetE1EEEvSM_,comdat
.Lfunc_end244:
	.size	_ZN7rocprim17ROCPRIM_400000_NS6detail17trampoline_kernelINS0_14default_configENS1_22reduce_config_selectorIbEEZNS1_11reduce_implILb1ES3_N6hipcub16HIPCUB_304000_NS22TransformInputIteratorIb7NonZeroIfEPflEEPllNS8_6detail34convert_binary_result_type_wrapperINS8_3SumESD_lEEEE10hipError_tPvRmT1_T2_T3_mT4_P12ihipStream_tbEUlT_E1_NS1_11comp_targetILNS1_3genE0ELNS1_11target_archE4294967295ELNS1_3gpuE0ELNS1_3repE0EEENS1_30default_config_static_selectorELNS0_4arch9wavefront6targetE1EEEvSM_, .Lfunc_end244-_ZN7rocprim17ROCPRIM_400000_NS6detail17trampoline_kernelINS0_14default_configENS1_22reduce_config_selectorIbEEZNS1_11reduce_implILb1ES3_N6hipcub16HIPCUB_304000_NS22TransformInputIteratorIb7NonZeroIfEPflEEPllNS8_6detail34convert_binary_result_type_wrapperINS8_3SumESD_lEEEE10hipError_tPvRmT1_T2_T3_mT4_P12ihipStream_tbEUlT_E1_NS1_11comp_targetILNS1_3genE0ELNS1_11target_archE4294967295ELNS1_3gpuE0ELNS1_3repE0EEENS1_30default_config_static_selectorELNS0_4arch9wavefront6targetE1EEEvSM_
                                        ; -- End function
	.set _ZN7rocprim17ROCPRIM_400000_NS6detail17trampoline_kernelINS0_14default_configENS1_22reduce_config_selectorIbEEZNS1_11reduce_implILb1ES3_N6hipcub16HIPCUB_304000_NS22TransformInputIteratorIb7NonZeroIfEPflEEPllNS8_6detail34convert_binary_result_type_wrapperINS8_3SumESD_lEEEE10hipError_tPvRmT1_T2_T3_mT4_P12ihipStream_tbEUlT_E1_NS1_11comp_targetILNS1_3genE0ELNS1_11target_archE4294967295ELNS1_3gpuE0ELNS1_3repE0EEENS1_30default_config_static_selectorELNS0_4arch9wavefront6targetE1EEEvSM_.num_vgpr, 256
	.set _ZN7rocprim17ROCPRIM_400000_NS6detail17trampoline_kernelINS0_14default_configENS1_22reduce_config_selectorIbEEZNS1_11reduce_implILb1ES3_N6hipcub16HIPCUB_304000_NS22TransformInputIteratorIb7NonZeroIfEPflEEPllNS8_6detail34convert_binary_result_type_wrapperINS8_3SumESD_lEEEE10hipError_tPvRmT1_T2_T3_mT4_P12ihipStream_tbEUlT_E1_NS1_11comp_targetILNS1_3genE0ELNS1_11target_archE4294967295ELNS1_3gpuE0ELNS1_3repE0EEENS1_30default_config_static_selectorELNS0_4arch9wavefront6targetE1EEEvSM_.num_agpr, 4
	.set _ZN7rocprim17ROCPRIM_400000_NS6detail17trampoline_kernelINS0_14default_configENS1_22reduce_config_selectorIbEEZNS1_11reduce_implILb1ES3_N6hipcub16HIPCUB_304000_NS22TransformInputIteratorIb7NonZeroIfEPflEEPllNS8_6detail34convert_binary_result_type_wrapperINS8_3SumESD_lEEEE10hipError_tPvRmT1_T2_T3_mT4_P12ihipStream_tbEUlT_E1_NS1_11comp_targetILNS1_3genE0ELNS1_11target_archE4294967295ELNS1_3gpuE0ELNS1_3repE0EEENS1_30default_config_static_selectorELNS0_4arch9wavefront6targetE1EEEvSM_.numbered_sgpr, 46
	.set _ZN7rocprim17ROCPRIM_400000_NS6detail17trampoline_kernelINS0_14default_configENS1_22reduce_config_selectorIbEEZNS1_11reduce_implILb1ES3_N6hipcub16HIPCUB_304000_NS22TransformInputIteratorIb7NonZeroIfEPflEEPllNS8_6detail34convert_binary_result_type_wrapperINS8_3SumESD_lEEEE10hipError_tPvRmT1_T2_T3_mT4_P12ihipStream_tbEUlT_E1_NS1_11comp_targetILNS1_3genE0ELNS1_11target_archE4294967295ELNS1_3gpuE0ELNS1_3repE0EEENS1_30default_config_static_selectorELNS0_4arch9wavefront6targetE1EEEvSM_.num_named_barrier, 0
	.set _ZN7rocprim17ROCPRIM_400000_NS6detail17trampoline_kernelINS0_14default_configENS1_22reduce_config_selectorIbEEZNS1_11reduce_implILb1ES3_N6hipcub16HIPCUB_304000_NS22TransformInputIteratorIb7NonZeroIfEPflEEPllNS8_6detail34convert_binary_result_type_wrapperINS8_3SumESD_lEEEE10hipError_tPvRmT1_T2_T3_mT4_P12ihipStream_tbEUlT_E1_NS1_11comp_targetILNS1_3genE0ELNS1_11target_archE4294967295ELNS1_3gpuE0ELNS1_3repE0EEENS1_30default_config_static_selectorELNS0_4arch9wavefront6targetE1EEEvSM_.private_seg_size, 0
	.set _ZN7rocprim17ROCPRIM_400000_NS6detail17trampoline_kernelINS0_14default_configENS1_22reduce_config_selectorIbEEZNS1_11reduce_implILb1ES3_N6hipcub16HIPCUB_304000_NS22TransformInputIteratorIb7NonZeroIfEPflEEPllNS8_6detail34convert_binary_result_type_wrapperINS8_3SumESD_lEEEE10hipError_tPvRmT1_T2_T3_mT4_P12ihipStream_tbEUlT_E1_NS1_11comp_targetILNS1_3genE0ELNS1_11target_archE4294967295ELNS1_3gpuE0ELNS1_3repE0EEENS1_30default_config_static_selectorELNS0_4arch9wavefront6targetE1EEEvSM_.uses_vcc, 1
	.set _ZN7rocprim17ROCPRIM_400000_NS6detail17trampoline_kernelINS0_14default_configENS1_22reduce_config_selectorIbEEZNS1_11reduce_implILb1ES3_N6hipcub16HIPCUB_304000_NS22TransformInputIteratorIb7NonZeroIfEPflEEPllNS8_6detail34convert_binary_result_type_wrapperINS8_3SumESD_lEEEE10hipError_tPvRmT1_T2_T3_mT4_P12ihipStream_tbEUlT_E1_NS1_11comp_targetILNS1_3genE0ELNS1_11target_archE4294967295ELNS1_3gpuE0ELNS1_3repE0EEENS1_30default_config_static_selectorELNS0_4arch9wavefront6targetE1EEEvSM_.uses_flat_scratch, 0
	.set _ZN7rocprim17ROCPRIM_400000_NS6detail17trampoline_kernelINS0_14default_configENS1_22reduce_config_selectorIbEEZNS1_11reduce_implILb1ES3_N6hipcub16HIPCUB_304000_NS22TransformInputIteratorIb7NonZeroIfEPflEEPllNS8_6detail34convert_binary_result_type_wrapperINS8_3SumESD_lEEEE10hipError_tPvRmT1_T2_T3_mT4_P12ihipStream_tbEUlT_E1_NS1_11comp_targetILNS1_3genE0ELNS1_11target_archE4294967295ELNS1_3gpuE0ELNS1_3repE0EEENS1_30default_config_static_selectorELNS0_4arch9wavefront6targetE1EEEvSM_.has_dyn_sized_stack, 0
	.set _ZN7rocprim17ROCPRIM_400000_NS6detail17trampoline_kernelINS0_14default_configENS1_22reduce_config_selectorIbEEZNS1_11reduce_implILb1ES3_N6hipcub16HIPCUB_304000_NS22TransformInputIteratorIb7NonZeroIfEPflEEPllNS8_6detail34convert_binary_result_type_wrapperINS8_3SumESD_lEEEE10hipError_tPvRmT1_T2_T3_mT4_P12ihipStream_tbEUlT_E1_NS1_11comp_targetILNS1_3genE0ELNS1_11target_archE4294967295ELNS1_3gpuE0ELNS1_3repE0EEENS1_30default_config_static_selectorELNS0_4arch9wavefront6targetE1EEEvSM_.has_recursion, 0
	.set _ZN7rocprim17ROCPRIM_400000_NS6detail17trampoline_kernelINS0_14default_configENS1_22reduce_config_selectorIbEEZNS1_11reduce_implILb1ES3_N6hipcub16HIPCUB_304000_NS22TransformInputIteratorIb7NonZeroIfEPflEEPllNS8_6detail34convert_binary_result_type_wrapperINS8_3SumESD_lEEEE10hipError_tPvRmT1_T2_T3_mT4_P12ihipStream_tbEUlT_E1_NS1_11comp_targetILNS1_3genE0ELNS1_11target_archE4294967295ELNS1_3gpuE0ELNS1_3repE0EEENS1_30default_config_static_selectorELNS0_4arch9wavefront6targetE1EEEvSM_.has_indirect_call, 0
	.section	.AMDGPU.csdata,"",@progbits
; Kernel info:
; codeLenInByte = 41968
; TotalNumSgprs: 52
; NumVgprs: 256
; NumAgprs: 4
; TotalNumVgprs: 260
; ScratchSize: 0
; MemoryBound: 0
; FloatMode: 240
; IeeeMode: 1
; LDSByteSize: 288 bytes/workgroup (compile time only)
; SGPRBlocks: 6
; VGPRBlocks: 32
; NumSGPRsForWavesPerEU: 52
; NumVGPRsForWavesPerEU: 260
; AccumOffset: 256
; Occupancy: 1
; WaveLimiterHint : 1
; COMPUTE_PGM_RSRC2:SCRATCH_EN: 0
; COMPUTE_PGM_RSRC2:USER_SGPR: 2
; COMPUTE_PGM_RSRC2:TRAP_HANDLER: 0
; COMPUTE_PGM_RSRC2:TGID_X_EN: 1
; COMPUTE_PGM_RSRC2:TGID_Y_EN: 0
; COMPUTE_PGM_RSRC2:TGID_Z_EN: 0
; COMPUTE_PGM_RSRC2:TIDIG_COMP_CNT: 0
; COMPUTE_PGM_RSRC3_GFX90A:ACCUM_OFFSET: 63
; COMPUTE_PGM_RSRC3_GFX90A:TG_SPLIT: 0
	.section	.text._ZN7rocprim17ROCPRIM_400000_NS6detail17trampoline_kernelINS0_14default_configENS1_22reduce_config_selectorIbEEZNS1_11reduce_implILb1ES3_N6hipcub16HIPCUB_304000_NS22TransformInputIteratorIb7NonZeroIfEPflEEPllNS8_6detail34convert_binary_result_type_wrapperINS8_3SumESD_lEEEE10hipError_tPvRmT1_T2_T3_mT4_P12ihipStream_tbEUlT_E1_NS1_11comp_targetILNS1_3genE5ELNS1_11target_archE942ELNS1_3gpuE9ELNS1_3repE0EEENS1_30default_config_static_selectorELNS0_4arch9wavefront6targetE1EEEvSM_,"axG",@progbits,_ZN7rocprim17ROCPRIM_400000_NS6detail17trampoline_kernelINS0_14default_configENS1_22reduce_config_selectorIbEEZNS1_11reduce_implILb1ES3_N6hipcub16HIPCUB_304000_NS22TransformInputIteratorIb7NonZeroIfEPflEEPllNS8_6detail34convert_binary_result_type_wrapperINS8_3SumESD_lEEEE10hipError_tPvRmT1_T2_T3_mT4_P12ihipStream_tbEUlT_E1_NS1_11comp_targetILNS1_3genE5ELNS1_11target_archE942ELNS1_3gpuE9ELNS1_3repE0EEENS1_30default_config_static_selectorELNS0_4arch9wavefront6targetE1EEEvSM_,comdat
	.protected	_ZN7rocprim17ROCPRIM_400000_NS6detail17trampoline_kernelINS0_14default_configENS1_22reduce_config_selectorIbEEZNS1_11reduce_implILb1ES3_N6hipcub16HIPCUB_304000_NS22TransformInputIteratorIb7NonZeroIfEPflEEPllNS8_6detail34convert_binary_result_type_wrapperINS8_3SumESD_lEEEE10hipError_tPvRmT1_T2_T3_mT4_P12ihipStream_tbEUlT_E1_NS1_11comp_targetILNS1_3genE5ELNS1_11target_archE942ELNS1_3gpuE9ELNS1_3repE0EEENS1_30default_config_static_selectorELNS0_4arch9wavefront6targetE1EEEvSM_ ; -- Begin function _ZN7rocprim17ROCPRIM_400000_NS6detail17trampoline_kernelINS0_14default_configENS1_22reduce_config_selectorIbEEZNS1_11reduce_implILb1ES3_N6hipcub16HIPCUB_304000_NS22TransformInputIteratorIb7NonZeroIfEPflEEPllNS8_6detail34convert_binary_result_type_wrapperINS8_3SumESD_lEEEE10hipError_tPvRmT1_T2_T3_mT4_P12ihipStream_tbEUlT_E1_NS1_11comp_targetILNS1_3genE5ELNS1_11target_archE942ELNS1_3gpuE9ELNS1_3repE0EEENS1_30default_config_static_selectorELNS0_4arch9wavefront6targetE1EEEvSM_
	.globl	_ZN7rocprim17ROCPRIM_400000_NS6detail17trampoline_kernelINS0_14default_configENS1_22reduce_config_selectorIbEEZNS1_11reduce_implILb1ES3_N6hipcub16HIPCUB_304000_NS22TransformInputIteratorIb7NonZeroIfEPflEEPllNS8_6detail34convert_binary_result_type_wrapperINS8_3SumESD_lEEEE10hipError_tPvRmT1_T2_T3_mT4_P12ihipStream_tbEUlT_E1_NS1_11comp_targetILNS1_3genE5ELNS1_11target_archE942ELNS1_3gpuE9ELNS1_3repE0EEENS1_30default_config_static_selectorELNS0_4arch9wavefront6targetE1EEEvSM_
	.p2align	8
	.type	_ZN7rocprim17ROCPRIM_400000_NS6detail17trampoline_kernelINS0_14default_configENS1_22reduce_config_selectorIbEEZNS1_11reduce_implILb1ES3_N6hipcub16HIPCUB_304000_NS22TransformInputIteratorIb7NonZeroIfEPflEEPllNS8_6detail34convert_binary_result_type_wrapperINS8_3SumESD_lEEEE10hipError_tPvRmT1_T2_T3_mT4_P12ihipStream_tbEUlT_E1_NS1_11comp_targetILNS1_3genE5ELNS1_11target_archE942ELNS1_3gpuE9ELNS1_3repE0EEENS1_30default_config_static_selectorELNS0_4arch9wavefront6targetE1EEEvSM_,@function
_ZN7rocprim17ROCPRIM_400000_NS6detail17trampoline_kernelINS0_14default_configENS1_22reduce_config_selectorIbEEZNS1_11reduce_implILb1ES3_N6hipcub16HIPCUB_304000_NS22TransformInputIteratorIb7NonZeroIfEPflEEPllNS8_6detail34convert_binary_result_type_wrapperINS8_3SumESD_lEEEE10hipError_tPvRmT1_T2_T3_mT4_P12ihipStream_tbEUlT_E1_NS1_11comp_targetILNS1_3genE5ELNS1_11target_archE942ELNS1_3gpuE9ELNS1_3repE0EEENS1_30default_config_static_selectorELNS0_4arch9wavefront6targetE1EEEvSM_: ; @_ZN7rocprim17ROCPRIM_400000_NS6detail17trampoline_kernelINS0_14default_configENS1_22reduce_config_selectorIbEEZNS1_11reduce_implILb1ES3_N6hipcub16HIPCUB_304000_NS22TransformInputIteratorIb7NonZeroIfEPflEEPllNS8_6detail34convert_binary_result_type_wrapperINS8_3SumESD_lEEEE10hipError_tPvRmT1_T2_T3_mT4_P12ihipStream_tbEUlT_E1_NS1_11comp_targetILNS1_3genE5ELNS1_11target_archE942ELNS1_3gpuE9ELNS1_3repE0EEENS1_30default_config_static_selectorELNS0_4arch9wavefront6targetE1EEEvSM_
; %bb.0:
	.section	.rodata,"a",@progbits
	.p2align	6, 0x0
	.amdhsa_kernel _ZN7rocprim17ROCPRIM_400000_NS6detail17trampoline_kernelINS0_14default_configENS1_22reduce_config_selectorIbEEZNS1_11reduce_implILb1ES3_N6hipcub16HIPCUB_304000_NS22TransformInputIteratorIb7NonZeroIfEPflEEPllNS8_6detail34convert_binary_result_type_wrapperINS8_3SumESD_lEEEE10hipError_tPvRmT1_T2_T3_mT4_P12ihipStream_tbEUlT_E1_NS1_11comp_targetILNS1_3genE5ELNS1_11target_archE942ELNS1_3gpuE9ELNS1_3repE0EEENS1_30default_config_static_selectorELNS0_4arch9wavefront6targetE1EEEvSM_
		.amdhsa_group_segment_fixed_size 0
		.amdhsa_private_segment_fixed_size 0
		.amdhsa_kernarg_size 56
		.amdhsa_user_sgpr_count 2
		.amdhsa_user_sgpr_dispatch_ptr 0
		.amdhsa_user_sgpr_queue_ptr 0
		.amdhsa_user_sgpr_kernarg_segment_ptr 1
		.amdhsa_user_sgpr_dispatch_id 0
		.amdhsa_user_sgpr_kernarg_preload_length 0
		.amdhsa_user_sgpr_kernarg_preload_offset 0
		.amdhsa_user_sgpr_private_segment_size 0
		.amdhsa_uses_dynamic_stack 0
		.amdhsa_enable_private_segment 0
		.amdhsa_system_sgpr_workgroup_id_x 1
		.amdhsa_system_sgpr_workgroup_id_y 0
		.amdhsa_system_sgpr_workgroup_id_z 0
		.amdhsa_system_sgpr_workgroup_info 0
		.amdhsa_system_vgpr_workitem_id 0
		.amdhsa_next_free_vgpr 1
		.amdhsa_next_free_sgpr 0
		.amdhsa_accum_offset 4
		.amdhsa_reserve_vcc 0
		.amdhsa_float_round_mode_32 0
		.amdhsa_float_round_mode_16_64 0
		.amdhsa_float_denorm_mode_32 3
		.amdhsa_float_denorm_mode_16_64 3
		.amdhsa_dx10_clamp 1
		.amdhsa_ieee_mode 1
		.amdhsa_fp16_overflow 0
		.amdhsa_tg_split 0
		.amdhsa_exception_fp_ieee_invalid_op 0
		.amdhsa_exception_fp_denorm_src 0
		.amdhsa_exception_fp_ieee_div_zero 0
		.amdhsa_exception_fp_ieee_overflow 0
		.amdhsa_exception_fp_ieee_underflow 0
		.amdhsa_exception_fp_ieee_inexact 0
		.amdhsa_exception_int_div_zero 0
	.end_amdhsa_kernel
	.section	.text._ZN7rocprim17ROCPRIM_400000_NS6detail17trampoline_kernelINS0_14default_configENS1_22reduce_config_selectorIbEEZNS1_11reduce_implILb1ES3_N6hipcub16HIPCUB_304000_NS22TransformInputIteratorIb7NonZeroIfEPflEEPllNS8_6detail34convert_binary_result_type_wrapperINS8_3SumESD_lEEEE10hipError_tPvRmT1_T2_T3_mT4_P12ihipStream_tbEUlT_E1_NS1_11comp_targetILNS1_3genE5ELNS1_11target_archE942ELNS1_3gpuE9ELNS1_3repE0EEENS1_30default_config_static_selectorELNS0_4arch9wavefront6targetE1EEEvSM_,"axG",@progbits,_ZN7rocprim17ROCPRIM_400000_NS6detail17trampoline_kernelINS0_14default_configENS1_22reduce_config_selectorIbEEZNS1_11reduce_implILb1ES3_N6hipcub16HIPCUB_304000_NS22TransformInputIteratorIb7NonZeroIfEPflEEPllNS8_6detail34convert_binary_result_type_wrapperINS8_3SumESD_lEEEE10hipError_tPvRmT1_T2_T3_mT4_P12ihipStream_tbEUlT_E1_NS1_11comp_targetILNS1_3genE5ELNS1_11target_archE942ELNS1_3gpuE9ELNS1_3repE0EEENS1_30default_config_static_selectorELNS0_4arch9wavefront6targetE1EEEvSM_,comdat
.Lfunc_end245:
	.size	_ZN7rocprim17ROCPRIM_400000_NS6detail17trampoline_kernelINS0_14default_configENS1_22reduce_config_selectorIbEEZNS1_11reduce_implILb1ES3_N6hipcub16HIPCUB_304000_NS22TransformInputIteratorIb7NonZeroIfEPflEEPllNS8_6detail34convert_binary_result_type_wrapperINS8_3SumESD_lEEEE10hipError_tPvRmT1_T2_T3_mT4_P12ihipStream_tbEUlT_E1_NS1_11comp_targetILNS1_3genE5ELNS1_11target_archE942ELNS1_3gpuE9ELNS1_3repE0EEENS1_30default_config_static_selectorELNS0_4arch9wavefront6targetE1EEEvSM_, .Lfunc_end245-_ZN7rocprim17ROCPRIM_400000_NS6detail17trampoline_kernelINS0_14default_configENS1_22reduce_config_selectorIbEEZNS1_11reduce_implILb1ES3_N6hipcub16HIPCUB_304000_NS22TransformInputIteratorIb7NonZeroIfEPflEEPllNS8_6detail34convert_binary_result_type_wrapperINS8_3SumESD_lEEEE10hipError_tPvRmT1_T2_T3_mT4_P12ihipStream_tbEUlT_E1_NS1_11comp_targetILNS1_3genE5ELNS1_11target_archE942ELNS1_3gpuE9ELNS1_3repE0EEENS1_30default_config_static_selectorELNS0_4arch9wavefront6targetE1EEEvSM_
                                        ; -- End function
	.set _ZN7rocprim17ROCPRIM_400000_NS6detail17trampoline_kernelINS0_14default_configENS1_22reduce_config_selectorIbEEZNS1_11reduce_implILb1ES3_N6hipcub16HIPCUB_304000_NS22TransformInputIteratorIb7NonZeroIfEPflEEPllNS8_6detail34convert_binary_result_type_wrapperINS8_3SumESD_lEEEE10hipError_tPvRmT1_T2_T3_mT4_P12ihipStream_tbEUlT_E1_NS1_11comp_targetILNS1_3genE5ELNS1_11target_archE942ELNS1_3gpuE9ELNS1_3repE0EEENS1_30default_config_static_selectorELNS0_4arch9wavefront6targetE1EEEvSM_.num_vgpr, 0
	.set _ZN7rocprim17ROCPRIM_400000_NS6detail17trampoline_kernelINS0_14default_configENS1_22reduce_config_selectorIbEEZNS1_11reduce_implILb1ES3_N6hipcub16HIPCUB_304000_NS22TransformInputIteratorIb7NonZeroIfEPflEEPllNS8_6detail34convert_binary_result_type_wrapperINS8_3SumESD_lEEEE10hipError_tPvRmT1_T2_T3_mT4_P12ihipStream_tbEUlT_E1_NS1_11comp_targetILNS1_3genE5ELNS1_11target_archE942ELNS1_3gpuE9ELNS1_3repE0EEENS1_30default_config_static_selectorELNS0_4arch9wavefront6targetE1EEEvSM_.num_agpr, 0
	.set _ZN7rocprim17ROCPRIM_400000_NS6detail17trampoline_kernelINS0_14default_configENS1_22reduce_config_selectorIbEEZNS1_11reduce_implILb1ES3_N6hipcub16HIPCUB_304000_NS22TransformInputIteratorIb7NonZeroIfEPflEEPllNS8_6detail34convert_binary_result_type_wrapperINS8_3SumESD_lEEEE10hipError_tPvRmT1_T2_T3_mT4_P12ihipStream_tbEUlT_E1_NS1_11comp_targetILNS1_3genE5ELNS1_11target_archE942ELNS1_3gpuE9ELNS1_3repE0EEENS1_30default_config_static_selectorELNS0_4arch9wavefront6targetE1EEEvSM_.numbered_sgpr, 0
	.set _ZN7rocprim17ROCPRIM_400000_NS6detail17trampoline_kernelINS0_14default_configENS1_22reduce_config_selectorIbEEZNS1_11reduce_implILb1ES3_N6hipcub16HIPCUB_304000_NS22TransformInputIteratorIb7NonZeroIfEPflEEPllNS8_6detail34convert_binary_result_type_wrapperINS8_3SumESD_lEEEE10hipError_tPvRmT1_T2_T3_mT4_P12ihipStream_tbEUlT_E1_NS1_11comp_targetILNS1_3genE5ELNS1_11target_archE942ELNS1_3gpuE9ELNS1_3repE0EEENS1_30default_config_static_selectorELNS0_4arch9wavefront6targetE1EEEvSM_.num_named_barrier, 0
	.set _ZN7rocprim17ROCPRIM_400000_NS6detail17trampoline_kernelINS0_14default_configENS1_22reduce_config_selectorIbEEZNS1_11reduce_implILb1ES3_N6hipcub16HIPCUB_304000_NS22TransformInputIteratorIb7NonZeroIfEPflEEPllNS8_6detail34convert_binary_result_type_wrapperINS8_3SumESD_lEEEE10hipError_tPvRmT1_T2_T3_mT4_P12ihipStream_tbEUlT_E1_NS1_11comp_targetILNS1_3genE5ELNS1_11target_archE942ELNS1_3gpuE9ELNS1_3repE0EEENS1_30default_config_static_selectorELNS0_4arch9wavefront6targetE1EEEvSM_.private_seg_size, 0
	.set _ZN7rocprim17ROCPRIM_400000_NS6detail17trampoline_kernelINS0_14default_configENS1_22reduce_config_selectorIbEEZNS1_11reduce_implILb1ES3_N6hipcub16HIPCUB_304000_NS22TransformInputIteratorIb7NonZeroIfEPflEEPllNS8_6detail34convert_binary_result_type_wrapperINS8_3SumESD_lEEEE10hipError_tPvRmT1_T2_T3_mT4_P12ihipStream_tbEUlT_E1_NS1_11comp_targetILNS1_3genE5ELNS1_11target_archE942ELNS1_3gpuE9ELNS1_3repE0EEENS1_30default_config_static_selectorELNS0_4arch9wavefront6targetE1EEEvSM_.uses_vcc, 0
	.set _ZN7rocprim17ROCPRIM_400000_NS6detail17trampoline_kernelINS0_14default_configENS1_22reduce_config_selectorIbEEZNS1_11reduce_implILb1ES3_N6hipcub16HIPCUB_304000_NS22TransformInputIteratorIb7NonZeroIfEPflEEPllNS8_6detail34convert_binary_result_type_wrapperINS8_3SumESD_lEEEE10hipError_tPvRmT1_T2_T3_mT4_P12ihipStream_tbEUlT_E1_NS1_11comp_targetILNS1_3genE5ELNS1_11target_archE942ELNS1_3gpuE9ELNS1_3repE0EEENS1_30default_config_static_selectorELNS0_4arch9wavefront6targetE1EEEvSM_.uses_flat_scratch, 0
	.set _ZN7rocprim17ROCPRIM_400000_NS6detail17trampoline_kernelINS0_14default_configENS1_22reduce_config_selectorIbEEZNS1_11reduce_implILb1ES3_N6hipcub16HIPCUB_304000_NS22TransformInputIteratorIb7NonZeroIfEPflEEPllNS8_6detail34convert_binary_result_type_wrapperINS8_3SumESD_lEEEE10hipError_tPvRmT1_T2_T3_mT4_P12ihipStream_tbEUlT_E1_NS1_11comp_targetILNS1_3genE5ELNS1_11target_archE942ELNS1_3gpuE9ELNS1_3repE0EEENS1_30default_config_static_selectorELNS0_4arch9wavefront6targetE1EEEvSM_.has_dyn_sized_stack, 0
	.set _ZN7rocprim17ROCPRIM_400000_NS6detail17trampoline_kernelINS0_14default_configENS1_22reduce_config_selectorIbEEZNS1_11reduce_implILb1ES3_N6hipcub16HIPCUB_304000_NS22TransformInputIteratorIb7NonZeroIfEPflEEPllNS8_6detail34convert_binary_result_type_wrapperINS8_3SumESD_lEEEE10hipError_tPvRmT1_T2_T3_mT4_P12ihipStream_tbEUlT_E1_NS1_11comp_targetILNS1_3genE5ELNS1_11target_archE942ELNS1_3gpuE9ELNS1_3repE0EEENS1_30default_config_static_selectorELNS0_4arch9wavefront6targetE1EEEvSM_.has_recursion, 0
	.set _ZN7rocprim17ROCPRIM_400000_NS6detail17trampoline_kernelINS0_14default_configENS1_22reduce_config_selectorIbEEZNS1_11reduce_implILb1ES3_N6hipcub16HIPCUB_304000_NS22TransformInputIteratorIb7NonZeroIfEPflEEPllNS8_6detail34convert_binary_result_type_wrapperINS8_3SumESD_lEEEE10hipError_tPvRmT1_T2_T3_mT4_P12ihipStream_tbEUlT_E1_NS1_11comp_targetILNS1_3genE5ELNS1_11target_archE942ELNS1_3gpuE9ELNS1_3repE0EEENS1_30default_config_static_selectorELNS0_4arch9wavefront6targetE1EEEvSM_.has_indirect_call, 0
	.section	.AMDGPU.csdata,"",@progbits
; Kernel info:
; codeLenInByte = 0
; TotalNumSgprs: 6
; NumVgprs: 0
; NumAgprs: 0
; TotalNumVgprs: 0
; ScratchSize: 0
; MemoryBound: 0
; FloatMode: 240
; IeeeMode: 1
; LDSByteSize: 0 bytes/workgroup (compile time only)
; SGPRBlocks: 0
; VGPRBlocks: 0
; NumSGPRsForWavesPerEU: 6
; NumVGPRsForWavesPerEU: 1
; AccumOffset: 4
; Occupancy: 8
; WaveLimiterHint : 0
; COMPUTE_PGM_RSRC2:SCRATCH_EN: 0
; COMPUTE_PGM_RSRC2:USER_SGPR: 2
; COMPUTE_PGM_RSRC2:TRAP_HANDLER: 0
; COMPUTE_PGM_RSRC2:TGID_X_EN: 1
; COMPUTE_PGM_RSRC2:TGID_Y_EN: 0
; COMPUTE_PGM_RSRC2:TGID_Z_EN: 0
; COMPUTE_PGM_RSRC2:TIDIG_COMP_CNT: 0
; COMPUTE_PGM_RSRC3_GFX90A:ACCUM_OFFSET: 0
; COMPUTE_PGM_RSRC3_GFX90A:TG_SPLIT: 0
	.section	.text._ZN7rocprim17ROCPRIM_400000_NS6detail17trampoline_kernelINS0_14default_configENS1_22reduce_config_selectorIbEEZNS1_11reduce_implILb1ES3_N6hipcub16HIPCUB_304000_NS22TransformInputIteratorIb7NonZeroIfEPflEEPllNS8_6detail34convert_binary_result_type_wrapperINS8_3SumESD_lEEEE10hipError_tPvRmT1_T2_T3_mT4_P12ihipStream_tbEUlT_E1_NS1_11comp_targetILNS1_3genE4ELNS1_11target_archE910ELNS1_3gpuE8ELNS1_3repE0EEENS1_30default_config_static_selectorELNS0_4arch9wavefront6targetE1EEEvSM_,"axG",@progbits,_ZN7rocprim17ROCPRIM_400000_NS6detail17trampoline_kernelINS0_14default_configENS1_22reduce_config_selectorIbEEZNS1_11reduce_implILb1ES3_N6hipcub16HIPCUB_304000_NS22TransformInputIteratorIb7NonZeroIfEPflEEPllNS8_6detail34convert_binary_result_type_wrapperINS8_3SumESD_lEEEE10hipError_tPvRmT1_T2_T3_mT4_P12ihipStream_tbEUlT_E1_NS1_11comp_targetILNS1_3genE4ELNS1_11target_archE910ELNS1_3gpuE8ELNS1_3repE0EEENS1_30default_config_static_selectorELNS0_4arch9wavefront6targetE1EEEvSM_,comdat
	.protected	_ZN7rocprim17ROCPRIM_400000_NS6detail17trampoline_kernelINS0_14default_configENS1_22reduce_config_selectorIbEEZNS1_11reduce_implILb1ES3_N6hipcub16HIPCUB_304000_NS22TransformInputIteratorIb7NonZeroIfEPflEEPllNS8_6detail34convert_binary_result_type_wrapperINS8_3SumESD_lEEEE10hipError_tPvRmT1_T2_T3_mT4_P12ihipStream_tbEUlT_E1_NS1_11comp_targetILNS1_3genE4ELNS1_11target_archE910ELNS1_3gpuE8ELNS1_3repE0EEENS1_30default_config_static_selectorELNS0_4arch9wavefront6targetE1EEEvSM_ ; -- Begin function _ZN7rocprim17ROCPRIM_400000_NS6detail17trampoline_kernelINS0_14default_configENS1_22reduce_config_selectorIbEEZNS1_11reduce_implILb1ES3_N6hipcub16HIPCUB_304000_NS22TransformInputIteratorIb7NonZeroIfEPflEEPllNS8_6detail34convert_binary_result_type_wrapperINS8_3SumESD_lEEEE10hipError_tPvRmT1_T2_T3_mT4_P12ihipStream_tbEUlT_E1_NS1_11comp_targetILNS1_3genE4ELNS1_11target_archE910ELNS1_3gpuE8ELNS1_3repE0EEENS1_30default_config_static_selectorELNS0_4arch9wavefront6targetE1EEEvSM_
	.globl	_ZN7rocprim17ROCPRIM_400000_NS6detail17trampoline_kernelINS0_14default_configENS1_22reduce_config_selectorIbEEZNS1_11reduce_implILb1ES3_N6hipcub16HIPCUB_304000_NS22TransformInputIteratorIb7NonZeroIfEPflEEPllNS8_6detail34convert_binary_result_type_wrapperINS8_3SumESD_lEEEE10hipError_tPvRmT1_T2_T3_mT4_P12ihipStream_tbEUlT_E1_NS1_11comp_targetILNS1_3genE4ELNS1_11target_archE910ELNS1_3gpuE8ELNS1_3repE0EEENS1_30default_config_static_selectorELNS0_4arch9wavefront6targetE1EEEvSM_
	.p2align	8
	.type	_ZN7rocprim17ROCPRIM_400000_NS6detail17trampoline_kernelINS0_14default_configENS1_22reduce_config_selectorIbEEZNS1_11reduce_implILb1ES3_N6hipcub16HIPCUB_304000_NS22TransformInputIteratorIb7NonZeroIfEPflEEPllNS8_6detail34convert_binary_result_type_wrapperINS8_3SumESD_lEEEE10hipError_tPvRmT1_T2_T3_mT4_P12ihipStream_tbEUlT_E1_NS1_11comp_targetILNS1_3genE4ELNS1_11target_archE910ELNS1_3gpuE8ELNS1_3repE0EEENS1_30default_config_static_selectorELNS0_4arch9wavefront6targetE1EEEvSM_,@function
_ZN7rocprim17ROCPRIM_400000_NS6detail17trampoline_kernelINS0_14default_configENS1_22reduce_config_selectorIbEEZNS1_11reduce_implILb1ES3_N6hipcub16HIPCUB_304000_NS22TransformInputIteratorIb7NonZeroIfEPflEEPllNS8_6detail34convert_binary_result_type_wrapperINS8_3SumESD_lEEEE10hipError_tPvRmT1_T2_T3_mT4_P12ihipStream_tbEUlT_E1_NS1_11comp_targetILNS1_3genE4ELNS1_11target_archE910ELNS1_3gpuE8ELNS1_3repE0EEENS1_30default_config_static_selectorELNS0_4arch9wavefront6targetE1EEEvSM_: ; @_ZN7rocprim17ROCPRIM_400000_NS6detail17trampoline_kernelINS0_14default_configENS1_22reduce_config_selectorIbEEZNS1_11reduce_implILb1ES3_N6hipcub16HIPCUB_304000_NS22TransformInputIteratorIb7NonZeroIfEPflEEPllNS8_6detail34convert_binary_result_type_wrapperINS8_3SumESD_lEEEE10hipError_tPvRmT1_T2_T3_mT4_P12ihipStream_tbEUlT_E1_NS1_11comp_targetILNS1_3genE4ELNS1_11target_archE910ELNS1_3gpuE8ELNS1_3repE0EEENS1_30default_config_static_selectorELNS0_4arch9wavefront6targetE1EEEvSM_
; %bb.0:
	.section	.rodata,"a",@progbits
	.p2align	6, 0x0
	.amdhsa_kernel _ZN7rocprim17ROCPRIM_400000_NS6detail17trampoline_kernelINS0_14default_configENS1_22reduce_config_selectorIbEEZNS1_11reduce_implILb1ES3_N6hipcub16HIPCUB_304000_NS22TransformInputIteratorIb7NonZeroIfEPflEEPllNS8_6detail34convert_binary_result_type_wrapperINS8_3SumESD_lEEEE10hipError_tPvRmT1_T2_T3_mT4_P12ihipStream_tbEUlT_E1_NS1_11comp_targetILNS1_3genE4ELNS1_11target_archE910ELNS1_3gpuE8ELNS1_3repE0EEENS1_30default_config_static_selectorELNS0_4arch9wavefront6targetE1EEEvSM_
		.amdhsa_group_segment_fixed_size 0
		.amdhsa_private_segment_fixed_size 0
		.amdhsa_kernarg_size 56
		.amdhsa_user_sgpr_count 2
		.amdhsa_user_sgpr_dispatch_ptr 0
		.amdhsa_user_sgpr_queue_ptr 0
		.amdhsa_user_sgpr_kernarg_segment_ptr 1
		.amdhsa_user_sgpr_dispatch_id 0
		.amdhsa_user_sgpr_kernarg_preload_length 0
		.amdhsa_user_sgpr_kernarg_preload_offset 0
		.amdhsa_user_sgpr_private_segment_size 0
		.amdhsa_uses_dynamic_stack 0
		.amdhsa_enable_private_segment 0
		.amdhsa_system_sgpr_workgroup_id_x 1
		.amdhsa_system_sgpr_workgroup_id_y 0
		.amdhsa_system_sgpr_workgroup_id_z 0
		.amdhsa_system_sgpr_workgroup_info 0
		.amdhsa_system_vgpr_workitem_id 0
		.amdhsa_next_free_vgpr 1
		.amdhsa_next_free_sgpr 0
		.amdhsa_accum_offset 4
		.amdhsa_reserve_vcc 0
		.amdhsa_float_round_mode_32 0
		.amdhsa_float_round_mode_16_64 0
		.amdhsa_float_denorm_mode_32 3
		.amdhsa_float_denorm_mode_16_64 3
		.amdhsa_dx10_clamp 1
		.amdhsa_ieee_mode 1
		.amdhsa_fp16_overflow 0
		.amdhsa_tg_split 0
		.amdhsa_exception_fp_ieee_invalid_op 0
		.amdhsa_exception_fp_denorm_src 0
		.amdhsa_exception_fp_ieee_div_zero 0
		.amdhsa_exception_fp_ieee_overflow 0
		.amdhsa_exception_fp_ieee_underflow 0
		.amdhsa_exception_fp_ieee_inexact 0
		.amdhsa_exception_int_div_zero 0
	.end_amdhsa_kernel
	.section	.text._ZN7rocprim17ROCPRIM_400000_NS6detail17trampoline_kernelINS0_14default_configENS1_22reduce_config_selectorIbEEZNS1_11reduce_implILb1ES3_N6hipcub16HIPCUB_304000_NS22TransformInputIteratorIb7NonZeroIfEPflEEPllNS8_6detail34convert_binary_result_type_wrapperINS8_3SumESD_lEEEE10hipError_tPvRmT1_T2_T3_mT4_P12ihipStream_tbEUlT_E1_NS1_11comp_targetILNS1_3genE4ELNS1_11target_archE910ELNS1_3gpuE8ELNS1_3repE0EEENS1_30default_config_static_selectorELNS0_4arch9wavefront6targetE1EEEvSM_,"axG",@progbits,_ZN7rocprim17ROCPRIM_400000_NS6detail17trampoline_kernelINS0_14default_configENS1_22reduce_config_selectorIbEEZNS1_11reduce_implILb1ES3_N6hipcub16HIPCUB_304000_NS22TransformInputIteratorIb7NonZeroIfEPflEEPllNS8_6detail34convert_binary_result_type_wrapperINS8_3SumESD_lEEEE10hipError_tPvRmT1_T2_T3_mT4_P12ihipStream_tbEUlT_E1_NS1_11comp_targetILNS1_3genE4ELNS1_11target_archE910ELNS1_3gpuE8ELNS1_3repE0EEENS1_30default_config_static_selectorELNS0_4arch9wavefront6targetE1EEEvSM_,comdat
.Lfunc_end246:
	.size	_ZN7rocprim17ROCPRIM_400000_NS6detail17trampoline_kernelINS0_14default_configENS1_22reduce_config_selectorIbEEZNS1_11reduce_implILb1ES3_N6hipcub16HIPCUB_304000_NS22TransformInputIteratorIb7NonZeroIfEPflEEPllNS8_6detail34convert_binary_result_type_wrapperINS8_3SumESD_lEEEE10hipError_tPvRmT1_T2_T3_mT4_P12ihipStream_tbEUlT_E1_NS1_11comp_targetILNS1_3genE4ELNS1_11target_archE910ELNS1_3gpuE8ELNS1_3repE0EEENS1_30default_config_static_selectorELNS0_4arch9wavefront6targetE1EEEvSM_, .Lfunc_end246-_ZN7rocprim17ROCPRIM_400000_NS6detail17trampoline_kernelINS0_14default_configENS1_22reduce_config_selectorIbEEZNS1_11reduce_implILb1ES3_N6hipcub16HIPCUB_304000_NS22TransformInputIteratorIb7NonZeroIfEPflEEPllNS8_6detail34convert_binary_result_type_wrapperINS8_3SumESD_lEEEE10hipError_tPvRmT1_T2_T3_mT4_P12ihipStream_tbEUlT_E1_NS1_11comp_targetILNS1_3genE4ELNS1_11target_archE910ELNS1_3gpuE8ELNS1_3repE0EEENS1_30default_config_static_selectorELNS0_4arch9wavefront6targetE1EEEvSM_
                                        ; -- End function
	.set _ZN7rocprim17ROCPRIM_400000_NS6detail17trampoline_kernelINS0_14default_configENS1_22reduce_config_selectorIbEEZNS1_11reduce_implILb1ES3_N6hipcub16HIPCUB_304000_NS22TransformInputIteratorIb7NonZeroIfEPflEEPllNS8_6detail34convert_binary_result_type_wrapperINS8_3SumESD_lEEEE10hipError_tPvRmT1_T2_T3_mT4_P12ihipStream_tbEUlT_E1_NS1_11comp_targetILNS1_3genE4ELNS1_11target_archE910ELNS1_3gpuE8ELNS1_3repE0EEENS1_30default_config_static_selectorELNS0_4arch9wavefront6targetE1EEEvSM_.num_vgpr, 0
	.set _ZN7rocprim17ROCPRIM_400000_NS6detail17trampoline_kernelINS0_14default_configENS1_22reduce_config_selectorIbEEZNS1_11reduce_implILb1ES3_N6hipcub16HIPCUB_304000_NS22TransformInputIteratorIb7NonZeroIfEPflEEPllNS8_6detail34convert_binary_result_type_wrapperINS8_3SumESD_lEEEE10hipError_tPvRmT1_T2_T3_mT4_P12ihipStream_tbEUlT_E1_NS1_11comp_targetILNS1_3genE4ELNS1_11target_archE910ELNS1_3gpuE8ELNS1_3repE0EEENS1_30default_config_static_selectorELNS0_4arch9wavefront6targetE1EEEvSM_.num_agpr, 0
	.set _ZN7rocprim17ROCPRIM_400000_NS6detail17trampoline_kernelINS0_14default_configENS1_22reduce_config_selectorIbEEZNS1_11reduce_implILb1ES3_N6hipcub16HIPCUB_304000_NS22TransformInputIteratorIb7NonZeroIfEPflEEPllNS8_6detail34convert_binary_result_type_wrapperINS8_3SumESD_lEEEE10hipError_tPvRmT1_T2_T3_mT4_P12ihipStream_tbEUlT_E1_NS1_11comp_targetILNS1_3genE4ELNS1_11target_archE910ELNS1_3gpuE8ELNS1_3repE0EEENS1_30default_config_static_selectorELNS0_4arch9wavefront6targetE1EEEvSM_.numbered_sgpr, 0
	.set _ZN7rocprim17ROCPRIM_400000_NS6detail17trampoline_kernelINS0_14default_configENS1_22reduce_config_selectorIbEEZNS1_11reduce_implILb1ES3_N6hipcub16HIPCUB_304000_NS22TransformInputIteratorIb7NonZeroIfEPflEEPllNS8_6detail34convert_binary_result_type_wrapperINS8_3SumESD_lEEEE10hipError_tPvRmT1_T2_T3_mT4_P12ihipStream_tbEUlT_E1_NS1_11comp_targetILNS1_3genE4ELNS1_11target_archE910ELNS1_3gpuE8ELNS1_3repE0EEENS1_30default_config_static_selectorELNS0_4arch9wavefront6targetE1EEEvSM_.num_named_barrier, 0
	.set _ZN7rocprim17ROCPRIM_400000_NS6detail17trampoline_kernelINS0_14default_configENS1_22reduce_config_selectorIbEEZNS1_11reduce_implILb1ES3_N6hipcub16HIPCUB_304000_NS22TransformInputIteratorIb7NonZeroIfEPflEEPllNS8_6detail34convert_binary_result_type_wrapperINS8_3SumESD_lEEEE10hipError_tPvRmT1_T2_T3_mT4_P12ihipStream_tbEUlT_E1_NS1_11comp_targetILNS1_3genE4ELNS1_11target_archE910ELNS1_3gpuE8ELNS1_3repE0EEENS1_30default_config_static_selectorELNS0_4arch9wavefront6targetE1EEEvSM_.private_seg_size, 0
	.set _ZN7rocprim17ROCPRIM_400000_NS6detail17trampoline_kernelINS0_14default_configENS1_22reduce_config_selectorIbEEZNS1_11reduce_implILb1ES3_N6hipcub16HIPCUB_304000_NS22TransformInputIteratorIb7NonZeroIfEPflEEPllNS8_6detail34convert_binary_result_type_wrapperINS8_3SumESD_lEEEE10hipError_tPvRmT1_T2_T3_mT4_P12ihipStream_tbEUlT_E1_NS1_11comp_targetILNS1_3genE4ELNS1_11target_archE910ELNS1_3gpuE8ELNS1_3repE0EEENS1_30default_config_static_selectorELNS0_4arch9wavefront6targetE1EEEvSM_.uses_vcc, 0
	.set _ZN7rocprim17ROCPRIM_400000_NS6detail17trampoline_kernelINS0_14default_configENS1_22reduce_config_selectorIbEEZNS1_11reduce_implILb1ES3_N6hipcub16HIPCUB_304000_NS22TransformInputIteratorIb7NonZeroIfEPflEEPllNS8_6detail34convert_binary_result_type_wrapperINS8_3SumESD_lEEEE10hipError_tPvRmT1_T2_T3_mT4_P12ihipStream_tbEUlT_E1_NS1_11comp_targetILNS1_3genE4ELNS1_11target_archE910ELNS1_3gpuE8ELNS1_3repE0EEENS1_30default_config_static_selectorELNS0_4arch9wavefront6targetE1EEEvSM_.uses_flat_scratch, 0
	.set _ZN7rocprim17ROCPRIM_400000_NS6detail17trampoline_kernelINS0_14default_configENS1_22reduce_config_selectorIbEEZNS1_11reduce_implILb1ES3_N6hipcub16HIPCUB_304000_NS22TransformInputIteratorIb7NonZeroIfEPflEEPllNS8_6detail34convert_binary_result_type_wrapperINS8_3SumESD_lEEEE10hipError_tPvRmT1_T2_T3_mT4_P12ihipStream_tbEUlT_E1_NS1_11comp_targetILNS1_3genE4ELNS1_11target_archE910ELNS1_3gpuE8ELNS1_3repE0EEENS1_30default_config_static_selectorELNS0_4arch9wavefront6targetE1EEEvSM_.has_dyn_sized_stack, 0
	.set _ZN7rocprim17ROCPRIM_400000_NS6detail17trampoline_kernelINS0_14default_configENS1_22reduce_config_selectorIbEEZNS1_11reduce_implILb1ES3_N6hipcub16HIPCUB_304000_NS22TransformInputIteratorIb7NonZeroIfEPflEEPllNS8_6detail34convert_binary_result_type_wrapperINS8_3SumESD_lEEEE10hipError_tPvRmT1_T2_T3_mT4_P12ihipStream_tbEUlT_E1_NS1_11comp_targetILNS1_3genE4ELNS1_11target_archE910ELNS1_3gpuE8ELNS1_3repE0EEENS1_30default_config_static_selectorELNS0_4arch9wavefront6targetE1EEEvSM_.has_recursion, 0
	.set _ZN7rocprim17ROCPRIM_400000_NS6detail17trampoline_kernelINS0_14default_configENS1_22reduce_config_selectorIbEEZNS1_11reduce_implILb1ES3_N6hipcub16HIPCUB_304000_NS22TransformInputIteratorIb7NonZeroIfEPflEEPllNS8_6detail34convert_binary_result_type_wrapperINS8_3SumESD_lEEEE10hipError_tPvRmT1_T2_T3_mT4_P12ihipStream_tbEUlT_E1_NS1_11comp_targetILNS1_3genE4ELNS1_11target_archE910ELNS1_3gpuE8ELNS1_3repE0EEENS1_30default_config_static_selectorELNS0_4arch9wavefront6targetE1EEEvSM_.has_indirect_call, 0
	.section	.AMDGPU.csdata,"",@progbits
; Kernel info:
; codeLenInByte = 0
; TotalNumSgprs: 6
; NumVgprs: 0
; NumAgprs: 0
; TotalNumVgprs: 0
; ScratchSize: 0
; MemoryBound: 0
; FloatMode: 240
; IeeeMode: 1
; LDSByteSize: 0 bytes/workgroup (compile time only)
; SGPRBlocks: 0
; VGPRBlocks: 0
; NumSGPRsForWavesPerEU: 6
; NumVGPRsForWavesPerEU: 1
; AccumOffset: 4
; Occupancy: 8
; WaveLimiterHint : 0
; COMPUTE_PGM_RSRC2:SCRATCH_EN: 0
; COMPUTE_PGM_RSRC2:USER_SGPR: 2
; COMPUTE_PGM_RSRC2:TRAP_HANDLER: 0
; COMPUTE_PGM_RSRC2:TGID_X_EN: 1
; COMPUTE_PGM_RSRC2:TGID_Y_EN: 0
; COMPUTE_PGM_RSRC2:TGID_Z_EN: 0
; COMPUTE_PGM_RSRC2:TIDIG_COMP_CNT: 0
; COMPUTE_PGM_RSRC3_GFX90A:ACCUM_OFFSET: 0
; COMPUTE_PGM_RSRC3_GFX90A:TG_SPLIT: 0
	.section	.text._ZN7rocprim17ROCPRIM_400000_NS6detail17trampoline_kernelINS0_14default_configENS1_22reduce_config_selectorIbEEZNS1_11reduce_implILb1ES3_N6hipcub16HIPCUB_304000_NS22TransformInputIteratorIb7NonZeroIfEPflEEPllNS8_6detail34convert_binary_result_type_wrapperINS8_3SumESD_lEEEE10hipError_tPvRmT1_T2_T3_mT4_P12ihipStream_tbEUlT_E1_NS1_11comp_targetILNS1_3genE3ELNS1_11target_archE908ELNS1_3gpuE7ELNS1_3repE0EEENS1_30default_config_static_selectorELNS0_4arch9wavefront6targetE1EEEvSM_,"axG",@progbits,_ZN7rocprim17ROCPRIM_400000_NS6detail17trampoline_kernelINS0_14default_configENS1_22reduce_config_selectorIbEEZNS1_11reduce_implILb1ES3_N6hipcub16HIPCUB_304000_NS22TransformInputIteratorIb7NonZeroIfEPflEEPllNS8_6detail34convert_binary_result_type_wrapperINS8_3SumESD_lEEEE10hipError_tPvRmT1_T2_T3_mT4_P12ihipStream_tbEUlT_E1_NS1_11comp_targetILNS1_3genE3ELNS1_11target_archE908ELNS1_3gpuE7ELNS1_3repE0EEENS1_30default_config_static_selectorELNS0_4arch9wavefront6targetE1EEEvSM_,comdat
	.protected	_ZN7rocprim17ROCPRIM_400000_NS6detail17trampoline_kernelINS0_14default_configENS1_22reduce_config_selectorIbEEZNS1_11reduce_implILb1ES3_N6hipcub16HIPCUB_304000_NS22TransformInputIteratorIb7NonZeroIfEPflEEPllNS8_6detail34convert_binary_result_type_wrapperINS8_3SumESD_lEEEE10hipError_tPvRmT1_T2_T3_mT4_P12ihipStream_tbEUlT_E1_NS1_11comp_targetILNS1_3genE3ELNS1_11target_archE908ELNS1_3gpuE7ELNS1_3repE0EEENS1_30default_config_static_selectorELNS0_4arch9wavefront6targetE1EEEvSM_ ; -- Begin function _ZN7rocprim17ROCPRIM_400000_NS6detail17trampoline_kernelINS0_14default_configENS1_22reduce_config_selectorIbEEZNS1_11reduce_implILb1ES3_N6hipcub16HIPCUB_304000_NS22TransformInputIteratorIb7NonZeroIfEPflEEPllNS8_6detail34convert_binary_result_type_wrapperINS8_3SumESD_lEEEE10hipError_tPvRmT1_T2_T3_mT4_P12ihipStream_tbEUlT_E1_NS1_11comp_targetILNS1_3genE3ELNS1_11target_archE908ELNS1_3gpuE7ELNS1_3repE0EEENS1_30default_config_static_selectorELNS0_4arch9wavefront6targetE1EEEvSM_
	.globl	_ZN7rocprim17ROCPRIM_400000_NS6detail17trampoline_kernelINS0_14default_configENS1_22reduce_config_selectorIbEEZNS1_11reduce_implILb1ES3_N6hipcub16HIPCUB_304000_NS22TransformInputIteratorIb7NonZeroIfEPflEEPllNS8_6detail34convert_binary_result_type_wrapperINS8_3SumESD_lEEEE10hipError_tPvRmT1_T2_T3_mT4_P12ihipStream_tbEUlT_E1_NS1_11comp_targetILNS1_3genE3ELNS1_11target_archE908ELNS1_3gpuE7ELNS1_3repE0EEENS1_30default_config_static_selectorELNS0_4arch9wavefront6targetE1EEEvSM_
	.p2align	8
	.type	_ZN7rocprim17ROCPRIM_400000_NS6detail17trampoline_kernelINS0_14default_configENS1_22reduce_config_selectorIbEEZNS1_11reduce_implILb1ES3_N6hipcub16HIPCUB_304000_NS22TransformInputIteratorIb7NonZeroIfEPflEEPllNS8_6detail34convert_binary_result_type_wrapperINS8_3SumESD_lEEEE10hipError_tPvRmT1_T2_T3_mT4_P12ihipStream_tbEUlT_E1_NS1_11comp_targetILNS1_3genE3ELNS1_11target_archE908ELNS1_3gpuE7ELNS1_3repE0EEENS1_30default_config_static_selectorELNS0_4arch9wavefront6targetE1EEEvSM_,@function
_ZN7rocprim17ROCPRIM_400000_NS6detail17trampoline_kernelINS0_14default_configENS1_22reduce_config_selectorIbEEZNS1_11reduce_implILb1ES3_N6hipcub16HIPCUB_304000_NS22TransformInputIteratorIb7NonZeroIfEPflEEPllNS8_6detail34convert_binary_result_type_wrapperINS8_3SumESD_lEEEE10hipError_tPvRmT1_T2_T3_mT4_P12ihipStream_tbEUlT_E1_NS1_11comp_targetILNS1_3genE3ELNS1_11target_archE908ELNS1_3gpuE7ELNS1_3repE0EEENS1_30default_config_static_selectorELNS0_4arch9wavefront6targetE1EEEvSM_: ; @_ZN7rocprim17ROCPRIM_400000_NS6detail17trampoline_kernelINS0_14default_configENS1_22reduce_config_selectorIbEEZNS1_11reduce_implILb1ES3_N6hipcub16HIPCUB_304000_NS22TransformInputIteratorIb7NonZeroIfEPflEEPllNS8_6detail34convert_binary_result_type_wrapperINS8_3SumESD_lEEEE10hipError_tPvRmT1_T2_T3_mT4_P12ihipStream_tbEUlT_E1_NS1_11comp_targetILNS1_3genE3ELNS1_11target_archE908ELNS1_3gpuE7ELNS1_3repE0EEENS1_30default_config_static_selectorELNS0_4arch9wavefront6targetE1EEEvSM_
; %bb.0:
	.section	.rodata,"a",@progbits
	.p2align	6, 0x0
	.amdhsa_kernel _ZN7rocprim17ROCPRIM_400000_NS6detail17trampoline_kernelINS0_14default_configENS1_22reduce_config_selectorIbEEZNS1_11reduce_implILb1ES3_N6hipcub16HIPCUB_304000_NS22TransformInputIteratorIb7NonZeroIfEPflEEPllNS8_6detail34convert_binary_result_type_wrapperINS8_3SumESD_lEEEE10hipError_tPvRmT1_T2_T3_mT4_P12ihipStream_tbEUlT_E1_NS1_11comp_targetILNS1_3genE3ELNS1_11target_archE908ELNS1_3gpuE7ELNS1_3repE0EEENS1_30default_config_static_selectorELNS0_4arch9wavefront6targetE1EEEvSM_
		.amdhsa_group_segment_fixed_size 0
		.amdhsa_private_segment_fixed_size 0
		.amdhsa_kernarg_size 56
		.amdhsa_user_sgpr_count 2
		.amdhsa_user_sgpr_dispatch_ptr 0
		.amdhsa_user_sgpr_queue_ptr 0
		.amdhsa_user_sgpr_kernarg_segment_ptr 1
		.amdhsa_user_sgpr_dispatch_id 0
		.amdhsa_user_sgpr_kernarg_preload_length 0
		.amdhsa_user_sgpr_kernarg_preload_offset 0
		.amdhsa_user_sgpr_private_segment_size 0
		.amdhsa_uses_dynamic_stack 0
		.amdhsa_enable_private_segment 0
		.amdhsa_system_sgpr_workgroup_id_x 1
		.amdhsa_system_sgpr_workgroup_id_y 0
		.amdhsa_system_sgpr_workgroup_id_z 0
		.amdhsa_system_sgpr_workgroup_info 0
		.amdhsa_system_vgpr_workitem_id 0
		.amdhsa_next_free_vgpr 1
		.amdhsa_next_free_sgpr 0
		.amdhsa_accum_offset 4
		.amdhsa_reserve_vcc 0
		.amdhsa_float_round_mode_32 0
		.amdhsa_float_round_mode_16_64 0
		.amdhsa_float_denorm_mode_32 3
		.amdhsa_float_denorm_mode_16_64 3
		.amdhsa_dx10_clamp 1
		.amdhsa_ieee_mode 1
		.amdhsa_fp16_overflow 0
		.amdhsa_tg_split 0
		.amdhsa_exception_fp_ieee_invalid_op 0
		.amdhsa_exception_fp_denorm_src 0
		.amdhsa_exception_fp_ieee_div_zero 0
		.amdhsa_exception_fp_ieee_overflow 0
		.amdhsa_exception_fp_ieee_underflow 0
		.amdhsa_exception_fp_ieee_inexact 0
		.amdhsa_exception_int_div_zero 0
	.end_amdhsa_kernel
	.section	.text._ZN7rocprim17ROCPRIM_400000_NS6detail17trampoline_kernelINS0_14default_configENS1_22reduce_config_selectorIbEEZNS1_11reduce_implILb1ES3_N6hipcub16HIPCUB_304000_NS22TransformInputIteratorIb7NonZeroIfEPflEEPllNS8_6detail34convert_binary_result_type_wrapperINS8_3SumESD_lEEEE10hipError_tPvRmT1_T2_T3_mT4_P12ihipStream_tbEUlT_E1_NS1_11comp_targetILNS1_3genE3ELNS1_11target_archE908ELNS1_3gpuE7ELNS1_3repE0EEENS1_30default_config_static_selectorELNS0_4arch9wavefront6targetE1EEEvSM_,"axG",@progbits,_ZN7rocprim17ROCPRIM_400000_NS6detail17trampoline_kernelINS0_14default_configENS1_22reduce_config_selectorIbEEZNS1_11reduce_implILb1ES3_N6hipcub16HIPCUB_304000_NS22TransformInputIteratorIb7NonZeroIfEPflEEPllNS8_6detail34convert_binary_result_type_wrapperINS8_3SumESD_lEEEE10hipError_tPvRmT1_T2_T3_mT4_P12ihipStream_tbEUlT_E1_NS1_11comp_targetILNS1_3genE3ELNS1_11target_archE908ELNS1_3gpuE7ELNS1_3repE0EEENS1_30default_config_static_selectorELNS0_4arch9wavefront6targetE1EEEvSM_,comdat
.Lfunc_end247:
	.size	_ZN7rocprim17ROCPRIM_400000_NS6detail17trampoline_kernelINS0_14default_configENS1_22reduce_config_selectorIbEEZNS1_11reduce_implILb1ES3_N6hipcub16HIPCUB_304000_NS22TransformInputIteratorIb7NonZeroIfEPflEEPllNS8_6detail34convert_binary_result_type_wrapperINS8_3SumESD_lEEEE10hipError_tPvRmT1_T2_T3_mT4_P12ihipStream_tbEUlT_E1_NS1_11comp_targetILNS1_3genE3ELNS1_11target_archE908ELNS1_3gpuE7ELNS1_3repE0EEENS1_30default_config_static_selectorELNS0_4arch9wavefront6targetE1EEEvSM_, .Lfunc_end247-_ZN7rocprim17ROCPRIM_400000_NS6detail17trampoline_kernelINS0_14default_configENS1_22reduce_config_selectorIbEEZNS1_11reduce_implILb1ES3_N6hipcub16HIPCUB_304000_NS22TransformInputIteratorIb7NonZeroIfEPflEEPllNS8_6detail34convert_binary_result_type_wrapperINS8_3SumESD_lEEEE10hipError_tPvRmT1_T2_T3_mT4_P12ihipStream_tbEUlT_E1_NS1_11comp_targetILNS1_3genE3ELNS1_11target_archE908ELNS1_3gpuE7ELNS1_3repE0EEENS1_30default_config_static_selectorELNS0_4arch9wavefront6targetE1EEEvSM_
                                        ; -- End function
	.set _ZN7rocprim17ROCPRIM_400000_NS6detail17trampoline_kernelINS0_14default_configENS1_22reduce_config_selectorIbEEZNS1_11reduce_implILb1ES3_N6hipcub16HIPCUB_304000_NS22TransformInputIteratorIb7NonZeroIfEPflEEPllNS8_6detail34convert_binary_result_type_wrapperINS8_3SumESD_lEEEE10hipError_tPvRmT1_T2_T3_mT4_P12ihipStream_tbEUlT_E1_NS1_11comp_targetILNS1_3genE3ELNS1_11target_archE908ELNS1_3gpuE7ELNS1_3repE0EEENS1_30default_config_static_selectorELNS0_4arch9wavefront6targetE1EEEvSM_.num_vgpr, 0
	.set _ZN7rocprim17ROCPRIM_400000_NS6detail17trampoline_kernelINS0_14default_configENS1_22reduce_config_selectorIbEEZNS1_11reduce_implILb1ES3_N6hipcub16HIPCUB_304000_NS22TransformInputIteratorIb7NonZeroIfEPflEEPllNS8_6detail34convert_binary_result_type_wrapperINS8_3SumESD_lEEEE10hipError_tPvRmT1_T2_T3_mT4_P12ihipStream_tbEUlT_E1_NS1_11comp_targetILNS1_3genE3ELNS1_11target_archE908ELNS1_3gpuE7ELNS1_3repE0EEENS1_30default_config_static_selectorELNS0_4arch9wavefront6targetE1EEEvSM_.num_agpr, 0
	.set _ZN7rocprim17ROCPRIM_400000_NS6detail17trampoline_kernelINS0_14default_configENS1_22reduce_config_selectorIbEEZNS1_11reduce_implILb1ES3_N6hipcub16HIPCUB_304000_NS22TransformInputIteratorIb7NonZeroIfEPflEEPllNS8_6detail34convert_binary_result_type_wrapperINS8_3SumESD_lEEEE10hipError_tPvRmT1_T2_T3_mT4_P12ihipStream_tbEUlT_E1_NS1_11comp_targetILNS1_3genE3ELNS1_11target_archE908ELNS1_3gpuE7ELNS1_3repE0EEENS1_30default_config_static_selectorELNS0_4arch9wavefront6targetE1EEEvSM_.numbered_sgpr, 0
	.set _ZN7rocprim17ROCPRIM_400000_NS6detail17trampoline_kernelINS0_14default_configENS1_22reduce_config_selectorIbEEZNS1_11reduce_implILb1ES3_N6hipcub16HIPCUB_304000_NS22TransformInputIteratorIb7NonZeroIfEPflEEPllNS8_6detail34convert_binary_result_type_wrapperINS8_3SumESD_lEEEE10hipError_tPvRmT1_T2_T3_mT4_P12ihipStream_tbEUlT_E1_NS1_11comp_targetILNS1_3genE3ELNS1_11target_archE908ELNS1_3gpuE7ELNS1_3repE0EEENS1_30default_config_static_selectorELNS0_4arch9wavefront6targetE1EEEvSM_.num_named_barrier, 0
	.set _ZN7rocprim17ROCPRIM_400000_NS6detail17trampoline_kernelINS0_14default_configENS1_22reduce_config_selectorIbEEZNS1_11reduce_implILb1ES3_N6hipcub16HIPCUB_304000_NS22TransformInputIteratorIb7NonZeroIfEPflEEPllNS8_6detail34convert_binary_result_type_wrapperINS8_3SumESD_lEEEE10hipError_tPvRmT1_T2_T3_mT4_P12ihipStream_tbEUlT_E1_NS1_11comp_targetILNS1_3genE3ELNS1_11target_archE908ELNS1_3gpuE7ELNS1_3repE0EEENS1_30default_config_static_selectorELNS0_4arch9wavefront6targetE1EEEvSM_.private_seg_size, 0
	.set _ZN7rocprim17ROCPRIM_400000_NS6detail17trampoline_kernelINS0_14default_configENS1_22reduce_config_selectorIbEEZNS1_11reduce_implILb1ES3_N6hipcub16HIPCUB_304000_NS22TransformInputIteratorIb7NonZeroIfEPflEEPllNS8_6detail34convert_binary_result_type_wrapperINS8_3SumESD_lEEEE10hipError_tPvRmT1_T2_T3_mT4_P12ihipStream_tbEUlT_E1_NS1_11comp_targetILNS1_3genE3ELNS1_11target_archE908ELNS1_3gpuE7ELNS1_3repE0EEENS1_30default_config_static_selectorELNS0_4arch9wavefront6targetE1EEEvSM_.uses_vcc, 0
	.set _ZN7rocprim17ROCPRIM_400000_NS6detail17trampoline_kernelINS0_14default_configENS1_22reduce_config_selectorIbEEZNS1_11reduce_implILb1ES3_N6hipcub16HIPCUB_304000_NS22TransformInputIteratorIb7NonZeroIfEPflEEPllNS8_6detail34convert_binary_result_type_wrapperINS8_3SumESD_lEEEE10hipError_tPvRmT1_T2_T3_mT4_P12ihipStream_tbEUlT_E1_NS1_11comp_targetILNS1_3genE3ELNS1_11target_archE908ELNS1_3gpuE7ELNS1_3repE0EEENS1_30default_config_static_selectorELNS0_4arch9wavefront6targetE1EEEvSM_.uses_flat_scratch, 0
	.set _ZN7rocprim17ROCPRIM_400000_NS6detail17trampoline_kernelINS0_14default_configENS1_22reduce_config_selectorIbEEZNS1_11reduce_implILb1ES3_N6hipcub16HIPCUB_304000_NS22TransformInputIteratorIb7NonZeroIfEPflEEPllNS8_6detail34convert_binary_result_type_wrapperINS8_3SumESD_lEEEE10hipError_tPvRmT1_T2_T3_mT4_P12ihipStream_tbEUlT_E1_NS1_11comp_targetILNS1_3genE3ELNS1_11target_archE908ELNS1_3gpuE7ELNS1_3repE0EEENS1_30default_config_static_selectorELNS0_4arch9wavefront6targetE1EEEvSM_.has_dyn_sized_stack, 0
	.set _ZN7rocprim17ROCPRIM_400000_NS6detail17trampoline_kernelINS0_14default_configENS1_22reduce_config_selectorIbEEZNS1_11reduce_implILb1ES3_N6hipcub16HIPCUB_304000_NS22TransformInputIteratorIb7NonZeroIfEPflEEPllNS8_6detail34convert_binary_result_type_wrapperINS8_3SumESD_lEEEE10hipError_tPvRmT1_T2_T3_mT4_P12ihipStream_tbEUlT_E1_NS1_11comp_targetILNS1_3genE3ELNS1_11target_archE908ELNS1_3gpuE7ELNS1_3repE0EEENS1_30default_config_static_selectorELNS0_4arch9wavefront6targetE1EEEvSM_.has_recursion, 0
	.set _ZN7rocprim17ROCPRIM_400000_NS6detail17trampoline_kernelINS0_14default_configENS1_22reduce_config_selectorIbEEZNS1_11reduce_implILb1ES3_N6hipcub16HIPCUB_304000_NS22TransformInputIteratorIb7NonZeroIfEPflEEPllNS8_6detail34convert_binary_result_type_wrapperINS8_3SumESD_lEEEE10hipError_tPvRmT1_T2_T3_mT4_P12ihipStream_tbEUlT_E1_NS1_11comp_targetILNS1_3genE3ELNS1_11target_archE908ELNS1_3gpuE7ELNS1_3repE0EEENS1_30default_config_static_selectorELNS0_4arch9wavefront6targetE1EEEvSM_.has_indirect_call, 0
	.section	.AMDGPU.csdata,"",@progbits
; Kernel info:
; codeLenInByte = 0
; TotalNumSgprs: 6
; NumVgprs: 0
; NumAgprs: 0
; TotalNumVgprs: 0
; ScratchSize: 0
; MemoryBound: 0
; FloatMode: 240
; IeeeMode: 1
; LDSByteSize: 0 bytes/workgroup (compile time only)
; SGPRBlocks: 0
; VGPRBlocks: 0
; NumSGPRsForWavesPerEU: 6
; NumVGPRsForWavesPerEU: 1
; AccumOffset: 4
; Occupancy: 8
; WaveLimiterHint : 0
; COMPUTE_PGM_RSRC2:SCRATCH_EN: 0
; COMPUTE_PGM_RSRC2:USER_SGPR: 2
; COMPUTE_PGM_RSRC2:TRAP_HANDLER: 0
; COMPUTE_PGM_RSRC2:TGID_X_EN: 1
; COMPUTE_PGM_RSRC2:TGID_Y_EN: 0
; COMPUTE_PGM_RSRC2:TGID_Z_EN: 0
; COMPUTE_PGM_RSRC2:TIDIG_COMP_CNT: 0
; COMPUTE_PGM_RSRC3_GFX90A:ACCUM_OFFSET: 0
; COMPUTE_PGM_RSRC3_GFX90A:TG_SPLIT: 0
	.section	.text._ZN7rocprim17ROCPRIM_400000_NS6detail17trampoline_kernelINS0_14default_configENS1_22reduce_config_selectorIbEEZNS1_11reduce_implILb1ES3_N6hipcub16HIPCUB_304000_NS22TransformInputIteratorIb7NonZeroIfEPflEEPllNS8_6detail34convert_binary_result_type_wrapperINS8_3SumESD_lEEEE10hipError_tPvRmT1_T2_T3_mT4_P12ihipStream_tbEUlT_E1_NS1_11comp_targetILNS1_3genE2ELNS1_11target_archE906ELNS1_3gpuE6ELNS1_3repE0EEENS1_30default_config_static_selectorELNS0_4arch9wavefront6targetE1EEEvSM_,"axG",@progbits,_ZN7rocprim17ROCPRIM_400000_NS6detail17trampoline_kernelINS0_14default_configENS1_22reduce_config_selectorIbEEZNS1_11reduce_implILb1ES3_N6hipcub16HIPCUB_304000_NS22TransformInputIteratorIb7NonZeroIfEPflEEPllNS8_6detail34convert_binary_result_type_wrapperINS8_3SumESD_lEEEE10hipError_tPvRmT1_T2_T3_mT4_P12ihipStream_tbEUlT_E1_NS1_11comp_targetILNS1_3genE2ELNS1_11target_archE906ELNS1_3gpuE6ELNS1_3repE0EEENS1_30default_config_static_selectorELNS0_4arch9wavefront6targetE1EEEvSM_,comdat
	.protected	_ZN7rocprim17ROCPRIM_400000_NS6detail17trampoline_kernelINS0_14default_configENS1_22reduce_config_selectorIbEEZNS1_11reduce_implILb1ES3_N6hipcub16HIPCUB_304000_NS22TransformInputIteratorIb7NonZeroIfEPflEEPllNS8_6detail34convert_binary_result_type_wrapperINS8_3SumESD_lEEEE10hipError_tPvRmT1_T2_T3_mT4_P12ihipStream_tbEUlT_E1_NS1_11comp_targetILNS1_3genE2ELNS1_11target_archE906ELNS1_3gpuE6ELNS1_3repE0EEENS1_30default_config_static_selectorELNS0_4arch9wavefront6targetE1EEEvSM_ ; -- Begin function _ZN7rocprim17ROCPRIM_400000_NS6detail17trampoline_kernelINS0_14default_configENS1_22reduce_config_selectorIbEEZNS1_11reduce_implILb1ES3_N6hipcub16HIPCUB_304000_NS22TransformInputIteratorIb7NonZeroIfEPflEEPllNS8_6detail34convert_binary_result_type_wrapperINS8_3SumESD_lEEEE10hipError_tPvRmT1_T2_T3_mT4_P12ihipStream_tbEUlT_E1_NS1_11comp_targetILNS1_3genE2ELNS1_11target_archE906ELNS1_3gpuE6ELNS1_3repE0EEENS1_30default_config_static_selectorELNS0_4arch9wavefront6targetE1EEEvSM_
	.globl	_ZN7rocprim17ROCPRIM_400000_NS6detail17trampoline_kernelINS0_14default_configENS1_22reduce_config_selectorIbEEZNS1_11reduce_implILb1ES3_N6hipcub16HIPCUB_304000_NS22TransformInputIteratorIb7NonZeroIfEPflEEPllNS8_6detail34convert_binary_result_type_wrapperINS8_3SumESD_lEEEE10hipError_tPvRmT1_T2_T3_mT4_P12ihipStream_tbEUlT_E1_NS1_11comp_targetILNS1_3genE2ELNS1_11target_archE906ELNS1_3gpuE6ELNS1_3repE0EEENS1_30default_config_static_selectorELNS0_4arch9wavefront6targetE1EEEvSM_
	.p2align	8
	.type	_ZN7rocprim17ROCPRIM_400000_NS6detail17trampoline_kernelINS0_14default_configENS1_22reduce_config_selectorIbEEZNS1_11reduce_implILb1ES3_N6hipcub16HIPCUB_304000_NS22TransformInputIteratorIb7NonZeroIfEPflEEPllNS8_6detail34convert_binary_result_type_wrapperINS8_3SumESD_lEEEE10hipError_tPvRmT1_T2_T3_mT4_P12ihipStream_tbEUlT_E1_NS1_11comp_targetILNS1_3genE2ELNS1_11target_archE906ELNS1_3gpuE6ELNS1_3repE0EEENS1_30default_config_static_selectorELNS0_4arch9wavefront6targetE1EEEvSM_,@function
_ZN7rocprim17ROCPRIM_400000_NS6detail17trampoline_kernelINS0_14default_configENS1_22reduce_config_selectorIbEEZNS1_11reduce_implILb1ES3_N6hipcub16HIPCUB_304000_NS22TransformInputIteratorIb7NonZeroIfEPflEEPllNS8_6detail34convert_binary_result_type_wrapperINS8_3SumESD_lEEEE10hipError_tPvRmT1_T2_T3_mT4_P12ihipStream_tbEUlT_E1_NS1_11comp_targetILNS1_3genE2ELNS1_11target_archE906ELNS1_3gpuE6ELNS1_3repE0EEENS1_30default_config_static_selectorELNS0_4arch9wavefront6targetE1EEEvSM_: ; @_ZN7rocprim17ROCPRIM_400000_NS6detail17trampoline_kernelINS0_14default_configENS1_22reduce_config_selectorIbEEZNS1_11reduce_implILb1ES3_N6hipcub16HIPCUB_304000_NS22TransformInputIteratorIb7NonZeroIfEPflEEPllNS8_6detail34convert_binary_result_type_wrapperINS8_3SumESD_lEEEE10hipError_tPvRmT1_T2_T3_mT4_P12ihipStream_tbEUlT_E1_NS1_11comp_targetILNS1_3genE2ELNS1_11target_archE906ELNS1_3gpuE6ELNS1_3repE0EEENS1_30default_config_static_selectorELNS0_4arch9wavefront6targetE1EEEvSM_
; %bb.0:
	.section	.rodata,"a",@progbits
	.p2align	6, 0x0
	.amdhsa_kernel _ZN7rocprim17ROCPRIM_400000_NS6detail17trampoline_kernelINS0_14default_configENS1_22reduce_config_selectorIbEEZNS1_11reduce_implILb1ES3_N6hipcub16HIPCUB_304000_NS22TransformInputIteratorIb7NonZeroIfEPflEEPllNS8_6detail34convert_binary_result_type_wrapperINS8_3SumESD_lEEEE10hipError_tPvRmT1_T2_T3_mT4_P12ihipStream_tbEUlT_E1_NS1_11comp_targetILNS1_3genE2ELNS1_11target_archE906ELNS1_3gpuE6ELNS1_3repE0EEENS1_30default_config_static_selectorELNS0_4arch9wavefront6targetE1EEEvSM_
		.amdhsa_group_segment_fixed_size 0
		.amdhsa_private_segment_fixed_size 0
		.amdhsa_kernarg_size 56
		.amdhsa_user_sgpr_count 2
		.amdhsa_user_sgpr_dispatch_ptr 0
		.amdhsa_user_sgpr_queue_ptr 0
		.amdhsa_user_sgpr_kernarg_segment_ptr 1
		.amdhsa_user_sgpr_dispatch_id 0
		.amdhsa_user_sgpr_kernarg_preload_length 0
		.amdhsa_user_sgpr_kernarg_preload_offset 0
		.amdhsa_user_sgpr_private_segment_size 0
		.amdhsa_uses_dynamic_stack 0
		.amdhsa_enable_private_segment 0
		.amdhsa_system_sgpr_workgroup_id_x 1
		.amdhsa_system_sgpr_workgroup_id_y 0
		.amdhsa_system_sgpr_workgroup_id_z 0
		.amdhsa_system_sgpr_workgroup_info 0
		.amdhsa_system_vgpr_workitem_id 0
		.amdhsa_next_free_vgpr 1
		.amdhsa_next_free_sgpr 0
		.amdhsa_accum_offset 4
		.amdhsa_reserve_vcc 0
		.amdhsa_float_round_mode_32 0
		.amdhsa_float_round_mode_16_64 0
		.amdhsa_float_denorm_mode_32 3
		.amdhsa_float_denorm_mode_16_64 3
		.amdhsa_dx10_clamp 1
		.amdhsa_ieee_mode 1
		.amdhsa_fp16_overflow 0
		.amdhsa_tg_split 0
		.amdhsa_exception_fp_ieee_invalid_op 0
		.amdhsa_exception_fp_denorm_src 0
		.amdhsa_exception_fp_ieee_div_zero 0
		.amdhsa_exception_fp_ieee_overflow 0
		.amdhsa_exception_fp_ieee_underflow 0
		.amdhsa_exception_fp_ieee_inexact 0
		.amdhsa_exception_int_div_zero 0
	.end_amdhsa_kernel
	.section	.text._ZN7rocprim17ROCPRIM_400000_NS6detail17trampoline_kernelINS0_14default_configENS1_22reduce_config_selectorIbEEZNS1_11reduce_implILb1ES3_N6hipcub16HIPCUB_304000_NS22TransformInputIteratorIb7NonZeroIfEPflEEPllNS8_6detail34convert_binary_result_type_wrapperINS8_3SumESD_lEEEE10hipError_tPvRmT1_T2_T3_mT4_P12ihipStream_tbEUlT_E1_NS1_11comp_targetILNS1_3genE2ELNS1_11target_archE906ELNS1_3gpuE6ELNS1_3repE0EEENS1_30default_config_static_selectorELNS0_4arch9wavefront6targetE1EEEvSM_,"axG",@progbits,_ZN7rocprim17ROCPRIM_400000_NS6detail17trampoline_kernelINS0_14default_configENS1_22reduce_config_selectorIbEEZNS1_11reduce_implILb1ES3_N6hipcub16HIPCUB_304000_NS22TransformInputIteratorIb7NonZeroIfEPflEEPllNS8_6detail34convert_binary_result_type_wrapperINS8_3SumESD_lEEEE10hipError_tPvRmT1_T2_T3_mT4_P12ihipStream_tbEUlT_E1_NS1_11comp_targetILNS1_3genE2ELNS1_11target_archE906ELNS1_3gpuE6ELNS1_3repE0EEENS1_30default_config_static_selectorELNS0_4arch9wavefront6targetE1EEEvSM_,comdat
.Lfunc_end248:
	.size	_ZN7rocprim17ROCPRIM_400000_NS6detail17trampoline_kernelINS0_14default_configENS1_22reduce_config_selectorIbEEZNS1_11reduce_implILb1ES3_N6hipcub16HIPCUB_304000_NS22TransformInputIteratorIb7NonZeroIfEPflEEPllNS8_6detail34convert_binary_result_type_wrapperINS8_3SumESD_lEEEE10hipError_tPvRmT1_T2_T3_mT4_P12ihipStream_tbEUlT_E1_NS1_11comp_targetILNS1_3genE2ELNS1_11target_archE906ELNS1_3gpuE6ELNS1_3repE0EEENS1_30default_config_static_selectorELNS0_4arch9wavefront6targetE1EEEvSM_, .Lfunc_end248-_ZN7rocprim17ROCPRIM_400000_NS6detail17trampoline_kernelINS0_14default_configENS1_22reduce_config_selectorIbEEZNS1_11reduce_implILb1ES3_N6hipcub16HIPCUB_304000_NS22TransformInputIteratorIb7NonZeroIfEPflEEPllNS8_6detail34convert_binary_result_type_wrapperINS8_3SumESD_lEEEE10hipError_tPvRmT1_T2_T3_mT4_P12ihipStream_tbEUlT_E1_NS1_11comp_targetILNS1_3genE2ELNS1_11target_archE906ELNS1_3gpuE6ELNS1_3repE0EEENS1_30default_config_static_selectorELNS0_4arch9wavefront6targetE1EEEvSM_
                                        ; -- End function
	.set _ZN7rocprim17ROCPRIM_400000_NS6detail17trampoline_kernelINS0_14default_configENS1_22reduce_config_selectorIbEEZNS1_11reduce_implILb1ES3_N6hipcub16HIPCUB_304000_NS22TransformInputIteratorIb7NonZeroIfEPflEEPllNS8_6detail34convert_binary_result_type_wrapperINS8_3SumESD_lEEEE10hipError_tPvRmT1_T2_T3_mT4_P12ihipStream_tbEUlT_E1_NS1_11comp_targetILNS1_3genE2ELNS1_11target_archE906ELNS1_3gpuE6ELNS1_3repE0EEENS1_30default_config_static_selectorELNS0_4arch9wavefront6targetE1EEEvSM_.num_vgpr, 0
	.set _ZN7rocprim17ROCPRIM_400000_NS6detail17trampoline_kernelINS0_14default_configENS1_22reduce_config_selectorIbEEZNS1_11reduce_implILb1ES3_N6hipcub16HIPCUB_304000_NS22TransformInputIteratorIb7NonZeroIfEPflEEPllNS8_6detail34convert_binary_result_type_wrapperINS8_3SumESD_lEEEE10hipError_tPvRmT1_T2_T3_mT4_P12ihipStream_tbEUlT_E1_NS1_11comp_targetILNS1_3genE2ELNS1_11target_archE906ELNS1_3gpuE6ELNS1_3repE0EEENS1_30default_config_static_selectorELNS0_4arch9wavefront6targetE1EEEvSM_.num_agpr, 0
	.set _ZN7rocprim17ROCPRIM_400000_NS6detail17trampoline_kernelINS0_14default_configENS1_22reduce_config_selectorIbEEZNS1_11reduce_implILb1ES3_N6hipcub16HIPCUB_304000_NS22TransformInputIteratorIb7NonZeroIfEPflEEPllNS8_6detail34convert_binary_result_type_wrapperINS8_3SumESD_lEEEE10hipError_tPvRmT1_T2_T3_mT4_P12ihipStream_tbEUlT_E1_NS1_11comp_targetILNS1_3genE2ELNS1_11target_archE906ELNS1_3gpuE6ELNS1_3repE0EEENS1_30default_config_static_selectorELNS0_4arch9wavefront6targetE1EEEvSM_.numbered_sgpr, 0
	.set _ZN7rocprim17ROCPRIM_400000_NS6detail17trampoline_kernelINS0_14default_configENS1_22reduce_config_selectorIbEEZNS1_11reduce_implILb1ES3_N6hipcub16HIPCUB_304000_NS22TransformInputIteratorIb7NonZeroIfEPflEEPllNS8_6detail34convert_binary_result_type_wrapperINS8_3SumESD_lEEEE10hipError_tPvRmT1_T2_T3_mT4_P12ihipStream_tbEUlT_E1_NS1_11comp_targetILNS1_3genE2ELNS1_11target_archE906ELNS1_3gpuE6ELNS1_3repE0EEENS1_30default_config_static_selectorELNS0_4arch9wavefront6targetE1EEEvSM_.num_named_barrier, 0
	.set _ZN7rocprim17ROCPRIM_400000_NS6detail17trampoline_kernelINS0_14default_configENS1_22reduce_config_selectorIbEEZNS1_11reduce_implILb1ES3_N6hipcub16HIPCUB_304000_NS22TransformInputIteratorIb7NonZeroIfEPflEEPllNS8_6detail34convert_binary_result_type_wrapperINS8_3SumESD_lEEEE10hipError_tPvRmT1_T2_T3_mT4_P12ihipStream_tbEUlT_E1_NS1_11comp_targetILNS1_3genE2ELNS1_11target_archE906ELNS1_3gpuE6ELNS1_3repE0EEENS1_30default_config_static_selectorELNS0_4arch9wavefront6targetE1EEEvSM_.private_seg_size, 0
	.set _ZN7rocprim17ROCPRIM_400000_NS6detail17trampoline_kernelINS0_14default_configENS1_22reduce_config_selectorIbEEZNS1_11reduce_implILb1ES3_N6hipcub16HIPCUB_304000_NS22TransformInputIteratorIb7NonZeroIfEPflEEPllNS8_6detail34convert_binary_result_type_wrapperINS8_3SumESD_lEEEE10hipError_tPvRmT1_T2_T3_mT4_P12ihipStream_tbEUlT_E1_NS1_11comp_targetILNS1_3genE2ELNS1_11target_archE906ELNS1_3gpuE6ELNS1_3repE0EEENS1_30default_config_static_selectorELNS0_4arch9wavefront6targetE1EEEvSM_.uses_vcc, 0
	.set _ZN7rocprim17ROCPRIM_400000_NS6detail17trampoline_kernelINS0_14default_configENS1_22reduce_config_selectorIbEEZNS1_11reduce_implILb1ES3_N6hipcub16HIPCUB_304000_NS22TransformInputIteratorIb7NonZeroIfEPflEEPllNS8_6detail34convert_binary_result_type_wrapperINS8_3SumESD_lEEEE10hipError_tPvRmT1_T2_T3_mT4_P12ihipStream_tbEUlT_E1_NS1_11comp_targetILNS1_3genE2ELNS1_11target_archE906ELNS1_3gpuE6ELNS1_3repE0EEENS1_30default_config_static_selectorELNS0_4arch9wavefront6targetE1EEEvSM_.uses_flat_scratch, 0
	.set _ZN7rocprim17ROCPRIM_400000_NS6detail17trampoline_kernelINS0_14default_configENS1_22reduce_config_selectorIbEEZNS1_11reduce_implILb1ES3_N6hipcub16HIPCUB_304000_NS22TransformInputIteratorIb7NonZeroIfEPflEEPllNS8_6detail34convert_binary_result_type_wrapperINS8_3SumESD_lEEEE10hipError_tPvRmT1_T2_T3_mT4_P12ihipStream_tbEUlT_E1_NS1_11comp_targetILNS1_3genE2ELNS1_11target_archE906ELNS1_3gpuE6ELNS1_3repE0EEENS1_30default_config_static_selectorELNS0_4arch9wavefront6targetE1EEEvSM_.has_dyn_sized_stack, 0
	.set _ZN7rocprim17ROCPRIM_400000_NS6detail17trampoline_kernelINS0_14default_configENS1_22reduce_config_selectorIbEEZNS1_11reduce_implILb1ES3_N6hipcub16HIPCUB_304000_NS22TransformInputIteratorIb7NonZeroIfEPflEEPllNS8_6detail34convert_binary_result_type_wrapperINS8_3SumESD_lEEEE10hipError_tPvRmT1_T2_T3_mT4_P12ihipStream_tbEUlT_E1_NS1_11comp_targetILNS1_3genE2ELNS1_11target_archE906ELNS1_3gpuE6ELNS1_3repE0EEENS1_30default_config_static_selectorELNS0_4arch9wavefront6targetE1EEEvSM_.has_recursion, 0
	.set _ZN7rocprim17ROCPRIM_400000_NS6detail17trampoline_kernelINS0_14default_configENS1_22reduce_config_selectorIbEEZNS1_11reduce_implILb1ES3_N6hipcub16HIPCUB_304000_NS22TransformInputIteratorIb7NonZeroIfEPflEEPllNS8_6detail34convert_binary_result_type_wrapperINS8_3SumESD_lEEEE10hipError_tPvRmT1_T2_T3_mT4_P12ihipStream_tbEUlT_E1_NS1_11comp_targetILNS1_3genE2ELNS1_11target_archE906ELNS1_3gpuE6ELNS1_3repE0EEENS1_30default_config_static_selectorELNS0_4arch9wavefront6targetE1EEEvSM_.has_indirect_call, 0
	.section	.AMDGPU.csdata,"",@progbits
; Kernel info:
; codeLenInByte = 0
; TotalNumSgprs: 6
; NumVgprs: 0
; NumAgprs: 0
; TotalNumVgprs: 0
; ScratchSize: 0
; MemoryBound: 0
; FloatMode: 240
; IeeeMode: 1
; LDSByteSize: 0 bytes/workgroup (compile time only)
; SGPRBlocks: 0
; VGPRBlocks: 0
; NumSGPRsForWavesPerEU: 6
; NumVGPRsForWavesPerEU: 1
; AccumOffset: 4
; Occupancy: 8
; WaveLimiterHint : 0
; COMPUTE_PGM_RSRC2:SCRATCH_EN: 0
; COMPUTE_PGM_RSRC2:USER_SGPR: 2
; COMPUTE_PGM_RSRC2:TRAP_HANDLER: 0
; COMPUTE_PGM_RSRC2:TGID_X_EN: 1
; COMPUTE_PGM_RSRC2:TGID_Y_EN: 0
; COMPUTE_PGM_RSRC2:TGID_Z_EN: 0
; COMPUTE_PGM_RSRC2:TIDIG_COMP_CNT: 0
; COMPUTE_PGM_RSRC3_GFX90A:ACCUM_OFFSET: 0
; COMPUTE_PGM_RSRC3_GFX90A:TG_SPLIT: 0
	.section	.text._ZN7rocprim17ROCPRIM_400000_NS6detail17trampoline_kernelINS0_14default_configENS1_22reduce_config_selectorIbEEZNS1_11reduce_implILb1ES3_N6hipcub16HIPCUB_304000_NS22TransformInputIteratorIb7NonZeroIfEPflEEPllNS8_6detail34convert_binary_result_type_wrapperINS8_3SumESD_lEEEE10hipError_tPvRmT1_T2_T3_mT4_P12ihipStream_tbEUlT_E1_NS1_11comp_targetILNS1_3genE10ELNS1_11target_archE1201ELNS1_3gpuE5ELNS1_3repE0EEENS1_30default_config_static_selectorELNS0_4arch9wavefront6targetE1EEEvSM_,"axG",@progbits,_ZN7rocprim17ROCPRIM_400000_NS6detail17trampoline_kernelINS0_14default_configENS1_22reduce_config_selectorIbEEZNS1_11reduce_implILb1ES3_N6hipcub16HIPCUB_304000_NS22TransformInputIteratorIb7NonZeroIfEPflEEPllNS8_6detail34convert_binary_result_type_wrapperINS8_3SumESD_lEEEE10hipError_tPvRmT1_T2_T3_mT4_P12ihipStream_tbEUlT_E1_NS1_11comp_targetILNS1_3genE10ELNS1_11target_archE1201ELNS1_3gpuE5ELNS1_3repE0EEENS1_30default_config_static_selectorELNS0_4arch9wavefront6targetE1EEEvSM_,comdat
	.protected	_ZN7rocprim17ROCPRIM_400000_NS6detail17trampoline_kernelINS0_14default_configENS1_22reduce_config_selectorIbEEZNS1_11reduce_implILb1ES3_N6hipcub16HIPCUB_304000_NS22TransformInputIteratorIb7NonZeroIfEPflEEPllNS8_6detail34convert_binary_result_type_wrapperINS8_3SumESD_lEEEE10hipError_tPvRmT1_T2_T3_mT4_P12ihipStream_tbEUlT_E1_NS1_11comp_targetILNS1_3genE10ELNS1_11target_archE1201ELNS1_3gpuE5ELNS1_3repE0EEENS1_30default_config_static_selectorELNS0_4arch9wavefront6targetE1EEEvSM_ ; -- Begin function _ZN7rocprim17ROCPRIM_400000_NS6detail17trampoline_kernelINS0_14default_configENS1_22reduce_config_selectorIbEEZNS1_11reduce_implILb1ES3_N6hipcub16HIPCUB_304000_NS22TransformInputIteratorIb7NonZeroIfEPflEEPllNS8_6detail34convert_binary_result_type_wrapperINS8_3SumESD_lEEEE10hipError_tPvRmT1_T2_T3_mT4_P12ihipStream_tbEUlT_E1_NS1_11comp_targetILNS1_3genE10ELNS1_11target_archE1201ELNS1_3gpuE5ELNS1_3repE0EEENS1_30default_config_static_selectorELNS0_4arch9wavefront6targetE1EEEvSM_
	.globl	_ZN7rocprim17ROCPRIM_400000_NS6detail17trampoline_kernelINS0_14default_configENS1_22reduce_config_selectorIbEEZNS1_11reduce_implILb1ES3_N6hipcub16HIPCUB_304000_NS22TransformInputIteratorIb7NonZeroIfEPflEEPllNS8_6detail34convert_binary_result_type_wrapperINS8_3SumESD_lEEEE10hipError_tPvRmT1_T2_T3_mT4_P12ihipStream_tbEUlT_E1_NS1_11comp_targetILNS1_3genE10ELNS1_11target_archE1201ELNS1_3gpuE5ELNS1_3repE0EEENS1_30default_config_static_selectorELNS0_4arch9wavefront6targetE1EEEvSM_
	.p2align	8
	.type	_ZN7rocprim17ROCPRIM_400000_NS6detail17trampoline_kernelINS0_14default_configENS1_22reduce_config_selectorIbEEZNS1_11reduce_implILb1ES3_N6hipcub16HIPCUB_304000_NS22TransformInputIteratorIb7NonZeroIfEPflEEPllNS8_6detail34convert_binary_result_type_wrapperINS8_3SumESD_lEEEE10hipError_tPvRmT1_T2_T3_mT4_P12ihipStream_tbEUlT_E1_NS1_11comp_targetILNS1_3genE10ELNS1_11target_archE1201ELNS1_3gpuE5ELNS1_3repE0EEENS1_30default_config_static_selectorELNS0_4arch9wavefront6targetE1EEEvSM_,@function
_ZN7rocprim17ROCPRIM_400000_NS6detail17trampoline_kernelINS0_14default_configENS1_22reduce_config_selectorIbEEZNS1_11reduce_implILb1ES3_N6hipcub16HIPCUB_304000_NS22TransformInputIteratorIb7NonZeroIfEPflEEPllNS8_6detail34convert_binary_result_type_wrapperINS8_3SumESD_lEEEE10hipError_tPvRmT1_T2_T3_mT4_P12ihipStream_tbEUlT_E1_NS1_11comp_targetILNS1_3genE10ELNS1_11target_archE1201ELNS1_3gpuE5ELNS1_3repE0EEENS1_30default_config_static_selectorELNS0_4arch9wavefront6targetE1EEEvSM_: ; @_ZN7rocprim17ROCPRIM_400000_NS6detail17trampoline_kernelINS0_14default_configENS1_22reduce_config_selectorIbEEZNS1_11reduce_implILb1ES3_N6hipcub16HIPCUB_304000_NS22TransformInputIteratorIb7NonZeroIfEPflEEPllNS8_6detail34convert_binary_result_type_wrapperINS8_3SumESD_lEEEE10hipError_tPvRmT1_T2_T3_mT4_P12ihipStream_tbEUlT_E1_NS1_11comp_targetILNS1_3genE10ELNS1_11target_archE1201ELNS1_3gpuE5ELNS1_3repE0EEENS1_30default_config_static_selectorELNS0_4arch9wavefront6targetE1EEEvSM_
; %bb.0:
	.section	.rodata,"a",@progbits
	.p2align	6, 0x0
	.amdhsa_kernel _ZN7rocprim17ROCPRIM_400000_NS6detail17trampoline_kernelINS0_14default_configENS1_22reduce_config_selectorIbEEZNS1_11reduce_implILb1ES3_N6hipcub16HIPCUB_304000_NS22TransformInputIteratorIb7NonZeroIfEPflEEPllNS8_6detail34convert_binary_result_type_wrapperINS8_3SumESD_lEEEE10hipError_tPvRmT1_T2_T3_mT4_P12ihipStream_tbEUlT_E1_NS1_11comp_targetILNS1_3genE10ELNS1_11target_archE1201ELNS1_3gpuE5ELNS1_3repE0EEENS1_30default_config_static_selectorELNS0_4arch9wavefront6targetE1EEEvSM_
		.amdhsa_group_segment_fixed_size 0
		.amdhsa_private_segment_fixed_size 0
		.amdhsa_kernarg_size 56
		.amdhsa_user_sgpr_count 2
		.amdhsa_user_sgpr_dispatch_ptr 0
		.amdhsa_user_sgpr_queue_ptr 0
		.amdhsa_user_sgpr_kernarg_segment_ptr 1
		.amdhsa_user_sgpr_dispatch_id 0
		.amdhsa_user_sgpr_kernarg_preload_length 0
		.amdhsa_user_sgpr_kernarg_preload_offset 0
		.amdhsa_user_sgpr_private_segment_size 0
		.amdhsa_uses_dynamic_stack 0
		.amdhsa_enable_private_segment 0
		.amdhsa_system_sgpr_workgroup_id_x 1
		.amdhsa_system_sgpr_workgroup_id_y 0
		.amdhsa_system_sgpr_workgroup_id_z 0
		.amdhsa_system_sgpr_workgroup_info 0
		.amdhsa_system_vgpr_workitem_id 0
		.amdhsa_next_free_vgpr 1
		.amdhsa_next_free_sgpr 0
		.amdhsa_accum_offset 4
		.amdhsa_reserve_vcc 0
		.amdhsa_float_round_mode_32 0
		.amdhsa_float_round_mode_16_64 0
		.amdhsa_float_denorm_mode_32 3
		.amdhsa_float_denorm_mode_16_64 3
		.amdhsa_dx10_clamp 1
		.amdhsa_ieee_mode 1
		.amdhsa_fp16_overflow 0
		.amdhsa_tg_split 0
		.amdhsa_exception_fp_ieee_invalid_op 0
		.amdhsa_exception_fp_denorm_src 0
		.amdhsa_exception_fp_ieee_div_zero 0
		.amdhsa_exception_fp_ieee_overflow 0
		.amdhsa_exception_fp_ieee_underflow 0
		.amdhsa_exception_fp_ieee_inexact 0
		.amdhsa_exception_int_div_zero 0
	.end_amdhsa_kernel
	.section	.text._ZN7rocprim17ROCPRIM_400000_NS6detail17trampoline_kernelINS0_14default_configENS1_22reduce_config_selectorIbEEZNS1_11reduce_implILb1ES3_N6hipcub16HIPCUB_304000_NS22TransformInputIteratorIb7NonZeroIfEPflEEPllNS8_6detail34convert_binary_result_type_wrapperINS8_3SumESD_lEEEE10hipError_tPvRmT1_T2_T3_mT4_P12ihipStream_tbEUlT_E1_NS1_11comp_targetILNS1_3genE10ELNS1_11target_archE1201ELNS1_3gpuE5ELNS1_3repE0EEENS1_30default_config_static_selectorELNS0_4arch9wavefront6targetE1EEEvSM_,"axG",@progbits,_ZN7rocprim17ROCPRIM_400000_NS6detail17trampoline_kernelINS0_14default_configENS1_22reduce_config_selectorIbEEZNS1_11reduce_implILb1ES3_N6hipcub16HIPCUB_304000_NS22TransformInputIteratorIb7NonZeroIfEPflEEPllNS8_6detail34convert_binary_result_type_wrapperINS8_3SumESD_lEEEE10hipError_tPvRmT1_T2_T3_mT4_P12ihipStream_tbEUlT_E1_NS1_11comp_targetILNS1_3genE10ELNS1_11target_archE1201ELNS1_3gpuE5ELNS1_3repE0EEENS1_30default_config_static_selectorELNS0_4arch9wavefront6targetE1EEEvSM_,comdat
.Lfunc_end249:
	.size	_ZN7rocprim17ROCPRIM_400000_NS6detail17trampoline_kernelINS0_14default_configENS1_22reduce_config_selectorIbEEZNS1_11reduce_implILb1ES3_N6hipcub16HIPCUB_304000_NS22TransformInputIteratorIb7NonZeroIfEPflEEPllNS8_6detail34convert_binary_result_type_wrapperINS8_3SumESD_lEEEE10hipError_tPvRmT1_T2_T3_mT4_P12ihipStream_tbEUlT_E1_NS1_11comp_targetILNS1_3genE10ELNS1_11target_archE1201ELNS1_3gpuE5ELNS1_3repE0EEENS1_30default_config_static_selectorELNS0_4arch9wavefront6targetE1EEEvSM_, .Lfunc_end249-_ZN7rocprim17ROCPRIM_400000_NS6detail17trampoline_kernelINS0_14default_configENS1_22reduce_config_selectorIbEEZNS1_11reduce_implILb1ES3_N6hipcub16HIPCUB_304000_NS22TransformInputIteratorIb7NonZeroIfEPflEEPllNS8_6detail34convert_binary_result_type_wrapperINS8_3SumESD_lEEEE10hipError_tPvRmT1_T2_T3_mT4_P12ihipStream_tbEUlT_E1_NS1_11comp_targetILNS1_3genE10ELNS1_11target_archE1201ELNS1_3gpuE5ELNS1_3repE0EEENS1_30default_config_static_selectorELNS0_4arch9wavefront6targetE1EEEvSM_
                                        ; -- End function
	.set _ZN7rocprim17ROCPRIM_400000_NS6detail17trampoline_kernelINS0_14default_configENS1_22reduce_config_selectorIbEEZNS1_11reduce_implILb1ES3_N6hipcub16HIPCUB_304000_NS22TransformInputIteratorIb7NonZeroIfEPflEEPllNS8_6detail34convert_binary_result_type_wrapperINS8_3SumESD_lEEEE10hipError_tPvRmT1_T2_T3_mT4_P12ihipStream_tbEUlT_E1_NS1_11comp_targetILNS1_3genE10ELNS1_11target_archE1201ELNS1_3gpuE5ELNS1_3repE0EEENS1_30default_config_static_selectorELNS0_4arch9wavefront6targetE1EEEvSM_.num_vgpr, 0
	.set _ZN7rocprim17ROCPRIM_400000_NS6detail17trampoline_kernelINS0_14default_configENS1_22reduce_config_selectorIbEEZNS1_11reduce_implILb1ES3_N6hipcub16HIPCUB_304000_NS22TransformInputIteratorIb7NonZeroIfEPflEEPllNS8_6detail34convert_binary_result_type_wrapperINS8_3SumESD_lEEEE10hipError_tPvRmT1_T2_T3_mT4_P12ihipStream_tbEUlT_E1_NS1_11comp_targetILNS1_3genE10ELNS1_11target_archE1201ELNS1_3gpuE5ELNS1_3repE0EEENS1_30default_config_static_selectorELNS0_4arch9wavefront6targetE1EEEvSM_.num_agpr, 0
	.set _ZN7rocprim17ROCPRIM_400000_NS6detail17trampoline_kernelINS0_14default_configENS1_22reduce_config_selectorIbEEZNS1_11reduce_implILb1ES3_N6hipcub16HIPCUB_304000_NS22TransformInputIteratorIb7NonZeroIfEPflEEPllNS8_6detail34convert_binary_result_type_wrapperINS8_3SumESD_lEEEE10hipError_tPvRmT1_T2_T3_mT4_P12ihipStream_tbEUlT_E1_NS1_11comp_targetILNS1_3genE10ELNS1_11target_archE1201ELNS1_3gpuE5ELNS1_3repE0EEENS1_30default_config_static_selectorELNS0_4arch9wavefront6targetE1EEEvSM_.numbered_sgpr, 0
	.set _ZN7rocprim17ROCPRIM_400000_NS6detail17trampoline_kernelINS0_14default_configENS1_22reduce_config_selectorIbEEZNS1_11reduce_implILb1ES3_N6hipcub16HIPCUB_304000_NS22TransformInputIteratorIb7NonZeroIfEPflEEPllNS8_6detail34convert_binary_result_type_wrapperINS8_3SumESD_lEEEE10hipError_tPvRmT1_T2_T3_mT4_P12ihipStream_tbEUlT_E1_NS1_11comp_targetILNS1_3genE10ELNS1_11target_archE1201ELNS1_3gpuE5ELNS1_3repE0EEENS1_30default_config_static_selectorELNS0_4arch9wavefront6targetE1EEEvSM_.num_named_barrier, 0
	.set _ZN7rocprim17ROCPRIM_400000_NS6detail17trampoline_kernelINS0_14default_configENS1_22reduce_config_selectorIbEEZNS1_11reduce_implILb1ES3_N6hipcub16HIPCUB_304000_NS22TransformInputIteratorIb7NonZeroIfEPflEEPllNS8_6detail34convert_binary_result_type_wrapperINS8_3SumESD_lEEEE10hipError_tPvRmT1_T2_T3_mT4_P12ihipStream_tbEUlT_E1_NS1_11comp_targetILNS1_3genE10ELNS1_11target_archE1201ELNS1_3gpuE5ELNS1_3repE0EEENS1_30default_config_static_selectorELNS0_4arch9wavefront6targetE1EEEvSM_.private_seg_size, 0
	.set _ZN7rocprim17ROCPRIM_400000_NS6detail17trampoline_kernelINS0_14default_configENS1_22reduce_config_selectorIbEEZNS1_11reduce_implILb1ES3_N6hipcub16HIPCUB_304000_NS22TransformInputIteratorIb7NonZeroIfEPflEEPllNS8_6detail34convert_binary_result_type_wrapperINS8_3SumESD_lEEEE10hipError_tPvRmT1_T2_T3_mT4_P12ihipStream_tbEUlT_E1_NS1_11comp_targetILNS1_3genE10ELNS1_11target_archE1201ELNS1_3gpuE5ELNS1_3repE0EEENS1_30default_config_static_selectorELNS0_4arch9wavefront6targetE1EEEvSM_.uses_vcc, 0
	.set _ZN7rocprim17ROCPRIM_400000_NS6detail17trampoline_kernelINS0_14default_configENS1_22reduce_config_selectorIbEEZNS1_11reduce_implILb1ES3_N6hipcub16HIPCUB_304000_NS22TransformInputIteratorIb7NonZeroIfEPflEEPllNS8_6detail34convert_binary_result_type_wrapperINS8_3SumESD_lEEEE10hipError_tPvRmT1_T2_T3_mT4_P12ihipStream_tbEUlT_E1_NS1_11comp_targetILNS1_3genE10ELNS1_11target_archE1201ELNS1_3gpuE5ELNS1_3repE0EEENS1_30default_config_static_selectorELNS0_4arch9wavefront6targetE1EEEvSM_.uses_flat_scratch, 0
	.set _ZN7rocprim17ROCPRIM_400000_NS6detail17trampoline_kernelINS0_14default_configENS1_22reduce_config_selectorIbEEZNS1_11reduce_implILb1ES3_N6hipcub16HIPCUB_304000_NS22TransformInputIteratorIb7NonZeroIfEPflEEPllNS8_6detail34convert_binary_result_type_wrapperINS8_3SumESD_lEEEE10hipError_tPvRmT1_T2_T3_mT4_P12ihipStream_tbEUlT_E1_NS1_11comp_targetILNS1_3genE10ELNS1_11target_archE1201ELNS1_3gpuE5ELNS1_3repE0EEENS1_30default_config_static_selectorELNS0_4arch9wavefront6targetE1EEEvSM_.has_dyn_sized_stack, 0
	.set _ZN7rocprim17ROCPRIM_400000_NS6detail17trampoline_kernelINS0_14default_configENS1_22reduce_config_selectorIbEEZNS1_11reduce_implILb1ES3_N6hipcub16HIPCUB_304000_NS22TransformInputIteratorIb7NonZeroIfEPflEEPllNS8_6detail34convert_binary_result_type_wrapperINS8_3SumESD_lEEEE10hipError_tPvRmT1_T2_T3_mT4_P12ihipStream_tbEUlT_E1_NS1_11comp_targetILNS1_3genE10ELNS1_11target_archE1201ELNS1_3gpuE5ELNS1_3repE0EEENS1_30default_config_static_selectorELNS0_4arch9wavefront6targetE1EEEvSM_.has_recursion, 0
	.set _ZN7rocprim17ROCPRIM_400000_NS6detail17trampoline_kernelINS0_14default_configENS1_22reduce_config_selectorIbEEZNS1_11reduce_implILb1ES3_N6hipcub16HIPCUB_304000_NS22TransformInputIteratorIb7NonZeroIfEPflEEPllNS8_6detail34convert_binary_result_type_wrapperINS8_3SumESD_lEEEE10hipError_tPvRmT1_T2_T3_mT4_P12ihipStream_tbEUlT_E1_NS1_11comp_targetILNS1_3genE10ELNS1_11target_archE1201ELNS1_3gpuE5ELNS1_3repE0EEENS1_30default_config_static_selectorELNS0_4arch9wavefront6targetE1EEEvSM_.has_indirect_call, 0
	.section	.AMDGPU.csdata,"",@progbits
; Kernel info:
; codeLenInByte = 0
; TotalNumSgprs: 6
; NumVgprs: 0
; NumAgprs: 0
; TotalNumVgprs: 0
; ScratchSize: 0
; MemoryBound: 0
; FloatMode: 240
; IeeeMode: 1
; LDSByteSize: 0 bytes/workgroup (compile time only)
; SGPRBlocks: 0
; VGPRBlocks: 0
; NumSGPRsForWavesPerEU: 6
; NumVGPRsForWavesPerEU: 1
; AccumOffset: 4
; Occupancy: 8
; WaveLimiterHint : 0
; COMPUTE_PGM_RSRC2:SCRATCH_EN: 0
; COMPUTE_PGM_RSRC2:USER_SGPR: 2
; COMPUTE_PGM_RSRC2:TRAP_HANDLER: 0
; COMPUTE_PGM_RSRC2:TGID_X_EN: 1
; COMPUTE_PGM_RSRC2:TGID_Y_EN: 0
; COMPUTE_PGM_RSRC2:TGID_Z_EN: 0
; COMPUTE_PGM_RSRC2:TIDIG_COMP_CNT: 0
; COMPUTE_PGM_RSRC3_GFX90A:ACCUM_OFFSET: 0
; COMPUTE_PGM_RSRC3_GFX90A:TG_SPLIT: 0
	.section	.text._ZN7rocprim17ROCPRIM_400000_NS6detail17trampoline_kernelINS0_14default_configENS1_22reduce_config_selectorIbEEZNS1_11reduce_implILb1ES3_N6hipcub16HIPCUB_304000_NS22TransformInputIteratorIb7NonZeroIfEPflEEPllNS8_6detail34convert_binary_result_type_wrapperINS8_3SumESD_lEEEE10hipError_tPvRmT1_T2_T3_mT4_P12ihipStream_tbEUlT_E1_NS1_11comp_targetILNS1_3genE10ELNS1_11target_archE1200ELNS1_3gpuE4ELNS1_3repE0EEENS1_30default_config_static_selectorELNS0_4arch9wavefront6targetE1EEEvSM_,"axG",@progbits,_ZN7rocprim17ROCPRIM_400000_NS6detail17trampoline_kernelINS0_14default_configENS1_22reduce_config_selectorIbEEZNS1_11reduce_implILb1ES3_N6hipcub16HIPCUB_304000_NS22TransformInputIteratorIb7NonZeroIfEPflEEPllNS8_6detail34convert_binary_result_type_wrapperINS8_3SumESD_lEEEE10hipError_tPvRmT1_T2_T3_mT4_P12ihipStream_tbEUlT_E1_NS1_11comp_targetILNS1_3genE10ELNS1_11target_archE1200ELNS1_3gpuE4ELNS1_3repE0EEENS1_30default_config_static_selectorELNS0_4arch9wavefront6targetE1EEEvSM_,comdat
	.protected	_ZN7rocprim17ROCPRIM_400000_NS6detail17trampoline_kernelINS0_14default_configENS1_22reduce_config_selectorIbEEZNS1_11reduce_implILb1ES3_N6hipcub16HIPCUB_304000_NS22TransformInputIteratorIb7NonZeroIfEPflEEPllNS8_6detail34convert_binary_result_type_wrapperINS8_3SumESD_lEEEE10hipError_tPvRmT1_T2_T3_mT4_P12ihipStream_tbEUlT_E1_NS1_11comp_targetILNS1_3genE10ELNS1_11target_archE1200ELNS1_3gpuE4ELNS1_3repE0EEENS1_30default_config_static_selectorELNS0_4arch9wavefront6targetE1EEEvSM_ ; -- Begin function _ZN7rocprim17ROCPRIM_400000_NS6detail17trampoline_kernelINS0_14default_configENS1_22reduce_config_selectorIbEEZNS1_11reduce_implILb1ES3_N6hipcub16HIPCUB_304000_NS22TransformInputIteratorIb7NonZeroIfEPflEEPllNS8_6detail34convert_binary_result_type_wrapperINS8_3SumESD_lEEEE10hipError_tPvRmT1_T2_T3_mT4_P12ihipStream_tbEUlT_E1_NS1_11comp_targetILNS1_3genE10ELNS1_11target_archE1200ELNS1_3gpuE4ELNS1_3repE0EEENS1_30default_config_static_selectorELNS0_4arch9wavefront6targetE1EEEvSM_
	.globl	_ZN7rocprim17ROCPRIM_400000_NS6detail17trampoline_kernelINS0_14default_configENS1_22reduce_config_selectorIbEEZNS1_11reduce_implILb1ES3_N6hipcub16HIPCUB_304000_NS22TransformInputIteratorIb7NonZeroIfEPflEEPllNS8_6detail34convert_binary_result_type_wrapperINS8_3SumESD_lEEEE10hipError_tPvRmT1_T2_T3_mT4_P12ihipStream_tbEUlT_E1_NS1_11comp_targetILNS1_3genE10ELNS1_11target_archE1200ELNS1_3gpuE4ELNS1_3repE0EEENS1_30default_config_static_selectorELNS0_4arch9wavefront6targetE1EEEvSM_
	.p2align	8
	.type	_ZN7rocprim17ROCPRIM_400000_NS6detail17trampoline_kernelINS0_14default_configENS1_22reduce_config_selectorIbEEZNS1_11reduce_implILb1ES3_N6hipcub16HIPCUB_304000_NS22TransformInputIteratorIb7NonZeroIfEPflEEPllNS8_6detail34convert_binary_result_type_wrapperINS8_3SumESD_lEEEE10hipError_tPvRmT1_T2_T3_mT4_P12ihipStream_tbEUlT_E1_NS1_11comp_targetILNS1_3genE10ELNS1_11target_archE1200ELNS1_3gpuE4ELNS1_3repE0EEENS1_30default_config_static_selectorELNS0_4arch9wavefront6targetE1EEEvSM_,@function
_ZN7rocprim17ROCPRIM_400000_NS6detail17trampoline_kernelINS0_14default_configENS1_22reduce_config_selectorIbEEZNS1_11reduce_implILb1ES3_N6hipcub16HIPCUB_304000_NS22TransformInputIteratorIb7NonZeroIfEPflEEPllNS8_6detail34convert_binary_result_type_wrapperINS8_3SumESD_lEEEE10hipError_tPvRmT1_T2_T3_mT4_P12ihipStream_tbEUlT_E1_NS1_11comp_targetILNS1_3genE10ELNS1_11target_archE1200ELNS1_3gpuE4ELNS1_3repE0EEENS1_30default_config_static_selectorELNS0_4arch9wavefront6targetE1EEEvSM_: ; @_ZN7rocprim17ROCPRIM_400000_NS6detail17trampoline_kernelINS0_14default_configENS1_22reduce_config_selectorIbEEZNS1_11reduce_implILb1ES3_N6hipcub16HIPCUB_304000_NS22TransformInputIteratorIb7NonZeroIfEPflEEPllNS8_6detail34convert_binary_result_type_wrapperINS8_3SumESD_lEEEE10hipError_tPvRmT1_T2_T3_mT4_P12ihipStream_tbEUlT_E1_NS1_11comp_targetILNS1_3genE10ELNS1_11target_archE1200ELNS1_3gpuE4ELNS1_3repE0EEENS1_30default_config_static_selectorELNS0_4arch9wavefront6targetE1EEEvSM_
; %bb.0:
	.section	.rodata,"a",@progbits
	.p2align	6, 0x0
	.amdhsa_kernel _ZN7rocprim17ROCPRIM_400000_NS6detail17trampoline_kernelINS0_14default_configENS1_22reduce_config_selectorIbEEZNS1_11reduce_implILb1ES3_N6hipcub16HIPCUB_304000_NS22TransformInputIteratorIb7NonZeroIfEPflEEPllNS8_6detail34convert_binary_result_type_wrapperINS8_3SumESD_lEEEE10hipError_tPvRmT1_T2_T3_mT4_P12ihipStream_tbEUlT_E1_NS1_11comp_targetILNS1_3genE10ELNS1_11target_archE1200ELNS1_3gpuE4ELNS1_3repE0EEENS1_30default_config_static_selectorELNS0_4arch9wavefront6targetE1EEEvSM_
		.amdhsa_group_segment_fixed_size 0
		.amdhsa_private_segment_fixed_size 0
		.amdhsa_kernarg_size 56
		.amdhsa_user_sgpr_count 2
		.amdhsa_user_sgpr_dispatch_ptr 0
		.amdhsa_user_sgpr_queue_ptr 0
		.amdhsa_user_sgpr_kernarg_segment_ptr 1
		.amdhsa_user_sgpr_dispatch_id 0
		.amdhsa_user_sgpr_kernarg_preload_length 0
		.amdhsa_user_sgpr_kernarg_preload_offset 0
		.amdhsa_user_sgpr_private_segment_size 0
		.amdhsa_uses_dynamic_stack 0
		.amdhsa_enable_private_segment 0
		.amdhsa_system_sgpr_workgroup_id_x 1
		.amdhsa_system_sgpr_workgroup_id_y 0
		.amdhsa_system_sgpr_workgroup_id_z 0
		.amdhsa_system_sgpr_workgroup_info 0
		.amdhsa_system_vgpr_workitem_id 0
		.amdhsa_next_free_vgpr 1
		.amdhsa_next_free_sgpr 0
		.amdhsa_accum_offset 4
		.amdhsa_reserve_vcc 0
		.amdhsa_float_round_mode_32 0
		.amdhsa_float_round_mode_16_64 0
		.amdhsa_float_denorm_mode_32 3
		.amdhsa_float_denorm_mode_16_64 3
		.amdhsa_dx10_clamp 1
		.amdhsa_ieee_mode 1
		.amdhsa_fp16_overflow 0
		.amdhsa_tg_split 0
		.amdhsa_exception_fp_ieee_invalid_op 0
		.amdhsa_exception_fp_denorm_src 0
		.amdhsa_exception_fp_ieee_div_zero 0
		.amdhsa_exception_fp_ieee_overflow 0
		.amdhsa_exception_fp_ieee_underflow 0
		.amdhsa_exception_fp_ieee_inexact 0
		.amdhsa_exception_int_div_zero 0
	.end_amdhsa_kernel
	.section	.text._ZN7rocprim17ROCPRIM_400000_NS6detail17trampoline_kernelINS0_14default_configENS1_22reduce_config_selectorIbEEZNS1_11reduce_implILb1ES3_N6hipcub16HIPCUB_304000_NS22TransformInputIteratorIb7NonZeroIfEPflEEPllNS8_6detail34convert_binary_result_type_wrapperINS8_3SumESD_lEEEE10hipError_tPvRmT1_T2_T3_mT4_P12ihipStream_tbEUlT_E1_NS1_11comp_targetILNS1_3genE10ELNS1_11target_archE1200ELNS1_3gpuE4ELNS1_3repE0EEENS1_30default_config_static_selectorELNS0_4arch9wavefront6targetE1EEEvSM_,"axG",@progbits,_ZN7rocprim17ROCPRIM_400000_NS6detail17trampoline_kernelINS0_14default_configENS1_22reduce_config_selectorIbEEZNS1_11reduce_implILb1ES3_N6hipcub16HIPCUB_304000_NS22TransformInputIteratorIb7NonZeroIfEPflEEPllNS8_6detail34convert_binary_result_type_wrapperINS8_3SumESD_lEEEE10hipError_tPvRmT1_T2_T3_mT4_P12ihipStream_tbEUlT_E1_NS1_11comp_targetILNS1_3genE10ELNS1_11target_archE1200ELNS1_3gpuE4ELNS1_3repE0EEENS1_30default_config_static_selectorELNS0_4arch9wavefront6targetE1EEEvSM_,comdat
.Lfunc_end250:
	.size	_ZN7rocprim17ROCPRIM_400000_NS6detail17trampoline_kernelINS0_14default_configENS1_22reduce_config_selectorIbEEZNS1_11reduce_implILb1ES3_N6hipcub16HIPCUB_304000_NS22TransformInputIteratorIb7NonZeroIfEPflEEPllNS8_6detail34convert_binary_result_type_wrapperINS8_3SumESD_lEEEE10hipError_tPvRmT1_T2_T3_mT4_P12ihipStream_tbEUlT_E1_NS1_11comp_targetILNS1_3genE10ELNS1_11target_archE1200ELNS1_3gpuE4ELNS1_3repE0EEENS1_30default_config_static_selectorELNS0_4arch9wavefront6targetE1EEEvSM_, .Lfunc_end250-_ZN7rocprim17ROCPRIM_400000_NS6detail17trampoline_kernelINS0_14default_configENS1_22reduce_config_selectorIbEEZNS1_11reduce_implILb1ES3_N6hipcub16HIPCUB_304000_NS22TransformInputIteratorIb7NonZeroIfEPflEEPllNS8_6detail34convert_binary_result_type_wrapperINS8_3SumESD_lEEEE10hipError_tPvRmT1_T2_T3_mT4_P12ihipStream_tbEUlT_E1_NS1_11comp_targetILNS1_3genE10ELNS1_11target_archE1200ELNS1_3gpuE4ELNS1_3repE0EEENS1_30default_config_static_selectorELNS0_4arch9wavefront6targetE1EEEvSM_
                                        ; -- End function
	.set _ZN7rocprim17ROCPRIM_400000_NS6detail17trampoline_kernelINS0_14default_configENS1_22reduce_config_selectorIbEEZNS1_11reduce_implILb1ES3_N6hipcub16HIPCUB_304000_NS22TransformInputIteratorIb7NonZeroIfEPflEEPllNS8_6detail34convert_binary_result_type_wrapperINS8_3SumESD_lEEEE10hipError_tPvRmT1_T2_T3_mT4_P12ihipStream_tbEUlT_E1_NS1_11comp_targetILNS1_3genE10ELNS1_11target_archE1200ELNS1_3gpuE4ELNS1_3repE0EEENS1_30default_config_static_selectorELNS0_4arch9wavefront6targetE1EEEvSM_.num_vgpr, 0
	.set _ZN7rocprim17ROCPRIM_400000_NS6detail17trampoline_kernelINS0_14default_configENS1_22reduce_config_selectorIbEEZNS1_11reduce_implILb1ES3_N6hipcub16HIPCUB_304000_NS22TransformInputIteratorIb7NonZeroIfEPflEEPllNS8_6detail34convert_binary_result_type_wrapperINS8_3SumESD_lEEEE10hipError_tPvRmT1_T2_T3_mT4_P12ihipStream_tbEUlT_E1_NS1_11comp_targetILNS1_3genE10ELNS1_11target_archE1200ELNS1_3gpuE4ELNS1_3repE0EEENS1_30default_config_static_selectorELNS0_4arch9wavefront6targetE1EEEvSM_.num_agpr, 0
	.set _ZN7rocprim17ROCPRIM_400000_NS6detail17trampoline_kernelINS0_14default_configENS1_22reduce_config_selectorIbEEZNS1_11reduce_implILb1ES3_N6hipcub16HIPCUB_304000_NS22TransformInputIteratorIb7NonZeroIfEPflEEPllNS8_6detail34convert_binary_result_type_wrapperINS8_3SumESD_lEEEE10hipError_tPvRmT1_T2_T3_mT4_P12ihipStream_tbEUlT_E1_NS1_11comp_targetILNS1_3genE10ELNS1_11target_archE1200ELNS1_3gpuE4ELNS1_3repE0EEENS1_30default_config_static_selectorELNS0_4arch9wavefront6targetE1EEEvSM_.numbered_sgpr, 0
	.set _ZN7rocprim17ROCPRIM_400000_NS6detail17trampoline_kernelINS0_14default_configENS1_22reduce_config_selectorIbEEZNS1_11reduce_implILb1ES3_N6hipcub16HIPCUB_304000_NS22TransformInputIteratorIb7NonZeroIfEPflEEPllNS8_6detail34convert_binary_result_type_wrapperINS8_3SumESD_lEEEE10hipError_tPvRmT1_T2_T3_mT4_P12ihipStream_tbEUlT_E1_NS1_11comp_targetILNS1_3genE10ELNS1_11target_archE1200ELNS1_3gpuE4ELNS1_3repE0EEENS1_30default_config_static_selectorELNS0_4arch9wavefront6targetE1EEEvSM_.num_named_barrier, 0
	.set _ZN7rocprim17ROCPRIM_400000_NS6detail17trampoline_kernelINS0_14default_configENS1_22reduce_config_selectorIbEEZNS1_11reduce_implILb1ES3_N6hipcub16HIPCUB_304000_NS22TransformInputIteratorIb7NonZeroIfEPflEEPllNS8_6detail34convert_binary_result_type_wrapperINS8_3SumESD_lEEEE10hipError_tPvRmT1_T2_T3_mT4_P12ihipStream_tbEUlT_E1_NS1_11comp_targetILNS1_3genE10ELNS1_11target_archE1200ELNS1_3gpuE4ELNS1_3repE0EEENS1_30default_config_static_selectorELNS0_4arch9wavefront6targetE1EEEvSM_.private_seg_size, 0
	.set _ZN7rocprim17ROCPRIM_400000_NS6detail17trampoline_kernelINS0_14default_configENS1_22reduce_config_selectorIbEEZNS1_11reduce_implILb1ES3_N6hipcub16HIPCUB_304000_NS22TransformInputIteratorIb7NonZeroIfEPflEEPllNS8_6detail34convert_binary_result_type_wrapperINS8_3SumESD_lEEEE10hipError_tPvRmT1_T2_T3_mT4_P12ihipStream_tbEUlT_E1_NS1_11comp_targetILNS1_3genE10ELNS1_11target_archE1200ELNS1_3gpuE4ELNS1_3repE0EEENS1_30default_config_static_selectorELNS0_4arch9wavefront6targetE1EEEvSM_.uses_vcc, 0
	.set _ZN7rocprim17ROCPRIM_400000_NS6detail17trampoline_kernelINS0_14default_configENS1_22reduce_config_selectorIbEEZNS1_11reduce_implILb1ES3_N6hipcub16HIPCUB_304000_NS22TransformInputIteratorIb7NonZeroIfEPflEEPllNS8_6detail34convert_binary_result_type_wrapperINS8_3SumESD_lEEEE10hipError_tPvRmT1_T2_T3_mT4_P12ihipStream_tbEUlT_E1_NS1_11comp_targetILNS1_3genE10ELNS1_11target_archE1200ELNS1_3gpuE4ELNS1_3repE0EEENS1_30default_config_static_selectorELNS0_4arch9wavefront6targetE1EEEvSM_.uses_flat_scratch, 0
	.set _ZN7rocprim17ROCPRIM_400000_NS6detail17trampoline_kernelINS0_14default_configENS1_22reduce_config_selectorIbEEZNS1_11reduce_implILb1ES3_N6hipcub16HIPCUB_304000_NS22TransformInputIteratorIb7NonZeroIfEPflEEPllNS8_6detail34convert_binary_result_type_wrapperINS8_3SumESD_lEEEE10hipError_tPvRmT1_T2_T3_mT4_P12ihipStream_tbEUlT_E1_NS1_11comp_targetILNS1_3genE10ELNS1_11target_archE1200ELNS1_3gpuE4ELNS1_3repE0EEENS1_30default_config_static_selectorELNS0_4arch9wavefront6targetE1EEEvSM_.has_dyn_sized_stack, 0
	.set _ZN7rocprim17ROCPRIM_400000_NS6detail17trampoline_kernelINS0_14default_configENS1_22reduce_config_selectorIbEEZNS1_11reduce_implILb1ES3_N6hipcub16HIPCUB_304000_NS22TransformInputIteratorIb7NonZeroIfEPflEEPllNS8_6detail34convert_binary_result_type_wrapperINS8_3SumESD_lEEEE10hipError_tPvRmT1_T2_T3_mT4_P12ihipStream_tbEUlT_E1_NS1_11comp_targetILNS1_3genE10ELNS1_11target_archE1200ELNS1_3gpuE4ELNS1_3repE0EEENS1_30default_config_static_selectorELNS0_4arch9wavefront6targetE1EEEvSM_.has_recursion, 0
	.set _ZN7rocprim17ROCPRIM_400000_NS6detail17trampoline_kernelINS0_14default_configENS1_22reduce_config_selectorIbEEZNS1_11reduce_implILb1ES3_N6hipcub16HIPCUB_304000_NS22TransformInputIteratorIb7NonZeroIfEPflEEPllNS8_6detail34convert_binary_result_type_wrapperINS8_3SumESD_lEEEE10hipError_tPvRmT1_T2_T3_mT4_P12ihipStream_tbEUlT_E1_NS1_11comp_targetILNS1_3genE10ELNS1_11target_archE1200ELNS1_3gpuE4ELNS1_3repE0EEENS1_30default_config_static_selectorELNS0_4arch9wavefront6targetE1EEEvSM_.has_indirect_call, 0
	.section	.AMDGPU.csdata,"",@progbits
; Kernel info:
; codeLenInByte = 0
; TotalNumSgprs: 6
; NumVgprs: 0
; NumAgprs: 0
; TotalNumVgprs: 0
; ScratchSize: 0
; MemoryBound: 0
; FloatMode: 240
; IeeeMode: 1
; LDSByteSize: 0 bytes/workgroup (compile time only)
; SGPRBlocks: 0
; VGPRBlocks: 0
; NumSGPRsForWavesPerEU: 6
; NumVGPRsForWavesPerEU: 1
; AccumOffset: 4
; Occupancy: 8
; WaveLimiterHint : 0
; COMPUTE_PGM_RSRC2:SCRATCH_EN: 0
; COMPUTE_PGM_RSRC2:USER_SGPR: 2
; COMPUTE_PGM_RSRC2:TRAP_HANDLER: 0
; COMPUTE_PGM_RSRC2:TGID_X_EN: 1
; COMPUTE_PGM_RSRC2:TGID_Y_EN: 0
; COMPUTE_PGM_RSRC2:TGID_Z_EN: 0
; COMPUTE_PGM_RSRC2:TIDIG_COMP_CNT: 0
; COMPUTE_PGM_RSRC3_GFX90A:ACCUM_OFFSET: 0
; COMPUTE_PGM_RSRC3_GFX90A:TG_SPLIT: 0
	.section	.text._ZN7rocprim17ROCPRIM_400000_NS6detail17trampoline_kernelINS0_14default_configENS1_22reduce_config_selectorIbEEZNS1_11reduce_implILb1ES3_N6hipcub16HIPCUB_304000_NS22TransformInputIteratorIb7NonZeroIfEPflEEPllNS8_6detail34convert_binary_result_type_wrapperINS8_3SumESD_lEEEE10hipError_tPvRmT1_T2_T3_mT4_P12ihipStream_tbEUlT_E1_NS1_11comp_targetILNS1_3genE9ELNS1_11target_archE1100ELNS1_3gpuE3ELNS1_3repE0EEENS1_30default_config_static_selectorELNS0_4arch9wavefront6targetE1EEEvSM_,"axG",@progbits,_ZN7rocprim17ROCPRIM_400000_NS6detail17trampoline_kernelINS0_14default_configENS1_22reduce_config_selectorIbEEZNS1_11reduce_implILb1ES3_N6hipcub16HIPCUB_304000_NS22TransformInputIteratorIb7NonZeroIfEPflEEPllNS8_6detail34convert_binary_result_type_wrapperINS8_3SumESD_lEEEE10hipError_tPvRmT1_T2_T3_mT4_P12ihipStream_tbEUlT_E1_NS1_11comp_targetILNS1_3genE9ELNS1_11target_archE1100ELNS1_3gpuE3ELNS1_3repE0EEENS1_30default_config_static_selectorELNS0_4arch9wavefront6targetE1EEEvSM_,comdat
	.protected	_ZN7rocprim17ROCPRIM_400000_NS6detail17trampoline_kernelINS0_14default_configENS1_22reduce_config_selectorIbEEZNS1_11reduce_implILb1ES3_N6hipcub16HIPCUB_304000_NS22TransformInputIteratorIb7NonZeroIfEPflEEPllNS8_6detail34convert_binary_result_type_wrapperINS8_3SumESD_lEEEE10hipError_tPvRmT1_T2_T3_mT4_P12ihipStream_tbEUlT_E1_NS1_11comp_targetILNS1_3genE9ELNS1_11target_archE1100ELNS1_3gpuE3ELNS1_3repE0EEENS1_30default_config_static_selectorELNS0_4arch9wavefront6targetE1EEEvSM_ ; -- Begin function _ZN7rocprim17ROCPRIM_400000_NS6detail17trampoline_kernelINS0_14default_configENS1_22reduce_config_selectorIbEEZNS1_11reduce_implILb1ES3_N6hipcub16HIPCUB_304000_NS22TransformInputIteratorIb7NonZeroIfEPflEEPllNS8_6detail34convert_binary_result_type_wrapperINS8_3SumESD_lEEEE10hipError_tPvRmT1_T2_T3_mT4_P12ihipStream_tbEUlT_E1_NS1_11comp_targetILNS1_3genE9ELNS1_11target_archE1100ELNS1_3gpuE3ELNS1_3repE0EEENS1_30default_config_static_selectorELNS0_4arch9wavefront6targetE1EEEvSM_
	.globl	_ZN7rocprim17ROCPRIM_400000_NS6detail17trampoline_kernelINS0_14default_configENS1_22reduce_config_selectorIbEEZNS1_11reduce_implILb1ES3_N6hipcub16HIPCUB_304000_NS22TransformInputIteratorIb7NonZeroIfEPflEEPllNS8_6detail34convert_binary_result_type_wrapperINS8_3SumESD_lEEEE10hipError_tPvRmT1_T2_T3_mT4_P12ihipStream_tbEUlT_E1_NS1_11comp_targetILNS1_3genE9ELNS1_11target_archE1100ELNS1_3gpuE3ELNS1_3repE0EEENS1_30default_config_static_selectorELNS0_4arch9wavefront6targetE1EEEvSM_
	.p2align	8
	.type	_ZN7rocprim17ROCPRIM_400000_NS6detail17trampoline_kernelINS0_14default_configENS1_22reduce_config_selectorIbEEZNS1_11reduce_implILb1ES3_N6hipcub16HIPCUB_304000_NS22TransformInputIteratorIb7NonZeroIfEPflEEPllNS8_6detail34convert_binary_result_type_wrapperINS8_3SumESD_lEEEE10hipError_tPvRmT1_T2_T3_mT4_P12ihipStream_tbEUlT_E1_NS1_11comp_targetILNS1_3genE9ELNS1_11target_archE1100ELNS1_3gpuE3ELNS1_3repE0EEENS1_30default_config_static_selectorELNS0_4arch9wavefront6targetE1EEEvSM_,@function
_ZN7rocprim17ROCPRIM_400000_NS6detail17trampoline_kernelINS0_14default_configENS1_22reduce_config_selectorIbEEZNS1_11reduce_implILb1ES3_N6hipcub16HIPCUB_304000_NS22TransformInputIteratorIb7NonZeroIfEPflEEPllNS8_6detail34convert_binary_result_type_wrapperINS8_3SumESD_lEEEE10hipError_tPvRmT1_T2_T3_mT4_P12ihipStream_tbEUlT_E1_NS1_11comp_targetILNS1_3genE9ELNS1_11target_archE1100ELNS1_3gpuE3ELNS1_3repE0EEENS1_30default_config_static_selectorELNS0_4arch9wavefront6targetE1EEEvSM_: ; @_ZN7rocprim17ROCPRIM_400000_NS6detail17trampoline_kernelINS0_14default_configENS1_22reduce_config_selectorIbEEZNS1_11reduce_implILb1ES3_N6hipcub16HIPCUB_304000_NS22TransformInputIteratorIb7NonZeroIfEPflEEPllNS8_6detail34convert_binary_result_type_wrapperINS8_3SumESD_lEEEE10hipError_tPvRmT1_T2_T3_mT4_P12ihipStream_tbEUlT_E1_NS1_11comp_targetILNS1_3genE9ELNS1_11target_archE1100ELNS1_3gpuE3ELNS1_3repE0EEENS1_30default_config_static_selectorELNS0_4arch9wavefront6targetE1EEEvSM_
; %bb.0:
	.section	.rodata,"a",@progbits
	.p2align	6, 0x0
	.amdhsa_kernel _ZN7rocprim17ROCPRIM_400000_NS6detail17trampoline_kernelINS0_14default_configENS1_22reduce_config_selectorIbEEZNS1_11reduce_implILb1ES3_N6hipcub16HIPCUB_304000_NS22TransformInputIteratorIb7NonZeroIfEPflEEPllNS8_6detail34convert_binary_result_type_wrapperINS8_3SumESD_lEEEE10hipError_tPvRmT1_T2_T3_mT4_P12ihipStream_tbEUlT_E1_NS1_11comp_targetILNS1_3genE9ELNS1_11target_archE1100ELNS1_3gpuE3ELNS1_3repE0EEENS1_30default_config_static_selectorELNS0_4arch9wavefront6targetE1EEEvSM_
		.amdhsa_group_segment_fixed_size 0
		.amdhsa_private_segment_fixed_size 0
		.amdhsa_kernarg_size 56
		.amdhsa_user_sgpr_count 2
		.amdhsa_user_sgpr_dispatch_ptr 0
		.amdhsa_user_sgpr_queue_ptr 0
		.amdhsa_user_sgpr_kernarg_segment_ptr 1
		.amdhsa_user_sgpr_dispatch_id 0
		.amdhsa_user_sgpr_kernarg_preload_length 0
		.amdhsa_user_sgpr_kernarg_preload_offset 0
		.amdhsa_user_sgpr_private_segment_size 0
		.amdhsa_uses_dynamic_stack 0
		.amdhsa_enable_private_segment 0
		.amdhsa_system_sgpr_workgroup_id_x 1
		.amdhsa_system_sgpr_workgroup_id_y 0
		.amdhsa_system_sgpr_workgroup_id_z 0
		.amdhsa_system_sgpr_workgroup_info 0
		.amdhsa_system_vgpr_workitem_id 0
		.amdhsa_next_free_vgpr 1
		.amdhsa_next_free_sgpr 0
		.amdhsa_accum_offset 4
		.amdhsa_reserve_vcc 0
		.amdhsa_float_round_mode_32 0
		.amdhsa_float_round_mode_16_64 0
		.amdhsa_float_denorm_mode_32 3
		.amdhsa_float_denorm_mode_16_64 3
		.amdhsa_dx10_clamp 1
		.amdhsa_ieee_mode 1
		.amdhsa_fp16_overflow 0
		.amdhsa_tg_split 0
		.amdhsa_exception_fp_ieee_invalid_op 0
		.amdhsa_exception_fp_denorm_src 0
		.amdhsa_exception_fp_ieee_div_zero 0
		.amdhsa_exception_fp_ieee_overflow 0
		.amdhsa_exception_fp_ieee_underflow 0
		.amdhsa_exception_fp_ieee_inexact 0
		.amdhsa_exception_int_div_zero 0
	.end_amdhsa_kernel
	.section	.text._ZN7rocprim17ROCPRIM_400000_NS6detail17trampoline_kernelINS0_14default_configENS1_22reduce_config_selectorIbEEZNS1_11reduce_implILb1ES3_N6hipcub16HIPCUB_304000_NS22TransformInputIteratorIb7NonZeroIfEPflEEPllNS8_6detail34convert_binary_result_type_wrapperINS8_3SumESD_lEEEE10hipError_tPvRmT1_T2_T3_mT4_P12ihipStream_tbEUlT_E1_NS1_11comp_targetILNS1_3genE9ELNS1_11target_archE1100ELNS1_3gpuE3ELNS1_3repE0EEENS1_30default_config_static_selectorELNS0_4arch9wavefront6targetE1EEEvSM_,"axG",@progbits,_ZN7rocprim17ROCPRIM_400000_NS6detail17trampoline_kernelINS0_14default_configENS1_22reduce_config_selectorIbEEZNS1_11reduce_implILb1ES3_N6hipcub16HIPCUB_304000_NS22TransformInputIteratorIb7NonZeroIfEPflEEPllNS8_6detail34convert_binary_result_type_wrapperINS8_3SumESD_lEEEE10hipError_tPvRmT1_T2_T3_mT4_P12ihipStream_tbEUlT_E1_NS1_11comp_targetILNS1_3genE9ELNS1_11target_archE1100ELNS1_3gpuE3ELNS1_3repE0EEENS1_30default_config_static_selectorELNS0_4arch9wavefront6targetE1EEEvSM_,comdat
.Lfunc_end251:
	.size	_ZN7rocprim17ROCPRIM_400000_NS6detail17trampoline_kernelINS0_14default_configENS1_22reduce_config_selectorIbEEZNS1_11reduce_implILb1ES3_N6hipcub16HIPCUB_304000_NS22TransformInputIteratorIb7NonZeroIfEPflEEPllNS8_6detail34convert_binary_result_type_wrapperINS8_3SumESD_lEEEE10hipError_tPvRmT1_T2_T3_mT4_P12ihipStream_tbEUlT_E1_NS1_11comp_targetILNS1_3genE9ELNS1_11target_archE1100ELNS1_3gpuE3ELNS1_3repE0EEENS1_30default_config_static_selectorELNS0_4arch9wavefront6targetE1EEEvSM_, .Lfunc_end251-_ZN7rocprim17ROCPRIM_400000_NS6detail17trampoline_kernelINS0_14default_configENS1_22reduce_config_selectorIbEEZNS1_11reduce_implILb1ES3_N6hipcub16HIPCUB_304000_NS22TransformInputIteratorIb7NonZeroIfEPflEEPllNS8_6detail34convert_binary_result_type_wrapperINS8_3SumESD_lEEEE10hipError_tPvRmT1_T2_T3_mT4_P12ihipStream_tbEUlT_E1_NS1_11comp_targetILNS1_3genE9ELNS1_11target_archE1100ELNS1_3gpuE3ELNS1_3repE0EEENS1_30default_config_static_selectorELNS0_4arch9wavefront6targetE1EEEvSM_
                                        ; -- End function
	.set _ZN7rocprim17ROCPRIM_400000_NS6detail17trampoline_kernelINS0_14default_configENS1_22reduce_config_selectorIbEEZNS1_11reduce_implILb1ES3_N6hipcub16HIPCUB_304000_NS22TransformInputIteratorIb7NonZeroIfEPflEEPllNS8_6detail34convert_binary_result_type_wrapperINS8_3SumESD_lEEEE10hipError_tPvRmT1_T2_T3_mT4_P12ihipStream_tbEUlT_E1_NS1_11comp_targetILNS1_3genE9ELNS1_11target_archE1100ELNS1_3gpuE3ELNS1_3repE0EEENS1_30default_config_static_selectorELNS0_4arch9wavefront6targetE1EEEvSM_.num_vgpr, 0
	.set _ZN7rocprim17ROCPRIM_400000_NS6detail17trampoline_kernelINS0_14default_configENS1_22reduce_config_selectorIbEEZNS1_11reduce_implILb1ES3_N6hipcub16HIPCUB_304000_NS22TransformInputIteratorIb7NonZeroIfEPflEEPllNS8_6detail34convert_binary_result_type_wrapperINS8_3SumESD_lEEEE10hipError_tPvRmT1_T2_T3_mT4_P12ihipStream_tbEUlT_E1_NS1_11comp_targetILNS1_3genE9ELNS1_11target_archE1100ELNS1_3gpuE3ELNS1_3repE0EEENS1_30default_config_static_selectorELNS0_4arch9wavefront6targetE1EEEvSM_.num_agpr, 0
	.set _ZN7rocprim17ROCPRIM_400000_NS6detail17trampoline_kernelINS0_14default_configENS1_22reduce_config_selectorIbEEZNS1_11reduce_implILb1ES3_N6hipcub16HIPCUB_304000_NS22TransformInputIteratorIb7NonZeroIfEPflEEPllNS8_6detail34convert_binary_result_type_wrapperINS8_3SumESD_lEEEE10hipError_tPvRmT1_T2_T3_mT4_P12ihipStream_tbEUlT_E1_NS1_11comp_targetILNS1_3genE9ELNS1_11target_archE1100ELNS1_3gpuE3ELNS1_3repE0EEENS1_30default_config_static_selectorELNS0_4arch9wavefront6targetE1EEEvSM_.numbered_sgpr, 0
	.set _ZN7rocprim17ROCPRIM_400000_NS6detail17trampoline_kernelINS0_14default_configENS1_22reduce_config_selectorIbEEZNS1_11reduce_implILb1ES3_N6hipcub16HIPCUB_304000_NS22TransformInputIteratorIb7NonZeroIfEPflEEPllNS8_6detail34convert_binary_result_type_wrapperINS8_3SumESD_lEEEE10hipError_tPvRmT1_T2_T3_mT4_P12ihipStream_tbEUlT_E1_NS1_11comp_targetILNS1_3genE9ELNS1_11target_archE1100ELNS1_3gpuE3ELNS1_3repE0EEENS1_30default_config_static_selectorELNS0_4arch9wavefront6targetE1EEEvSM_.num_named_barrier, 0
	.set _ZN7rocprim17ROCPRIM_400000_NS6detail17trampoline_kernelINS0_14default_configENS1_22reduce_config_selectorIbEEZNS1_11reduce_implILb1ES3_N6hipcub16HIPCUB_304000_NS22TransformInputIteratorIb7NonZeroIfEPflEEPllNS8_6detail34convert_binary_result_type_wrapperINS8_3SumESD_lEEEE10hipError_tPvRmT1_T2_T3_mT4_P12ihipStream_tbEUlT_E1_NS1_11comp_targetILNS1_3genE9ELNS1_11target_archE1100ELNS1_3gpuE3ELNS1_3repE0EEENS1_30default_config_static_selectorELNS0_4arch9wavefront6targetE1EEEvSM_.private_seg_size, 0
	.set _ZN7rocprim17ROCPRIM_400000_NS6detail17trampoline_kernelINS0_14default_configENS1_22reduce_config_selectorIbEEZNS1_11reduce_implILb1ES3_N6hipcub16HIPCUB_304000_NS22TransformInputIteratorIb7NonZeroIfEPflEEPllNS8_6detail34convert_binary_result_type_wrapperINS8_3SumESD_lEEEE10hipError_tPvRmT1_T2_T3_mT4_P12ihipStream_tbEUlT_E1_NS1_11comp_targetILNS1_3genE9ELNS1_11target_archE1100ELNS1_3gpuE3ELNS1_3repE0EEENS1_30default_config_static_selectorELNS0_4arch9wavefront6targetE1EEEvSM_.uses_vcc, 0
	.set _ZN7rocprim17ROCPRIM_400000_NS6detail17trampoline_kernelINS0_14default_configENS1_22reduce_config_selectorIbEEZNS1_11reduce_implILb1ES3_N6hipcub16HIPCUB_304000_NS22TransformInputIteratorIb7NonZeroIfEPflEEPllNS8_6detail34convert_binary_result_type_wrapperINS8_3SumESD_lEEEE10hipError_tPvRmT1_T2_T3_mT4_P12ihipStream_tbEUlT_E1_NS1_11comp_targetILNS1_3genE9ELNS1_11target_archE1100ELNS1_3gpuE3ELNS1_3repE0EEENS1_30default_config_static_selectorELNS0_4arch9wavefront6targetE1EEEvSM_.uses_flat_scratch, 0
	.set _ZN7rocprim17ROCPRIM_400000_NS6detail17trampoline_kernelINS0_14default_configENS1_22reduce_config_selectorIbEEZNS1_11reduce_implILb1ES3_N6hipcub16HIPCUB_304000_NS22TransformInputIteratorIb7NonZeroIfEPflEEPllNS8_6detail34convert_binary_result_type_wrapperINS8_3SumESD_lEEEE10hipError_tPvRmT1_T2_T3_mT4_P12ihipStream_tbEUlT_E1_NS1_11comp_targetILNS1_3genE9ELNS1_11target_archE1100ELNS1_3gpuE3ELNS1_3repE0EEENS1_30default_config_static_selectorELNS0_4arch9wavefront6targetE1EEEvSM_.has_dyn_sized_stack, 0
	.set _ZN7rocprim17ROCPRIM_400000_NS6detail17trampoline_kernelINS0_14default_configENS1_22reduce_config_selectorIbEEZNS1_11reduce_implILb1ES3_N6hipcub16HIPCUB_304000_NS22TransformInputIteratorIb7NonZeroIfEPflEEPllNS8_6detail34convert_binary_result_type_wrapperINS8_3SumESD_lEEEE10hipError_tPvRmT1_T2_T3_mT4_P12ihipStream_tbEUlT_E1_NS1_11comp_targetILNS1_3genE9ELNS1_11target_archE1100ELNS1_3gpuE3ELNS1_3repE0EEENS1_30default_config_static_selectorELNS0_4arch9wavefront6targetE1EEEvSM_.has_recursion, 0
	.set _ZN7rocprim17ROCPRIM_400000_NS6detail17trampoline_kernelINS0_14default_configENS1_22reduce_config_selectorIbEEZNS1_11reduce_implILb1ES3_N6hipcub16HIPCUB_304000_NS22TransformInputIteratorIb7NonZeroIfEPflEEPllNS8_6detail34convert_binary_result_type_wrapperINS8_3SumESD_lEEEE10hipError_tPvRmT1_T2_T3_mT4_P12ihipStream_tbEUlT_E1_NS1_11comp_targetILNS1_3genE9ELNS1_11target_archE1100ELNS1_3gpuE3ELNS1_3repE0EEENS1_30default_config_static_selectorELNS0_4arch9wavefront6targetE1EEEvSM_.has_indirect_call, 0
	.section	.AMDGPU.csdata,"",@progbits
; Kernel info:
; codeLenInByte = 0
; TotalNumSgprs: 6
; NumVgprs: 0
; NumAgprs: 0
; TotalNumVgprs: 0
; ScratchSize: 0
; MemoryBound: 0
; FloatMode: 240
; IeeeMode: 1
; LDSByteSize: 0 bytes/workgroup (compile time only)
; SGPRBlocks: 0
; VGPRBlocks: 0
; NumSGPRsForWavesPerEU: 6
; NumVGPRsForWavesPerEU: 1
; AccumOffset: 4
; Occupancy: 8
; WaveLimiterHint : 0
; COMPUTE_PGM_RSRC2:SCRATCH_EN: 0
; COMPUTE_PGM_RSRC2:USER_SGPR: 2
; COMPUTE_PGM_RSRC2:TRAP_HANDLER: 0
; COMPUTE_PGM_RSRC2:TGID_X_EN: 1
; COMPUTE_PGM_RSRC2:TGID_Y_EN: 0
; COMPUTE_PGM_RSRC2:TGID_Z_EN: 0
; COMPUTE_PGM_RSRC2:TIDIG_COMP_CNT: 0
; COMPUTE_PGM_RSRC3_GFX90A:ACCUM_OFFSET: 0
; COMPUTE_PGM_RSRC3_GFX90A:TG_SPLIT: 0
	.section	.text._ZN7rocprim17ROCPRIM_400000_NS6detail17trampoline_kernelINS0_14default_configENS1_22reduce_config_selectorIbEEZNS1_11reduce_implILb1ES3_N6hipcub16HIPCUB_304000_NS22TransformInputIteratorIb7NonZeroIfEPflEEPllNS8_6detail34convert_binary_result_type_wrapperINS8_3SumESD_lEEEE10hipError_tPvRmT1_T2_T3_mT4_P12ihipStream_tbEUlT_E1_NS1_11comp_targetILNS1_3genE8ELNS1_11target_archE1030ELNS1_3gpuE2ELNS1_3repE0EEENS1_30default_config_static_selectorELNS0_4arch9wavefront6targetE1EEEvSM_,"axG",@progbits,_ZN7rocprim17ROCPRIM_400000_NS6detail17trampoline_kernelINS0_14default_configENS1_22reduce_config_selectorIbEEZNS1_11reduce_implILb1ES3_N6hipcub16HIPCUB_304000_NS22TransformInputIteratorIb7NonZeroIfEPflEEPllNS8_6detail34convert_binary_result_type_wrapperINS8_3SumESD_lEEEE10hipError_tPvRmT1_T2_T3_mT4_P12ihipStream_tbEUlT_E1_NS1_11comp_targetILNS1_3genE8ELNS1_11target_archE1030ELNS1_3gpuE2ELNS1_3repE0EEENS1_30default_config_static_selectorELNS0_4arch9wavefront6targetE1EEEvSM_,comdat
	.protected	_ZN7rocprim17ROCPRIM_400000_NS6detail17trampoline_kernelINS0_14default_configENS1_22reduce_config_selectorIbEEZNS1_11reduce_implILb1ES3_N6hipcub16HIPCUB_304000_NS22TransformInputIteratorIb7NonZeroIfEPflEEPllNS8_6detail34convert_binary_result_type_wrapperINS8_3SumESD_lEEEE10hipError_tPvRmT1_T2_T3_mT4_P12ihipStream_tbEUlT_E1_NS1_11comp_targetILNS1_3genE8ELNS1_11target_archE1030ELNS1_3gpuE2ELNS1_3repE0EEENS1_30default_config_static_selectorELNS0_4arch9wavefront6targetE1EEEvSM_ ; -- Begin function _ZN7rocprim17ROCPRIM_400000_NS6detail17trampoline_kernelINS0_14default_configENS1_22reduce_config_selectorIbEEZNS1_11reduce_implILb1ES3_N6hipcub16HIPCUB_304000_NS22TransformInputIteratorIb7NonZeroIfEPflEEPllNS8_6detail34convert_binary_result_type_wrapperINS8_3SumESD_lEEEE10hipError_tPvRmT1_T2_T3_mT4_P12ihipStream_tbEUlT_E1_NS1_11comp_targetILNS1_3genE8ELNS1_11target_archE1030ELNS1_3gpuE2ELNS1_3repE0EEENS1_30default_config_static_selectorELNS0_4arch9wavefront6targetE1EEEvSM_
	.globl	_ZN7rocprim17ROCPRIM_400000_NS6detail17trampoline_kernelINS0_14default_configENS1_22reduce_config_selectorIbEEZNS1_11reduce_implILb1ES3_N6hipcub16HIPCUB_304000_NS22TransformInputIteratorIb7NonZeroIfEPflEEPllNS8_6detail34convert_binary_result_type_wrapperINS8_3SumESD_lEEEE10hipError_tPvRmT1_T2_T3_mT4_P12ihipStream_tbEUlT_E1_NS1_11comp_targetILNS1_3genE8ELNS1_11target_archE1030ELNS1_3gpuE2ELNS1_3repE0EEENS1_30default_config_static_selectorELNS0_4arch9wavefront6targetE1EEEvSM_
	.p2align	8
	.type	_ZN7rocprim17ROCPRIM_400000_NS6detail17trampoline_kernelINS0_14default_configENS1_22reduce_config_selectorIbEEZNS1_11reduce_implILb1ES3_N6hipcub16HIPCUB_304000_NS22TransformInputIteratorIb7NonZeroIfEPflEEPllNS8_6detail34convert_binary_result_type_wrapperINS8_3SumESD_lEEEE10hipError_tPvRmT1_T2_T3_mT4_P12ihipStream_tbEUlT_E1_NS1_11comp_targetILNS1_3genE8ELNS1_11target_archE1030ELNS1_3gpuE2ELNS1_3repE0EEENS1_30default_config_static_selectorELNS0_4arch9wavefront6targetE1EEEvSM_,@function
_ZN7rocprim17ROCPRIM_400000_NS6detail17trampoline_kernelINS0_14default_configENS1_22reduce_config_selectorIbEEZNS1_11reduce_implILb1ES3_N6hipcub16HIPCUB_304000_NS22TransformInputIteratorIb7NonZeroIfEPflEEPllNS8_6detail34convert_binary_result_type_wrapperINS8_3SumESD_lEEEE10hipError_tPvRmT1_T2_T3_mT4_P12ihipStream_tbEUlT_E1_NS1_11comp_targetILNS1_3genE8ELNS1_11target_archE1030ELNS1_3gpuE2ELNS1_3repE0EEENS1_30default_config_static_selectorELNS0_4arch9wavefront6targetE1EEEvSM_: ; @_ZN7rocprim17ROCPRIM_400000_NS6detail17trampoline_kernelINS0_14default_configENS1_22reduce_config_selectorIbEEZNS1_11reduce_implILb1ES3_N6hipcub16HIPCUB_304000_NS22TransformInputIteratorIb7NonZeroIfEPflEEPllNS8_6detail34convert_binary_result_type_wrapperINS8_3SumESD_lEEEE10hipError_tPvRmT1_T2_T3_mT4_P12ihipStream_tbEUlT_E1_NS1_11comp_targetILNS1_3genE8ELNS1_11target_archE1030ELNS1_3gpuE2ELNS1_3repE0EEENS1_30default_config_static_selectorELNS0_4arch9wavefront6targetE1EEEvSM_
; %bb.0:
	.section	.rodata,"a",@progbits
	.p2align	6, 0x0
	.amdhsa_kernel _ZN7rocprim17ROCPRIM_400000_NS6detail17trampoline_kernelINS0_14default_configENS1_22reduce_config_selectorIbEEZNS1_11reduce_implILb1ES3_N6hipcub16HIPCUB_304000_NS22TransformInputIteratorIb7NonZeroIfEPflEEPllNS8_6detail34convert_binary_result_type_wrapperINS8_3SumESD_lEEEE10hipError_tPvRmT1_T2_T3_mT4_P12ihipStream_tbEUlT_E1_NS1_11comp_targetILNS1_3genE8ELNS1_11target_archE1030ELNS1_3gpuE2ELNS1_3repE0EEENS1_30default_config_static_selectorELNS0_4arch9wavefront6targetE1EEEvSM_
		.amdhsa_group_segment_fixed_size 0
		.amdhsa_private_segment_fixed_size 0
		.amdhsa_kernarg_size 56
		.amdhsa_user_sgpr_count 2
		.amdhsa_user_sgpr_dispatch_ptr 0
		.amdhsa_user_sgpr_queue_ptr 0
		.amdhsa_user_sgpr_kernarg_segment_ptr 1
		.amdhsa_user_sgpr_dispatch_id 0
		.amdhsa_user_sgpr_kernarg_preload_length 0
		.amdhsa_user_sgpr_kernarg_preload_offset 0
		.amdhsa_user_sgpr_private_segment_size 0
		.amdhsa_uses_dynamic_stack 0
		.amdhsa_enable_private_segment 0
		.amdhsa_system_sgpr_workgroup_id_x 1
		.amdhsa_system_sgpr_workgroup_id_y 0
		.amdhsa_system_sgpr_workgroup_id_z 0
		.amdhsa_system_sgpr_workgroup_info 0
		.amdhsa_system_vgpr_workitem_id 0
		.amdhsa_next_free_vgpr 1
		.amdhsa_next_free_sgpr 0
		.amdhsa_accum_offset 4
		.amdhsa_reserve_vcc 0
		.amdhsa_float_round_mode_32 0
		.amdhsa_float_round_mode_16_64 0
		.amdhsa_float_denorm_mode_32 3
		.amdhsa_float_denorm_mode_16_64 3
		.amdhsa_dx10_clamp 1
		.amdhsa_ieee_mode 1
		.amdhsa_fp16_overflow 0
		.amdhsa_tg_split 0
		.amdhsa_exception_fp_ieee_invalid_op 0
		.amdhsa_exception_fp_denorm_src 0
		.amdhsa_exception_fp_ieee_div_zero 0
		.amdhsa_exception_fp_ieee_overflow 0
		.amdhsa_exception_fp_ieee_underflow 0
		.amdhsa_exception_fp_ieee_inexact 0
		.amdhsa_exception_int_div_zero 0
	.end_amdhsa_kernel
	.section	.text._ZN7rocprim17ROCPRIM_400000_NS6detail17trampoline_kernelINS0_14default_configENS1_22reduce_config_selectorIbEEZNS1_11reduce_implILb1ES3_N6hipcub16HIPCUB_304000_NS22TransformInputIteratorIb7NonZeroIfEPflEEPllNS8_6detail34convert_binary_result_type_wrapperINS8_3SumESD_lEEEE10hipError_tPvRmT1_T2_T3_mT4_P12ihipStream_tbEUlT_E1_NS1_11comp_targetILNS1_3genE8ELNS1_11target_archE1030ELNS1_3gpuE2ELNS1_3repE0EEENS1_30default_config_static_selectorELNS0_4arch9wavefront6targetE1EEEvSM_,"axG",@progbits,_ZN7rocprim17ROCPRIM_400000_NS6detail17trampoline_kernelINS0_14default_configENS1_22reduce_config_selectorIbEEZNS1_11reduce_implILb1ES3_N6hipcub16HIPCUB_304000_NS22TransformInputIteratorIb7NonZeroIfEPflEEPllNS8_6detail34convert_binary_result_type_wrapperINS8_3SumESD_lEEEE10hipError_tPvRmT1_T2_T3_mT4_P12ihipStream_tbEUlT_E1_NS1_11comp_targetILNS1_3genE8ELNS1_11target_archE1030ELNS1_3gpuE2ELNS1_3repE0EEENS1_30default_config_static_selectorELNS0_4arch9wavefront6targetE1EEEvSM_,comdat
.Lfunc_end252:
	.size	_ZN7rocprim17ROCPRIM_400000_NS6detail17trampoline_kernelINS0_14default_configENS1_22reduce_config_selectorIbEEZNS1_11reduce_implILb1ES3_N6hipcub16HIPCUB_304000_NS22TransformInputIteratorIb7NonZeroIfEPflEEPllNS8_6detail34convert_binary_result_type_wrapperINS8_3SumESD_lEEEE10hipError_tPvRmT1_T2_T3_mT4_P12ihipStream_tbEUlT_E1_NS1_11comp_targetILNS1_3genE8ELNS1_11target_archE1030ELNS1_3gpuE2ELNS1_3repE0EEENS1_30default_config_static_selectorELNS0_4arch9wavefront6targetE1EEEvSM_, .Lfunc_end252-_ZN7rocprim17ROCPRIM_400000_NS6detail17trampoline_kernelINS0_14default_configENS1_22reduce_config_selectorIbEEZNS1_11reduce_implILb1ES3_N6hipcub16HIPCUB_304000_NS22TransformInputIteratorIb7NonZeroIfEPflEEPllNS8_6detail34convert_binary_result_type_wrapperINS8_3SumESD_lEEEE10hipError_tPvRmT1_T2_T3_mT4_P12ihipStream_tbEUlT_E1_NS1_11comp_targetILNS1_3genE8ELNS1_11target_archE1030ELNS1_3gpuE2ELNS1_3repE0EEENS1_30default_config_static_selectorELNS0_4arch9wavefront6targetE1EEEvSM_
                                        ; -- End function
	.set _ZN7rocprim17ROCPRIM_400000_NS6detail17trampoline_kernelINS0_14default_configENS1_22reduce_config_selectorIbEEZNS1_11reduce_implILb1ES3_N6hipcub16HIPCUB_304000_NS22TransformInputIteratorIb7NonZeroIfEPflEEPllNS8_6detail34convert_binary_result_type_wrapperINS8_3SumESD_lEEEE10hipError_tPvRmT1_T2_T3_mT4_P12ihipStream_tbEUlT_E1_NS1_11comp_targetILNS1_3genE8ELNS1_11target_archE1030ELNS1_3gpuE2ELNS1_3repE0EEENS1_30default_config_static_selectorELNS0_4arch9wavefront6targetE1EEEvSM_.num_vgpr, 0
	.set _ZN7rocprim17ROCPRIM_400000_NS6detail17trampoline_kernelINS0_14default_configENS1_22reduce_config_selectorIbEEZNS1_11reduce_implILb1ES3_N6hipcub16HIPCUB_304000_NS22TransformInputIteratorIb7NonZeroIfEPflEEPllNS8_6detail34convert_binary_result_type_wrapperINS8_3SumESD_lEEEE10hipError_tPvRmT1_T2_T3_mT4_P12ihipStream_tbEUlT_E1_NS1_11comp_targetILNS1_3genE8ELNS1_11target_archE1030ELNS1_3gpuE2ELNS1_3repE0EEENS1_30default_config_static_selectorELNS0_4arch9wavefront6targetE1EEEvSM_.num_agpr, 0
	.set _ZN7rocprim17ROCPRIM_400000_NS6detail17trampoline_kernelINS0_14default_configENS1_22reduce_config_selectorIbEEZNS1_11reduce_implILb1ES3_N6hipcub16HIPCUB_304000_NS22TransformInputIteratorIb7NonZeroIfEPflEEPllNS8_6detail34convert_binary_result_type_wrapperINS8_3SumESD_lEEEE10hipError_tPvRmT1_T2_T3_mT4_P12ihipStream_tbEUlT_E1_NS1_11comp_targetILNS1_3genE8ELNS1_11target_archE1030ELNS1_3gpuE2ELNS1_3repE0EEENS1_30default_config_static_selectorELNS0_4arch9wavefront6targetE1EEEvSM_.numbered_sgpr, 0
	.set _ZN7rocprim17ROCPRIM_400000_NS6detail17trampoline_kernelINS0_14default_configENS1_22reduce_config_selectorIbEEZNS1_11reduce_implILb1ES3_N6hipcub16HIPCUB_304000_NS22TransformInputIteratorIb7NonZeroIfEPflEEPllNS8_6detail34convert_binary_result_type_wrapperINS8_3SumESD_lEEEE10hipError_tPvRmT1_T2_T3_mT4_P12ihipStream_tbEUlT_E1_NS1_11comp_targetILNS1_3genE8ELNS1_11target_archE1030ELNS1_3gpuE2ELNS1_3repE0EEENS1_30default_config_static_selectorELNS0_4arch9wavefront6targetE1EEEvSM_.num_named_barrier, 0
	.set _ZN7rocprim17ROCPRIM_400000_NS6detail17trampoline_kernelINS0_14default_configENS1_22reduce_config_selectorIbEEZNS1_11reduce_implILb1ES3_N6hipcub16HIPCUB_304000_NS22TransformInputIteratorIb7NonZeroIfEPflEEPllNS8_6detail34convert_binary_result_type_wrapperINS8_3SumESD_lEEEE10hipError_tPvRmT1_T2_T3_mT4_P12ihipStream_tbEUlT_E1_NS1_11comp_targetILNS1_3genE8ELNS1_11target_archE1030ELNS1_3gpuE2ELNS1_3repE0EEENS1_30default_config_static_selectorELNS0_4arch9wavefront6targetE1EEEvSM_.private_seg_size, 0
	.set _ZN7rocprim17ROCPRIM_400000_NS6detail17trampoline_kernelINS0_14default_configENS1_22reduce_config_selectorIbEEZNS1_11reduce_implILb1ES3_N6hipcub16HIPCUB_304000_NS22TransformInputIteratorIb7NonZeroIfEPflEEPllNS8_6detail34convert_binary_result_type_wrapperINS8_3SumESD_lEEEE10hipError_tPvRmT1_T2_T3_mT4_P12ihipStream_tbEUlT_E1_NS1_11comp_targetILNS1_3genE8ELNS1_11target_archE1030ELNS1_3gpuE2ELNS1_3repE0EEENS1_30default_config_static_selectorELNS0_4arch9wavefront6targetE1EEEvSM_.uses_vcc, 0
	.set _ZN7rocprim17ROCPRIM_400000_NS6detail17trampoline_kernelINS0_14default_configENS1_22reduce_config_selectorIbEEZNS1_11reduce_implILb1ES3_N6hipcub16HIPCUB_304000_NS22TransformInputIteratorIb7NonZeroIfEPflEEPllNS8_6detail34convert_binary_result_type_wrapperINS8_3SumESD_lEEEE10hipError_tPvRmT1_T2_T3_mT4_P12ihipStream_tbEUlT_E1_NS1_11comp_targetILNS1_3genE8ELNS1_11target_archE1030ELNS1_3gpuE2ELNS1_3repE0EEENS1_30default_config_static_selectorELNS0_4arch9wavefront6targetE1EEEvSM_.uses_flat_scratch, 0
	.set _ZN7rocprim17ROCPRIM_400000_NS6detail17trampoline_kernelINS0_14default_configENS1_22reduce_config_selectorIbEEZNS1_11reduce_implILb1ES3_N6hipcub16HIPCUB_304000_NS22TransformInputIteratorIb7NonZeroIfEPflEEPllNS8_6detail34convert_binary_result_type_wrapperINS8_3SumESD_lEEEE10hipError_tPvRmT1_T2_T3_mT4_P12ihipStream_tbEUlT_E1_NS1_11comp_targetILNS1_3genE8ELNS1_11target_archE1030ELNS1_3gpuE2ELNS1_3repE0EEENS1_30default_config_static_selectorELNS0_4arch9wavefront6targetE1EEEvSM_.has_dyn_sized_stack, 0
	.set _ZN7rocprim17ROCPRIM_400000_NS6detail17trampoline_kernelINS0_14default_configENS1_22reduce_config_selectorIbEEZNS1_11reduce_implILb1ES3_N6hipcub16HIPCUB_304000_NS22TransformInputIteratorIb7NonZeroIfEPflEEPllNS8_6detail34convert_binary_result_type_wrapperINS8_3SumESD_lEEEE10hipError_tPvRmT1_T2_T3_mT4_P12ihipStream_tbEUlT_E1_NS1_11comp_targetILNS1_3genE8ELNS1_11target_archE1030ELNS1_3gpuE2ELNS1_3repE0EEENS1_30default_config_static_selectorELNS0_4arch9wavefront6targetE1EEEvSM_.has_recursion, 0
	.set _ZN7rocprim17ROCPRIM_400000_NS6detail17trampoline_kernelINS0_14default_configENS1_22reduce_config_selectorIbEEZNS1_11reduce_implILb1ES3_N6hipcub16HIPCUB_304000_NS22TransformInputIteratorIb7NonZeroIfEPflEEPllNS8_6detail34convert_binary_result_type_wrapperINS8_3SumESD_lEEEE10hipError_tPvRmT1_T2_T3_mT4_P12ihipStream_tbEUlT_E1_NS1_11comp_targetILNS1_3genE8ELNS1_11target_archE1030ELNS1_3gpuE2ELNS1_3repE0EEENS1_30default_config_static_selectorELNS0_4arch9wavefront6targetE1EEEvSM_.has_indirect_call, 0
	.section	.AMDGPU.csdata,"",@progbits
; Kernel info:
; codeLenInByte = 0
; TotalNumSgprs: 6
; NumVgprs: 0
; NumAgprs: 0
; TotalNumVgprs: 0
; ScratchSize: 0
; MemoryBound: 0
; FloatMode: 240
; IeeeMode: 1
; LDSByteSize: 0 bytes/workgroup (compile time only)
; SGPRBlocks: 0
; VGPRBlocks: 0
; NumSGPRsForWavesPerEU: 6
; NumVGPRsForWavesPerEU: 1
; AccumOffset: 4
; Occupancy: 8
; WaveLimiterHint : 0
; COMPUTE_PGM_RSRC2:SCRATCH_EN: 0
; COMPUTE_PGM_RSRC2:USER_SGPR: 2
; COMPUTE_PGM_RSRC2:TRAP_HANDLER: 0
; COMPUTE_PGM_RSRC2:TGID_X_EN: 1
; COMPUTE_PGM_RSRC2:TGID_Y_EN: 0
; COMPUTE_PGM_RSRC2:TGID_Z_EN: 0
; COMPUTE_PGM_RSRC2:TIDIG_COMP_CNT: 0
; COMPUTE_PGM_RSRC3_GFX90A:ACCUM_OFFSET: 0
; COMPUTE_PGM_RSRC3_GFX90A:TG_SPLIT: 0
	.section	.text._ZN7rocprim17ROCPRIM_400000_NS6detail17trampoline_kernelINS0_14default_configENS1_25partition_config_selectorILNS1_17partition_subalgoE5ElNS0_10empty_typeEbEEZZNS1_14partition_implILS5_5ELb0ES3_mN6hipcub16HIPCUB_304000_NS21CountingInputIteratorIllEEPS6_NSA_22TransformInputIteratorIb7NonZeroIfEPflEENS0_5tupleIJPlS6_EEENSJ_IJSD_SD_EEES6_SK_JS6_EEE10hipError_tPvRmT3_T4_T5_T6_T7_T9_mT8_P12ihipStream_tbDpT10_ENKUlT_T0_E_clISt17integral_constantIbLb0EES16_EEDaS11_S12_EUlS11_E_NS1_11comp_targetILNS1_3genE0ELNS1_11target_archE4294967295ELNS1_3gpuE0ELNS1_3repE0EEENS1_30default_config_static_selectorELNS0_4arch9wavefront6targetE1EEEvT1_,"axG",@progbits,_ZN7rocprim17ROCPRIM_400000_NS6detail17trampoline_kernelINS0_14default_configENS1_25partition_config_selectorILNS1_17partition_subalgoE5ElNS0_10empty_typeEbEEZZNS1_14partition_implILS5_5ELb0ES3_mN6hipcub16HIPCUB_304000_NS21CountingInputIteratorIllEEPS6_NSA_22TransformInputIteratorIb7NonZeroIfEPflEENS0_5tupleIJPlS6_EEENSJ_IJSD_SD_EEES6_SK_JS6_EEE10hipError_tPvRmT3_T4_T5_T6_T7_T9_mT8_P12ihipStream_tbDpT10_ENKUlT_T0_E_clISt17integral_constantIbLb0EES16_EEDaS11_S12_EUlS11_E_NS1_11comp_targetILNS1_3genE0ELNS1_11target_archE4294967295ELNS1_3gpuE0ELNS1_3repE0EEENS1_30default_config_static_selectorELNS0_4arch9wavefront6targetE1EEEvT1_,comdat
	.protected	_ZN7rocprim17ROCPRIM_400000_NS6detail17trampoline_kernelINS0_14default_configENS1_25partition_config_selectorILNS1_17partition_subalgoE5ElNS0_10empty_typeEbEEZZNS1_14partition_implILS5_5ELb0ES3_mN6hipcub16HIPCUB_304000_NS21CountingInputIteratorIllEEPS6_NSA_22TransformInputIteratorIb7NonZeroIfEPflEENS0_5tupleIJPlS6_EEENSJ_IJSD_SD_EEES6_SK_JS6_EEE10hipError_tPvRmT3_T4_T5_T6_T7_T9_mT8_P12ihipStream_tbDpT10_ENKUlT_T0_E_clISt17integral_constantIbLb0EES16_EEDaS11_S12_EUlS11_E_NS1_11comp_targetILNS1_3genE0ELNS1_11target_archE4294967295ELNS1_3gpuE0ELNS1_3repE0EEENS1_30default_config_static_selectorELNS0_4arch9wavefront6targetE1EEEvT1_ ; -- Begin function _ZN7rocprim17ROCPRIM_400000_NS6detail17trampoline_kernelINS0_14default_configENS1_25partition_config_selectorILNS1_17partition_subalgoE5ElNS0_10empty_typeEbEEZZNS1_14partition_implILS5_5ELb0ES3_mN6hipcub16HIPCUB_304000_NS21CountingInputIteratorIllEEPS6_NSA_22TransformInputIteratorIb7NonZeroIfEPflEENS0_5tupleIJPlS6_EEENSJ_IJSD_SD_EEES6_SK_JS6_EEE10hipError_tPvRmT3_T4_T5_T6_T7_T9_mT8_P12ihipStream_tbDpT10_ENKUlT_T0_E_clISt17integral_constantIbLb0EES16_EEDaS11_S12_EUlS11_E_NS1_11comp_targetILNS1_3genE0ELNS1_11target_archE4294967295ELNS1_3gpuE0ELNS1_3repE0EEENS1_30default_config_static_selectorELNS0_4arch9wavefront6targetE1EEEvT1_
	.globl	_ZN7rocprim17ROCPRIM_400000_NS6detail17trampoline_kernelINS0_14default_configENS1_25partition_config_selectorILNS1_17partition_subalgoE5ElNS0_10empty_typeEbEEZZNS1_14partition_implILS5_5ELb0ES3_mN6hipcub16HIPCUB_304000_NS21CountingInputIteratorIllEEPS6_NSA_22TransformInputIteratorIb7NonZeroIfEPflEENS0_5tupleIJPlS6_EEENSJ_IJSD_SD_EEES6_SK_JS6_EEE10hipError_tPvRmT3_T4_T5_T6_T7_T9_mT8_P12ihipStream_tbDpT10_ENKUlT_T0_E_clISt17integral_constantIbLb0EES16_EEDaS11_S12_EUlS11_E_NS1_11comp_targetILNS1_3genE0ELNS1_11target_archE4294967295ELNS1_3gpuE0ELNS1_3repE0EEENS1_30default_config_static_selectorELNS0_4arch9wavefront6targetE1EEEvT1_
	.p2align	8
	.type	_ZN7rocprim17ROCPRIM_400000_NS6detail17trampoline_kernelINS0_14default_configENS1_25partition_config_selectorILNS1_17partition_subalgoE5ElNS0_10empty_typeEbEEZZNS1_14partition_implILS5_5ELb0ES3_mN6hipcub16HIPCUB_304000_NS21CountingInputIteratorIllEEPS6_NSA_22TransformInputIteratorIb7NonZeroIfEPflEENS0_5tupleIJPlS6_EEENSJ_IJSD_SD_EEES6_SK_JS6_EEE10hipError_tPvRmT3_T4_T5_T6_T7_T9_mT8_P12ihipStream_tbDpT10_ENKUlT_T0_E_clISt17integral_constantIbLb0EES16_EEDaS11_S12_EUlS11_E_NS1_11comp_targetILNS1_3genE0ELNS1_11target_archE4294967295ELNS1_3gpuE0ELNS1_3repE0EEENS1_30default_config_static_selectorELNS0_4arch9wavefront6targetE1EEEvT1_,@function
_ZN7rocprim17ROCPRIM_400000_NS6detail17trampoline_kernelINS0_14default_configENS1_25partition_config_selectorILNS1_17partition_subalgoE5ElNS0_10empty_typeEbEEZZNS1_14partition_implILS5_5ELb0ES3_mN6hipcub16HIPCUB_304000_NS21CountingInputIteratorIllEEPS6_NSA_22TransformInputIteratorIb7NonZeroIfEPflEENS0_5tupleIJPlS6_EEENSJ_IJSD_SD_EEES6_SK_JS6_EEE10hipError_tPvRmT3_T4_T5_T6_T7_T9_mT8_P12ihipStream_tbDpT10_ENKUlT_T0_E_clISt17integral_constantIbLb0EES16_EEDaS11_S12_EUlS11_E_NS1_11comp_targetILNS1_3genE0ELNS1_11target_archE4294967295ELNS1_3gpuE0ELNS1_3repE0EEENS1_30default_config_static_selectorELNS0_4arch9wavefront6targetE1EEEvT1_: ; @_ZN7rocprim17ROCPRIM_400000_NS6detail17trampoline_kernelINS0_14default_configENS1_25partition_config_selectorILNS1_17partition_subalgoE5ElNS0_10empty_typeEbEEZZNS1_14partition_implILS5_5ELb0ES3_mN6hipcub16HIPCUB_304000_NS21CountingInputIteratorIllEEPS6_NSA_22TransformInputIteratorIb7NonZeroIfEPflEENS0_5tupleIJPlS6_EEENSJ_IJSD_SD_EEES6_SK_JS6_EEE10hipError_tPvRmT3_T4_T5_T6_T7_T9_mT8_P12ihipStream_tbDpT10_ENKUlT_T0_E_clISt17integral_constantIbLb0EES16_EEDaS11_S12_EUlS11_E_NS1_11comp_targetILNS1_3genE0ELNS1_11target_archE4294967295ELNS1_3gpuE0ELNS1_3repE0EEENS1_30default_config_static_selectorELNS0_4arch9wavefront6targetE1EEEvT1_
; %bb.0:
	s_load_dwordx4 s[4:7], s[0:1], 0x8
	s_load_dwordx2 s[20:21], s[0:1], 0x58
	s_load_dwordx4 s[16:19], s[0:1], 0x48
	s_load_dwordx2 s[10:11], s[0:1], 0x20
	s_load_dword s3, s[0:1], 0x70
	s_waitcnt lgkmcnt(0)
	s_add_u32 s12, s6, s4
	s_addc_u32 s13, s7, s5
	s_load_dwordx2 s[14:15], s[18:19], 0x0
	s_mul_i32 s8, s2, 0x380
	s_mul_i32 s4, s3, 0x380
	s_add_i32 s18, s3, -1
	s_add_i32 s3, s4, s6
	s_sub_i32 s3, s20, s3
	s_add_u32 s4, s6, s4
	s_addc_u32 s5, s7, 0
	v_mov_b64_e32 v[2:3], s[4:5]
	s_cmp_eq_u32 s2, s18
	v_cmp_le_u64_e32 vcc, s[20:21], v[2:3]
	s_cselect_b64 s[18:19], -1, 0
	s_and_b64 s[20:21], s[18:19], vcc
	s_xor_b64 s[20:21], s[20:21], -1
	s_mov_b32 s9, 0
	s_mov_b64 s[4:5], -1
	s_and_b64 vcc, exec, s[20:21]
	s_cbranch_vccz .LBB253_2
; %bb.1:
	s_add_u32 s4, s12, s8
	v_mov_b32_e32 v1, 0
	s_addc_u32 s5, s13, 0
	v_lshl_add_u64 v[2:3], s[4:5], 0, v[0:1]
	s_mov_b64 s[4:5], 0x80
	v_lshl_add_u64 v[4:5], v[2:3], 0, s[4:5]
	s_mov_b64 s[4:5], 0x100
	v_lshl_add_u64 v[6:7], v[2:3], 0, s[4:5]
	s_mov_b64 s[4:5], 0x180
	v_lshl_add_u64 v[8:9], v[2:3], 0, s[4:5]
	s_mov_b64 s[4:5], 0x200
	v_lshl_add_u64 v[10:11], v[2:3], 0, s[4:5]
	s_mov_b64 s[4:5], 0x280
	v_lshl_add_u64 v[12:13], v[2:3], 0, s[4:5]
	s_mov_b64 s[4:5], 0x300
	v_lshlrev_b32_e32 v1, 3, v0
	v_lshl_add_u64 v[14:15], v[2:3], 0, s[4:5]
	ds_write2st64_b64 v1, v[2:3], v[4:5] offset1:2
	ds_write2st64_b64 v1, v[6:7], v[8:9] offset0:4 offset1:6
	ds_write2st64_b64 v1, v[10:11], v[12:13] offset0:8 offset1:10
	ds_write_b64 v1, v[14:15] offset:6144
	s_waitcnt lgkmcnt(0)
	s_barrier
	s_mov_b64 s[4:5], 0
.LBB253_2:
	s_addk_i32 s3, 0x380
	s_andn2_b64 vcc, exec, s[4:5]
	v_cmp_gt_u32_e64 s[4:5], s3, v0
	s_cbranch_vccnz .LBB253_4
; %bb.3:
	s_add_u32 s12, s12, s8
	v_mov_b32_e32 v1, 0
	s_addc_u32 s13, s13, 0
	v_or_b32_e32 v4, 0x80, v0
	v_mov_b32_e32 v5, v1
	v_lshl_add_u64 v[6:7], s[12:13], 0, v[4:5]
	v_cmp_gt_u32_e32 vcc, s3, v4
	v_lshl_add_u64 v[2:3], s[12:13], 0, v[0:1]
	v_cndmask_b32_e64 v3, 0, v3, s[4:5]
	v_cndmask_b32_e32 v5, 0, v7, vcc
	v_cndmask_b32_e32 v4, 0, v6, vcc
	v_or_b32_e32 v6, 0x100, v0
	v_mov_b32_e32 v7, v1
	v_lshl_add_u64 v[8:9], s[12:13], 0, v[6:7]
	v_cmp_gt_u32_e32 vcc, s3, v6
	v_cndmask_b32_e64 v2, 0, v2, s[4:5]
	s_nop 0
	v_cndmask_b32_e32 v7, 0, v9, vcc
	v_cndmask_b32_e32 v6, 0, v8, vcc
	v_or_b32_e32 v8, 0x180, v0
	v_mov_b32_e32 v9, v1
	v_lshl_add_u64 v[10:11], s[12:13], 0, v[8:9]
	v_cmp_gt_u32_e32 vcc, s3, v8
	s_nop 1
	v_cndmask_b32_e32 v9, 0, v11, vcc
	v_cndmask_b32_e32 v8, 0, v10, vcc
	v_or_b32_e32 v10, 0x200, v0
	v_mov_b32_e32 v11, v1
	v_lshl_add_u64 v[12:13], s[12:13], 0, v[10:11]
	v_cmp_gt_u32_e32 vcc, s3, v10
	s_nop 1
	v_cndmask_b32_e32 v11, 0, v13, vcc
	v_cndmask_b32_e32 v10, 0, v12, vcc
	v_or_b32_e32 v12, 0x280, v0
	v_mov_b32_e32 v13, v1
	v_lshl_add_u64 v[14:15], s[12:13], 0, v[12:13]
	v_cmp_gt_u32_e32 vcc, s3, v12
	s_nop 1
	v_cndmask_b32_e32 v13, 0, v15, vcc
	v_cndmask_b32_e32 v12, 0, v14, vcc
	v_or_b32_e32 v14, 0x300, v0
	v_mov_b32_e32 v15, v1
	v_lshl_add_u64 v[16:17], s[12:13], 0, v[14:15]
	v_cmp_gt_u32_e32 vcc, s3, v14
	v_lshlrev_b32_e32 v1, 3, v0
	s_nop 0
	v_cndmask_b32_e32 v15, 0, v17, vcc
	v_cndmask_b32_e32 v14, 0, v16, vcc
	ds_write2st64_b64 v1, v[2:3], v[4:5] offset1:2
	ds_write2st64_b64 v1, v[6:7], v[8:9] offset0:4 offset1:6
	ds_write2st64_b64 v1, v[10:11], v[12:13] offset0:8 offset1:10
	ds_write_b64 v1, v[14:15] offset:6144
	s_waitcnt lgkmcnt(0)
	s_barrier
.LBB253_4:
	v_mul_u32_u24_e32 v1, 7, v0
	v_lshlrev_b32_e32 v3, 3, v1
	s_waitcnt lgkmcnt(0)
	ds_read2_b64 v[66:69], v3 offset1:1
	ds_read2_b64 v[62:65], v3 offset0:2 offset1:3
	ds_read2_b64 v[58:61], v3 offset0:4 offset1:5
	ds_read_b64 v[10:11], v3 offset:48
	s_lshl_b64 s[4:5], s[6:7], 2
	s_add_u32 s6, s10, s4
	s_addc_u32 s7, s11, s5
	s_lshl_b64 s[4:5], s[8:9], 2
	s_add_u32 s4, s6, s4
	s_addc_u32 s5, s7, s5
	s_mov_b64 s[6:7], -1
	s_and_b64 vcc, exec, s[20:21]
	v_lshlrev_b32_e32 v4, 2, v0
	s_waitcnt lgkmcnt(0)
	s_barrier
	s_cbranch_vccz .LBB253_6
; %bb.5:
	global_load_dword v1, v4, s[4:5]
	global_load_dword v2, v4, s[4:5] offset:512
	global_load_dword v5, v4, s[4:5] offset:1024
	;; [unrolled: 1-line block ×6, first 2 shown]
	s_mov_b64 s[6:7], 0
	s_waitcnt vmcnt(6)
	v_cmp_neq_f32_e32 vcc, 0, v1
	s_nop 1
	v_cndmask_b32_e64 v1, 0, 1, vcc
	s_waitcnt vmcnt(5)
	v_cmp_neq_f32_e32 vcc, 0, v2
	s_nop 1
	v_cndmask_b32_e64 v2, 0, 1, vcc
	;; [unrolled: 4-line block ×7, first 2 shown]
	ds_write_b8 v0, v1
	ds_write_b8 v0, v2 offset:128
	ds_write_b8 v0, v5 offset:256
	;; [unrolled: 1-line block ×6, first 2 shown]
	s_waitcnt lgkmcnt(0)
	s_barrier
.LBB253_6:
	s_load_dwordx2 s[22:23], s[0:1], 0x68
	s_andn2_b64 vcc, exec, s[6:7]
	s_cbranch_vccnz .LBB253_22
; %bb.7:
	v_mov_b32_e32 v2, 0
	v_cmp_gt_u32_e32 vcc, s3, v0
	s_mov_b32 s8, 0
	v_mov_b32_e32 v1, v2
	v_mov_b32_e32 v5, v2
	s_and_saveexec_b64 s[6:7], vcc
	s_cbranch_execz .LBB253_9
; %bb.8:
	global_load_dword v1, v4, s[4:5]
	s_waitcnt vmcnt(0)
	v_cmp_neq_f32_e32 vcc, 0, v1
	s_nop 1
	v_cndmask_b32_e64 v2, 0, 1, vcc
	v_mov_b32_e32 v1, s8
	v_mov_b32_e32 v5, v2
.LBB253_9:
	s_or_b64 exec, exec, s[6:7]
	v_or_b32_e32 v6, 0x80, v0
	v_cmp_gt_u32_e32 vcc, s3, v6
	s_and_saveexec_b64 s[6:7], vcc
	s_cbranch_execz .LBB253_11
; %bb.10:
	global_load_dword v6, v4, s[4:5] offset:512
	v_mov_b32_e32 v8, 8
	v_lshrrev_b32_e32 v7, 16, v2
	s_mov_b32 s8, 0xc0c0304
	s_movk_i32 s9, 0xff
	v_lshrrev_b32_sdwa v8, v8, v1 dst_sel:BYTE_1 dst_unused:UNUSED_PAD src0_sel:DWORD src1_sel:DWORD
	v_bfe_u32 v9, v1, 16, 8
	v_perm_b32 v7, v7, v2, s8
	v_bitop3_b16 v1, v1, v8, s9 bitop3:0xec
	v_and_b32_e32 v1, 0xffff, v1
	v_lshl_or_b32 v1, v9, 16, v1
	s_waitcnt vmcnt(0)
	v_cmp_neq_f32_e32 vcc, 0, v6
	s_nop 1
	v_cndmask_b32_e64 v6, 0, 1, vcc
	v_lshlrev_b16_e32 v6, 8, v6
	v_bitop3_b16 v2, v2, v6, s9 bitop3:0xec
	v_and_b32_e32 v2, 0xffff, v2
	v_lshl_or_b32 v2, v7, 16, v2
.LBB253_11:
	s_or_b64 exec, exec, s[6:7]
	v_or_b32_e32 v6, 0x100, v0
	v_cmp_gt_u32_e32 vcc, s3, v6
	s_and_saveexec_b64 s[6:7], vcc
	s_cbranch_execz .LBB253_13
; %bb.12:
	global_load_dword v6, v4, s[4:5] offset:1024
	v_mov_b32_e32 v8, 8
	v_lshrrev_b32_e32 v7, 24, v2
	s_movk_i32 s9, 0xff
	v_lshrrev_b32_sdwa v8, v8, v1 dst_sel:BYTE_1 dst_unused:UNUSED_PAD src0_sel:DWORD src1_sel:DWORD
	s_mov_b32 s8, 0xc0c0104
	v_bfe_u32 v9, v1, 16, 8
	v_lshlrev_b16_e32 v7, 8, v7
	v_bitop3_b16 v1, v1, v8, s9 bitop3:0xec
	v_perm_b32 v2, v2, v2, s8
	v_and_b32_e32 v1, 0xffff, v1
	v_lshl_or_b32 v1, v9, 16, v1
	s_waitcnt vmcnt(0)
	v_cmp_neq_f32_e32 vcc, 0, v6
	s_nop 1
	v_cndmask_b32_e64 v6, 0, 1, vcc
	v_or_b32_sdwa v6, v6, v7 dst_sel:WORD_1 dst_unused:UNUSED_PAD src0_sel:DWORD src1_sel:DWORD
	s_nop 0
	v_or_b32_e32 v2, v2, v6
.LBB253_13:
	s_or_b64 exec, exec, s[6:7]
	v_or_b32_e32 v6, 0x180, v0
	v_cmp_gt_u32_e32 vcc, s3, v6
	s_and_saveexec_b64 s[6:7], vcc
	s_cbranch_execz .LBB253_15
; %bb.14:
	global_load_dword v6, v4, s[4:5] offset:1536
	v_mov_b32_e32 v8, 8
	v_lshrrev_b32_e32 v7, 16, v2
	s_movk_i32 s8, 0xff
	v_lshrrev_b32_sdwa v8, v8, v1 dst_sel:BYTE_1 dst_unused:UNUSED_PAD src0_sel:DWORD src1_sel:DWORD
	s_mov_b32 s9, 0xc0c0104
	v_bfe_u32 v9, v1, 16, 8
	v_bitop3_b16 v1, v1, v8, s8 bitop3:0xec
	v_perm_b32 v2, v2, v2, s9
	v_and_b32_e32 v1, 0xffff, v1
	v_lshl_or_b32 v1, v9, 16, v1
	s_waitcnt vmcnt(0)
	v_cmp_neq_f32_e32 vcc, 0, v6
	s_nop 1
	v_cndmask_b32_e64 v6, 0, 1, vcc
	v_lshlrev_b16_e32 v6, 8, v6
	v_bitop3_b16 v6, v7, v6, s8 bitop3:0xec
	v_lshlrev_b32_e32 v6, 16, v6
	v_or_b32_e32 v2, v2, v6
.LBB253_15:
	s_or_b64 exec, exec, s[6:7]
	v_or_b32_e32 v6, 0x200, v0
	v_cmp_gt_u32_e32 vcc, s3, v6
	s_and_saveexec_b64 s[6:7], vcc
	s_cbranch_execz .LBB253_17
; %bb.16:
	global_load_dword v6, v4, s[4:5] offset:2048
	v_mov_b32_e32 v7, 8
	v_bfe_u32 v8, v1, 16, 8
	v_lshrrev_b32_sdwa v1, v7, v1 dst_sel:BYTE_1 dst_unused:UNUSED_PAD src0_sel:DWORD src1_sel:DWORD
	s_mov_b32 s8, 0x3020104
	v_perm_b32 v2, v2, v2, s8
	s_waitcnt vmcnt(0)
	v_cmp_neq_f32_e32 vcc, 0, v6
	s_nop 1
	v_cndmask_b32_e64 v6, 0, 1, vcc
	v_or_b32_e32 v1, v6, v1
	v_and_b32_e32 v1, 0xffff, v1
	v_lshl_or_b32 v1, v8, 16, v1
.LBB253_17:
	s_or_b64 exec, exec, s[6:7]
	v_or_b32_e32 v6, 0x280, v0
	v_cmp_gt_u32_e32 vcc, s3, v6
	s_and_saveexec_b64 s[6:7], vcc
	s_cbranch_execz .LBB253_19
; %bb.18:
	global_load_dword v6, v4, s[4:5] offset:2560
	s_movk_i32 s8, 0xff
	v_bfe_u32 v7, v1, 16, 8
	s_mov_b32 s9, 0x3020104
	v_perm_b32 v2, v2, v2, s9
	s_waitcnt vmcnt(0)
	v_cmp_neq_f32_e32 vcc, 0, v6
	s_nop 1
	v_cndmask_b32_e64 v6, 0, 1, vcc
	v_lshlrev_b16_e32 v6, 8, v6
	v_bitop3_b16 v1, v1, v6, s8 bitop3:0xec
	v_and_b32_e32 v1, 0xffff, v1
	v_lshl_or_b32 v1, v7, 16, v1
.LBB253_19:
	s_or_b64 exec, exec, s[6:7]
	v_or_b32_e32 v6, 0x300, v0
	v_cmp_gt_u32_e32 vcc, s3, v6
	s_and_saveexec_b64 s[6:7], vcc
	s_cbranch_execz .LBB253_21
; %bb.20:
	global_load_dword v4, v4, s[4:5] offset:3072
	v_mov_b32_e32 v6, 8
	s_movk_i32 s3, 0xff
	v_lshrrev_b32_sdwa v6, v6, v1 dst_sel:BYTE_1 dst_unused:UNUSED_PAD src0_sel:DWORD src1_sel:DWORD
	s_mov_b32 s4, 0x3020104
	v_bitop3_b16 v1, v1, v6, s3 bitop3:0xec
	v_and_b32_e32 v1, 0xffff, v1
	v_perm_b32 v2, v2, v2, s4
	s_waitcnt vmcnt(0)
	v_cmp_neq_f32_e32 vcc, 0, v4
	s_nop 1
	v_cndmask_b32_e64 v4, 0, 1, vcc
	v_lshl_or_b32 v1, v4, 16, v1
.LBB253_21:
	s_or_b64 exec, exec, s[6:7]
	v_lshrrev_b32_e32 v4, 8, v2
	ds_write_b8 v0, v5
	ds_write_b8 v0, v4 offset:128
	ds_write_b8_d16_hi v0, v2 offset:256
	v_lshrrev_b32_e32 v2, 24, v2
	ds_write_b8 v0, v2 offset:384
	ds_write_b8 v0, v1 offset:512
	v_lshrrev_b32_e32 v2, 8, v1
	ds_write_b8 v0, v2 offset:640
	ds_write_b8_d16_hi v0, v1 offset:768
	s_waitcnt lgkmcnt(0)
	s_barrier
.LBB253_22:
	s_movk_i32 s3, 0xffcf
	v_mad_i32_i24 v1, v0, s3, v3
	s_waitcnt lgkmcnt(0)
	ds_read_u8 v2, v1
	ds_read_u8 v3, v1 offset:1
	ds_read_u8 v4, v1 offset:2
	;; [unrolled: 1-line block ×6, first 2 shown]
	s_waitcnt lgkmcnt(6)
	v_and_b32_e32 v24, 1, v2
	v_mov_b32_e32 v25, 0
	s_waitcnt lgkmcnt(5)
	v_and_b32_e32 v22, 1, v3
	s_waitcnt lgkmcnt(4)
	v_and_b32_e32 v20, 1, v4
	;; [unrolled: 2-line block ×3, first 2 shown]
	v_mov_b32_e32 v19, v25
	v_add3_u32 v2, v22, v24, v20
	v_mov_b32_e32 v3, v25
	s_waitcnt lgkmcnt(2)
	v_and_b32_e32 v16, 1, v6
	v_mov_b32_e32 v17, v25
	v_lshl_add_u64 v[2:3], v[2:3], 0, v[18:19]
	s_waitcnt lgkmcnt(1)
	v_and_b32_e32 v14, 1, v7
	v_mov_b32_e32 v15, v25
	v_lshl_add_u64 v[2:3], v[2:3], 0, v[16:17]
	;; [unrolled: 4-line block ×3, first 2 shown]
	v_lshl_add_u64 v[26:27], v[2:3], 0, v[12:13]
	v_mbcnt_lo_u32_b32 v2, -1, 0
	v_mbcnt_hi_u32_b32 v13, -1, v2
	v_and_b32_e32 v39, 15, v13
	s_cmp_lg_u32 s2, 0
	v_mov_b32_e32 v23, v25
	v_mov_b32_e32 v21, v25
	v_cmp_eq_u32_e64 s[4:5], 0, v39
	v_cmp_lt_u32_e64 s[12:13], 1, v39
	v_cmp_lt_u32_e64 s[10:11], 3, v39
	;; [unrolled: 1-line block ×3, first 2 shown]
	v_and_b32_e32 v38, 16, v13
	v_cmp_eq_u32_e64 s[6:7], 0, v13
	v_cmp_ne_u32_e32 vcc, 0, v13
	s_barrier
	s_cbranch_scc0 .LBB253_50
; %bb.23:
	v_mov_b32_dpp v2, v26 row_shr:1 row_mask:0xf bank_mask:0xf
	v_mov_b32_e32 v3, v25
	v_mov_b32_dpp v5, v25 row_shr:1 row_mask:0xf bank_mask:0xf
	v_mov_b32_e32 v4, v25
	v_lshl_add_u64 v[2:3], v[26:27], 0, v[2:3]
	v_lshl_add_u64 v[4:5], v[4:5], 0, v[2:3]
	v_cndmask_b32_e64 v6, v5, 0, s[4:5]
	v_cndmask_b32_e64 v7, v2, v26, s[4:5]
	v_cndmask_b32_e64 v3, v5, v27, s[4:5]
	v_cndmask_b32_e64 v2, v4, v26, s[4:5]
	v_mov_b32_dpp v4, v7 row_shr:2 row_mask:0xf bank_mask:0xf
	v_mov_b32_dpp v5, v6 row_shr:2 row_mask:0xf bank_mask:0xf
	v_lshl_add_u64 v[4:5], v[4:5], 0, v[2:3]
	v_cndmask_b32_e64 v6, v6, v5, s[12:13]
	v_cndmask_b32_e64 v7, v7, v4, s[12:13]
	v_cndmask_b32_e64 v3, v3, v5, s[12:13]
	v_cndmask_b32_e64 v2, v2, v4, s[12:13]
	v_mov_b32_dpp v4, v7 row_shr:4 row_mask:0xf bank_mask:0xf
	v_mov_b32_dpp v5, v6 row_shr:4 row_mask:0xf bank_mask:0xf
	;; [unrolled: 7-line block ×3, first 2 shown]
	v_lshl_add_u64 v[4:5], v[4:5], 0, v[2:3]
	v_cndmask_b32_e64 v8, v6, v5, s[8:9]
	v_cndmask_b32_e64 v9, v7, v4, s[8:9]
	;; [unrolled: 1-line block ×4, first 2 shown]
	v_mov_b32_dpp v2, v9 row_bcast:15 row_mask:0xf bank_mask:0xf
	v_mov_b32_dpp v3, v8 row_bcast:15 row_mask:0xf bank_mask:0xf
	v_lshl_add_u64 v[6:7], v[2:3], 0, v[4:5]
	v_cmp_eq_u32_e64 s[8:9], 0, v38
	s_nop 1
	v_cndmask_b32_e64 v2, v7, v8, s[8:9]
	v_cndmask_b32_e64 v3, v6, v9, s[8:9]
	s_nop 0
	v_mov_b32_dpp v9, v2 row_bcast:31 row_mask:0xf bank_mask:0xf
	v_mov_b32_dpp v8, v3 row_bcast:31 row_mask:0xf bank_mask:0xf
	v_mov_b64_e32 v[2:3], v[26:27]
	s_and_saveexec_b64 s[10:11], vcc
; %bb.24:
	v_cmp_lt_u32_e32 vcc, 31, v13
	v_cndmask_b32_e64 v3, v7, v5, s[8:9]
	v_cndmask_b32_e64 v2, v6, v4, s[8:9]
	v_cndmask_b32_e32 v5, 0, v9, vcc
	v_cndmask_b32_e32 v4, 0, v8, vcc
	v_lshl_add_u64 v[2:3], v[4:5], 0, v[2:3]
; %bb.25:
	s_or_b64 exec, exec, s[10:11]
	v_or_b32_e32 v5, 63, v0
	v_lshrrev_b32_e32 v4, 6, v0
	v_cmp_eq_u32_e32 vcc, v0, v5
	s_and_saveexec_b64 s[8:9], vcc
; %bb.26:
	v_lshlrev_b32_e32 v5, 3, v4
	ds_write_b64 v5, v[2:3]
; %bb.27:
	s_or_b64 exec, exec, s[8:9]
	v_cmp_gt_u32_e32 vcc, 2, v0
	s_waitcnt lgkmcnt(0)
	s_barrier
	s_and_saveexec_b64 s[8:9], vcc
	s_cbranch_execz .LBB253_29
; %bb.28:
	v_lshlrev_b32_e32 v5, 3, v0
	ds_read_b64 v[6:7], v5
	v_and_b32_e32 v8, 1, v13
	v_cmp_eq_u32_e32 vcc, 1, v8
	s_waitcnt lgkmcnt(0)
	v_mov_b32_dpp v28, v6 row_shr:1 row_mask:0xf bank_mask:0xf
	v_mov_b32_dpp v9, v7 row_shr:1 row_mask:0xf bank_mask:0xf
	v_cndmask_b32_e32 v9, 0, v9, vcc
	v_cndmask_b32_e32 v8, 0, v28, vcc
	v_lshl_add_u64 v[6:7], v[8:9], 0, v[6:7]
	ds_write_b64 v5, v[6:7]
.LBB253_29:
	s_or_b64 exec, exec, s[8:9]
	v_cmp_gt_u32_e32 vcc, 64, v0
	v_cmp_lt_u32_e64 s[8:9], 63, v0
	s_waitcnt lgkmcnt(0)
	s_barrier
                                        ; implicit-def: $vgpr28_vgpr29
	s_and_saveexec_b64 s[10:11], s[8:9]
	s_cbranch_execz .LBB253_31
; %bb.30:
	v_lshl_add_u32 v4, v4, 3, -8
	ds_read_b64 v[28:29], v4
	s_waitcnt lgkmcnt(0)
	v_lshl_add_u64 v[2:3], v[28:29], 0, v[2:3]
.LBB253_31:
	s_or_b64 exec, exec, s[10:11]
	v_add_u32_e32 v4, -1, v13
	v_and_b32_e32 v5, 64, v13
	v_cmp_lt_i32_e64 s[8:9], v4, v5
	s_nop 1
	v_cndmask_b32_e64 v4, v4, v13, s[8:9]
	v_lshlrev_b32_e32 v4, 2, v4
	ds_bpermute_b32 v41, v4, v2
	ds_bpermute_b32 v40, v4, v3
	s_and_saveexec_b64 s[24:25], vcc
	s_cbranch_execz .LBB253_55
; %bb.32:
	v_mov_b32_e32 v5, 0
	ds_read_b64 v[2:3], v5 offset:8
	s_and_saveexec_b64 s[8:9], s[6:7]
	s_cbranch_execz .LBB253_34
; %bb.33:
	s_add_i32 s10, s2, 64
	s_mov_b32 s11, 0
	s_lshl_b64 s[10:11], s[10:11], 4
	s_add_u32 s10, s22, s10
	s_addc_u32 s11, s23, s11
	v_mov_b32_e32 v4, 1
	v_mov_b64_e32 v[6:7], s[10:11]
	s_waitcnt lgkmcnt(0)
	;;#ASMSTART
	global_store_dwordx4 v[6:7], v[2:5] off sc1	
s_waitcnt vmcnt(0)
	;;#ASMEND
.LBB253_34:
	s_or_b64 exec, exec, s[8:9]
	v_xad_u32 v30, v13, -1, s2
	v_add_u32_e32 v4, 64, v30
	v_lshl_add_u64 v[32:33], v[4:5], 4, s[22:23]
	;;#ASMSTART
	global_load_dwordx4 v[6:9], v[32:33] off sc1	
s_waitcnt vmcnt(0)
	;;#ASMEND
	s_nop 0
	v_cmp_eq_u16_sdwa s[10:11], v8, v5 src0_sel:BYTE_0 src1_sel:DWORD
	s_and_saveexec_b64 s[8:9], s[10:11]
	s_cbranch_execz .LBB253_38
; %bb.35:
	s_mov_b64 s[10:11], 0
	v_mov_b32_e32 v4, 0
.LBB253_36:                             ; =>This Inner Loop Header: Depth=1
	;;#ASMSTART
	global_load_dwordx4 v[6:9], v[32:33] off sc1	
s_waitcnt vmcnt(0)
	;;#ASMEND
	s_nop 0
	v_cmp_ne_u16_sdwa s[26:27], v8, v4 src0_sel:BYTE_0 src1_sel:DWORD
	s_or_b64 s[10:11], s[26:27], s[10:11]
	s_andn2_b64 exec, exec, s[10:11]
	s_cbranch_execnz .LBB253_36
; %bb.37:
	s_or_b64 exec, exec, s[10:11]
.LBB253_38:
	s_or_b64 exec, exec, s[8:9]
	v_mov_b32_e32 v42, 2
	v_cmp_eq_u16_sdwa s[8:9], v8, v42 src0_sel:BYTE_0 src1_sel:DWORD
	v_lshlrev_b64 v[32:33], v13, -1
	v_and_b32_e32 v43, 63, v13
	v_and_b32_e32 v4, s9, v33
	v_or_b32_e32 v4, 0x80000000, v4
	v_and_b32_e32 v5, s8, v32
	v_ffbl_b32_e32 v4, v4
	v_add_u32_e32 v4, 32, v4
	v_ffbl_b32_e32 v5, v5
	v_cmp_ne_u32_e32 vcc, 63, v43
	v_min_u32_e32 v9, v5, v4
	v_mov_b32_e32 v31, 0
	v_addc_co_u32_e32 v4, vcc, 0, v13, vcc
	v_lshlrev_b32_e32 v44, 2, v4
	ds_bpermute_b32 v4, v44, v6
	ds_bpermute_b32 v35, v44, v7
	v_mov_b32_e32 v5, v31
	v_mov_b32_e32 v34, v31
	v_cmp_lt_u32_e64 s[8:9], v43, v9
	s_waitcnt lgkmcnt(1)
	v_lshl_add_u64 v[4:5], v[6:7], 0, v[4:5]
	v_cmp_gt_u32_e32 vcc, 62, v43
	s_waitcnt lgkmcnt(0)
	v_lshl_add_u64 v[34:35], v[34:35], 0, v[4:5]
	v_cndmask_b32_e64 v47, v6, v4, s[8:9]
	v_cndmask_b32_e64 v4, 0, 2, vcc
	v_cndmask_b32_e64 v5, v7, v35, s[8:9]
	v_add_lshl_u32 v45, v4, v13, 2
	ds_bpermute_b32 v36, v45, v47
	ds_bpermute_b32 v37, v45, v5
	v_cndmask_b32_e64 v4, v6, v34, s[8:9]
	v_add_u32_e32 v46, 2, v43
	v_cmp_gt_u32_e32 vcc, v46, v9
	v_cmp_gt_u32_e64 s[10:11], 60, v43
	s_waitcnt lgkmcnt(0)
	v_lshl_add_u64 v[34:35], v[36:37], 0, v[4:5]
	v_cndmask_b32_e32 v5, v35, v5, vcc
	v_cndmask_b32_e64 v35, 0, 4, s[10:11]
	v_cndmask_b32_e32 v49, v34, v47, vcc
	v_add_lshl_u32 v47, v35, v13, 2
	ds_bpermute_b32 v36, v47, v49
	ds_bpermute_b32 v37, v47, v5
	v_cndmask_b32_e32 v4, v34, v4, vcc
	v_add_u32_e32 v48, 4, v43
	v_cmp_gt_u32_e32 vcc, v48, v9
	v_cmp_gt_u32_e64 s[10:11], 56, v43
	s_waitcnt lgkmcnt(0)
	v_lshl_add_u64 v[34:35], v[36:37], 0, v[4:5]
	v_cndmask_b32_e32 v5, v35, v5, vcc
	v_cndmask_b32_e64 v35, 0, 8, s[10:11]
	v_cndmask_b32_e32 v51, v34, v49, vcc
	v_add_lshl_u32 v49, v35, v13, 2
	ds_bpermute_b32 v36, v49, v51
	ds_bpermute_b32 v37, v49, v5
	v_cndmask_b32_e32 v4, v34, v4, vcc
	;; [unrolled: 12-line block ×3, first 2 shown]
	v_add_u32_e32 v52, 16, v43
	v_cmp_gt_u32_e32 vcc, v52, v9
	v_add_u32_e32 v54, 32, v43
	s_waitcnt lgkmcnt(0)
	v_lshl_add_u64 v[34:35], v[36:37], 0, v[4:5]
	v_cndmask_b32_e32 v36, v34, v53, vcc
	v_mov_b32_e32 v53, 0x80
	v_cndmask_b32_e32 v37, v35, v5, vcc
	v_lshl_or_b32 v53, v13, 2, v53
	ds_bpermute_b32 v36, v53, v36
	ds_bpermute_b32 v37, v53, v37
	s_and_saveexec_b64 s[10:11], s[8:9]
	s_cbranch_execz .LBB253_40
; %bb.39:
	v_cndmask_b32_e32 v5, v35, v5, vcc
	v_cndmask_b32_e32 v4, v34, v4, vcc
	v_cmp_le_u32_e32 vcc, v54, v9
	s_waitcnt lgkmcnt(0)
	s_nop 0
	v_cndmask_b32_e32 v7, 0, v37, vcc
	v_cndmask_b32_e32 v6, 0, v36, vcc
	v_lshl_add_u64 v[6:7], v[6:7], 0, v[4:5]
.LBB253_40:
	s_or_b64 exec, exec, s[10:11]
	s_branch .LBB253_43
.LBB253_41:                             ;   in Loop: Header=BB253_43 Depth=1
	s_or_b64 exec, exec, s[10:11]
	v_subrev_u32_e32 v30, 64, v30
	v_lshl_add_u64 v[6:7], v[6:7], 0, v[4:5]
	s_mov_b64 s[8:9], 0
.LBB253_42:                             ;   in Loop: Header=BB253_43 Depth=1
	s_and_b64 vcc, exec, s[8:9]
	s_cbranch_vccnz .LBB253_51
.LBB253_43:                             ; =>This Loop Header: Depth=1
                                        ;     Child Loop BB253_46 Depth 2
	v_cmp_ne_u16_sdwa s[8:9], v8, v42 src0_sel:BYTE_0 src1_sel:DWORD
	v_mov_b64_e32 v[4:5], v[6:7]
	s_cmp_lg_u64 s[8:9], exec
	s_mov_b64 s[8:9], -1
                                        ; implicit-def: $vgpr6_vgpr7
	s_cbranch_scc1 .LBB253_42
; %bb.44:                               ;   in Loop: Header=BB253_43 Depth=1
	v_lshl_add_u64 v[34:35], v[30:31], 4, s[22:23]
	;;#ASMSTART
	global_load_dwordx4 v[6:9], v[34:35] off sc1	
s_waitcnt vmcnt(0)
	;;#ASMEND
	s_nop 0
	v_cmp_eq_u16_sdwa s[10:11], v8, v31 src0_sel:BYTE_0 src1_sel:DWORD
	s_and_saveexec_b64 s[8:9], s[10:11]
	s_cbranch_execz .LBB253_48
; %bb.45:                               ;   in Loop: Header=BB253_43 Depth=1
	s_mov_b64 s[10:11], 0
.LBB253_46:                             ;   Parent Loop BB253_43 Depth=1
                                        ; =>  This Inner Loop Header: Depth=2
	;;#ASMSTART
	global_load_dwordx4 v[6:9], v[34:35] off sc1	
s_waitcnt vmcnt(0)
	;;#ASMEND
	s_nop 0
	v_cmp_ne_u16_sdwa s[26:27], v8, v31 src0_sel:BYTE_0 src1_sel:DWORD
	s_or_b64 s[10:11], s[26:27], s[10:11]
	s_andn2_b64 exec, exec, s[10:11]
	s_cbranch_execnz .LBB253_46
; %bb.47:                               ;   in Loop: Header=BB253_43 Depth=1
	s_or_b64 exec, exec, s[10:11]
.LBB253_48:                             ;   in Loop: Header=BB253_43 Depth=1
	s_or_b64 exec, exec, s[8:9]
	v_cmp_eq_u16_sdwa s[8:9], v8, v42 src0_sel:BYTE_0 src1_sel:DWORD
	s_waitcnt lgkmcnt(0)
	ds_bpermute_b32 v37, v44, v7
	v_mov_b32_e32 v36, v31
	v_and_b32_e32 v34, s8, v32
	v_and_b32_e32 v9, s9, v33
	v_ffbl_b32_e32 v35, v34
	ds_bpermute_b32 v34, v44, v6
	v_or_b32_e32 v9, 0x80000000, v9
	v_ffbl_b32_e32 v9, v9
	v_add_u32_e32 v9, 32, v9
	v_min_u32_e32 v9, v35, v9
	v_mov_b32_e32 v35, v31
	s_waitcnt lgkmcnt(0)
	v_lshl_add_u64 v[34:35], v[6:7], 0, v[34:35]
	v_lshl_add_u64 v[36:37], v[36:37], 0, v[34:35]
	v_cmp_lt_u32_e64 s[8:9], v43, v9
	v_cmp_gt_u32_e32 vcc, v46, v9
	s_nop 0
	v_cndmask_b32_e64 v55, v6, v34, s[8:9]
	v_cndmask_b32_e64 v35, v7, v37, s[8:9]
	ds_bpermute_b32 v56, v45, v55
	ds_bpermute_b32 v57, v45, v35
	v_cndmask_b32_e64 v34, v6, v36, s[8:9]
	s_waitcnt lgkmcnt(0)
	v_lshl_add_u64 v[36:37], v[56:57], 0, v[34:35]
	v_cndmask_b32_e32 v55, v36, v55, vcc
	v_cndmask_b32_e32 v35, v37, v35, vcc
	ds_bpermute_b32 v56, v47, v55
	ds_bpermute_b32 v57, v47, v35
	v_cndmask_b32_e32 v34, v36, v34, vcc
	v_cmp_gt_u32_e32 vcc, v48, v9
	s_waitcnt lgkmcnt(0)
	v_lshl_add_u64 v[36:37], v[56:57], 0, v[34:35]
	v_cndmask_b32_e32 v55, v36, v55, vcc
	v_cndmask_b32_e32 v35, v37, v35, vcc
	ds_bpermute_b32 v56, v49, v55
	ds_bpermute_b32 v57, v49, v35
	v_cndmask_b32_e32 v34, v36, v34, vcc
	v_cmp_gt_u32_e32 vcc, v50, v9
	;; [unrolled: 8-line block ×3, first 2 shown]
	s_waitcnt lgkmcnt(0)
	v_lshl_add_u64 v[36:37], v[56:57], 0, v[34:35]
	v_cndmask_b32_e32 v56, v37, v35, vcc
	v_cndmask_b32_e32 v55, v36, v55, vcc
	ds_bpermute_b32 v55, v53, v55
	ds_bpermute_b32 v56, v53, v56
	s_and_saveexec_b64 s[10:11], s[8:9]
	s_cbranch_execz .LBB253_41
; %bb.49:                               ;   in Loop: Header=BB253_43 Depth=1
	v_cndmask_b32_e32 v7, v37, v35, vcc
	v_cndmask_b32_e32 v6, v36, v34, vcc
	v_cmp_le_u32_e32 vcc, v54, v9
	s_waitcnt lgkmcnt(0)
	s_nop 0
	v_cndmask_b32_e32 v35, 0, v56, vcc
	v_cndmask_b32_e32 v34, 0, v55, vcc
	v_lshl_add_u64 v[6:7], v[34:35], 0, v[6:7]
	s_branch .LBB253_41
.LBB253_50:
                                        ; implicit-def: $vgpr6_vgpr7
                                        ; implicit-def: $vgpr8_vgpr9
                                        ; implicit-def: $vgpr28_vgpr29
                                        ; implicit-def: $vgpr30_vgpr31
                                        ; implicit-def: $vgpr32_vgpr33
                                        ; implicit-def: $vgpr34_vgpr35
                                        ; implicit-def: $vgpr36_vgpr37
                                        ; implicit-def: $vgpr4_vgpr5
	s_load_dwordx2 s[6:7], s[0:1], 0x30
	s_cbranch_execnz .LBB253_56
	s_branch .LBB253_67
.LBB253_51:
	s_and_saveexec_b64 s[8:9], s[6:7]
	s_cbranch_execz .LBB253_53
; %bb.52:
	s_add_i32 s2, s2, 64
	s_mov_b32 s3, 0
	s_lshl_b64 s[2:3], s[2:3], 4
	s_add_u32 s2, s22, s2
	s_addc_u32 s3, s23, s3
	v_lshl_add_u64 v[6:7], v[4:5], 0, v[2:3]
	v_mov_b32_e32 v8, 2
	v_mov_b32_e32 v9, 0
	v_mov_b64_e32 v[30:31], s[2:3]
	;;#ASMSTART
	global_store_dwordx4 v[30:31], v[6:9] off sc1	
s_waitcnt vmcnt(0)
	;;#ASMEND
	ds_write_b128 v9, v[2:5] offset:7168
.LBB253_53:
	s_or_b64 exec, exec, s[8:9]
	v_cmp_eq_u32_e32 vcc, 0, v0
	s_and_b64 exec, exec, vcc
; %bb.54:
	v_mov_b32_e32 v2, 0
	ds_write_b64 v2, v[4:5] offset:8
.LBB253_55:
	s_or_b64 exec, exec, s[24:25]
	v_mov_b32_e32 v6, 0
	s_waitcnt lgkmcnt(0)
	s_barrier
	ds_read_b64 v[2:3], v6 offset:8
	v_cndmask_b32_e64 v4, v41, v28, s[6:7]
	v_cndmask_b32_e64 v5, v40, v29, s[6:7]
	v_cmp_ne_u32_e32 vcc, 0, v0
	s_waitcnt lgkmcnt(0)
	s_barrier
	v_cndmask_b32_e32 v5, 0, v5, vcc
	v_cndmask_b32_e32 v4, 0, v4, vcc
	v_lshl_add_u64 v[36:37], v[2:3], 0, v[4:5]
	v_lshl_add_u64 v[34:35], v[36:37], 0, v[24:25]
	;; [unrolled: 1-line block ×3, first 2 shown]
	ds_read_b128 v[2:5], v6 offset:7168
	v_lshl_add_u64 v[30:31], v[32:33], 0, v[20:21]
	v_lshl_add_u64 v[28:29], v[30:31], 0, v[18:19]
	;; [unrolled: 1-line block ×4, first 2 shown]
	s_load_dwordx2 s[6:7], s[0:1], 0x30
	s_branch .LBB253_67
.LBB253_56:
	s_waitcnt lgkmcnt(0)
	v_mov_b32_e32 v4, 0
	v_mov_b32_dpp v2, v26 row_shr:1 row_mask:0xf bank_mask:0xf
	v_mov_b32_e32 v3, v4
	v_mov_b32_dpp v5, v4 row_shr:1 row_mask:0xf bank_mask:0xf
	v_lshl_add_u64 v[2:3], v[26:27], 0, v[2:3]
	v_lshl_add_u64 v[4:5], v[4:5], 0, v[2:3]
	v_cndmask_b32_e64 v6, v5, 0, s[4:5]
	v_cndmask_b32_e64 v7, v2, v26, s[4:5]
	;; [unrolled: 1-line block ×4, first 2 shown]
	v_mov_b32_dpp v4, v7 row_shr:2 row_mask:0xf bank_mask:0xf
	v_mov_b32_dpp v5, v6 row_shr:2 row_mask:0xf bank_mask:0xf
	v_lshl_add_u64 v[4:5], v[4:5], 0, v[2:3]
	v_cndmask_b32_e64 v6, v6, v5, s[12:13]
	v_cndmask_b32_e64 v7, v7, v4, s[12:13]
	;; [unrolled: 1-line block ×4, first 2 shown]
	v_mov_b32_dpp v4, v7 row_shr:4 row_mask:0xf bank_mask:0xf
	v_mov_b32_dpp v5, v6 row_shr:4 row_mask:0xf bank_mask:0xf
	v_lshl_add_u64 v[4:5], v[4:5], 0, v[2:3]
	v_cmp_lt_u32_e32 vcc, 3, v39
	v_cmp_eq_u32_e64 s[0:1], 0, v38
	v_cmp_ne_u32_e64 s[2:3], 0, v13
	v_cndmask_b32_e32 v6, v6, v5, vcc
	v_cndmask_b32_e32 v7, v7, v4, vcc
	;; [unrolled: 1-line block ×4, first 2 shown]
	v_mov_b32_dpp v4, v7 row_shr:8 row_mask:0xf bank_mask:0xf
	v_mov_b32_dpp v5, v6 row_shr:8 row_mask:0xf bank_mask:0xf
	v_lshl_add_u64 v[4:5], v[4:5], 0, v[2:3]
	v_cmp_lt_u32_e32 vcc, 7, v39
	s_nop 1
	v_cndmask_b32_e32 v6, v6, v5, vcc
	v_cndmask_b32_e32 v7, v7, v4, vcc
	;; [unrolled: 1-line block ×4, first 2 shown]
	v_mov_b32_dpp v4, v7 row_bcast:15 row_mask:0xf bank_mask:0xf
	v_mov_b32_dpp v5, v6 row_bcast:15 row_mask:0xf bank_mask:0xf
	v_lshl_add_u64 v[4:5], v[4:5], 0, v[2:3]
	v_cndmask_b32_e64 v8, v5, v6, s[0:1]
	v_cndmask_b32_e64 v6, v4, v7, s[0:1]
	v_cmp_eq_u32_e32 vcc, 0, v13
	v_mov_b32_dpp v7, v8 row_bcast:31 row_mask:0xf bank_mask:0xf
	v_mov_b32_dpp v6, v6 row_bcast:31 row_mask:0xf bank_mask:0xf
	s_and_saveexec_b64 s[4:5], s[2:3]
; %bb.57:
	v_cndmask_b32_e64 v3, v5, v3, s[0:1]
	v_cndmask_b32_e64 v2, v4, v2, s[0:1]
	v_cmp_lt_u32_e64 s[0:1], 31, v13
	s_nop 1
	v_cndmask_b32_e64 v5, 0, v7, s[0:1]
	v_cndmask_b32_e64 v4, 0, v6, s[0:1]
	v_lshl_add_u64 v[26:27], v[4:5], 0, v[2:3]
; %bb.58:
	s_or_b64 exec, exec, s[4:5]
	v_or_b32_e32 v3, 63, v0
	v_lshrrev_b32_e32 v2, 6, v0
	v_cmp_eq_u32_e64 s[0:1], v0, v3
	s_and_saveexec_b64 s[2:3], s[0:1]
; %bb.59:
	v_lshlrev_b32_e32 v3, 3, v2
	ds_write_b64 v3, v[26:27]
; %bb.60:
	s_or_b64 exec, exec, s[2:3]
	v_cmp_gt_u32_e64 s[0:1], 2, v0
	s_waitcnt lgkmcnt(0)
	s_barrier
	s_and_saveexec_b64 s[2:3], s[0:1]
	s_cbranch_execz .LBB253_62
; %bb.61:
	v_add_u32_e32 v1, v1, v0
	ds_read_b64 v[4:5], v1
	v_and_b32_e32 v3, 1, v13
	v_cmp_eq_u32_e64 s[0:1], 1, v3
	s_waitcnt lgkmcnt(0)
	v_mov_b32_dpp v6, v4 row_shr:1 row_mask:0xf bank_mask:0xf
	v_mov_b32_dpp v7, v5 row_shr:1 row_mask:0xf bank_mask:0xf
	v_cndmask_b32_e64 v7, 0, v7, s[0:1]
	v_cndmask_b32_e64 v6, 0, v6, s[0:1]
	v_lshl_add_u64 v[4:5], v[6:7], 0, v[4:5]
	ds_write_b64 v1, v[4:5]
.LBB253_62:
	s_or_b64 exec, exec, s[2:3]
	v_cmp_lt_u32_e64 s[0:1], 63, v0
	v_mov_b64_e32 v[6:7], 0
	s_waitcnt lgkmcnt(0)
	s_barrier
	s_and_saveexec_b64 s[2:3], s[0:1]
; %bb.63:
	v_lshl_add_u32 v1, v2, 3, -8
	ds_read_b64 v[6:7], v1
; %bb.64:
	s_or_b64 exec, exec, s[2:3]
	v_add_u32_e32 v1, -1, v13
	v_and_b32_e32 v4, 64, v13
	v_cmp_lt_i32_e64 s[0:1], v1, v4
	s_waitcnt lgkmcnt(0)
	v_lshl_add_u64 v[2:3], v[6:7], 0, v[26:27]
	v_mov_b32_e32 v5, 0
	v_cndmask_b32_e64 v1, v1, v13, s[0:1]
	v_lshlrev_b32_e32 v4, 2, v1
	ds_bpermute_b32 v1, v4, v2
	ds_bpermute_b32 v8, v4, v3
	ds_read_b64 v[2:3], v5 offset:8
	v_cmp_eq_u32_e64 s[0:1], 0, v0
	s_and_saveexec_b64 s[2:3], s[0:1]
	s_cbranch_execz .LBB253_66
; %bb.65:
	s_add_u32 s4, s22, 0x400
	s_addc_u32 s5, s23, 0
	v_mov_b32_e32 v4, 2
	v_mov_b64_e32 v[26:27], s[4:5]
	s_waitcnt lgkmcnt(0)
	;;#ASMSTART
	global_store_dwordx4 v[26:27], v[2:5] off sc1	
s_waitcnt vmcnt(0)
	;;#ASMEND
.LBB253_66:
	s_or_b64 exec, exec, s[2:3]
	s_waitcnt lgkmcnt(2)
	v_cndmask_b32_e32 v1, v1, v6, vcc
	s_waitcnt lgkmcnt(1)
	v_cndmask_b32_e32 v4, v8, v7, vcc
	v_cndmask_b32_e64 v37, v4, 0, s[0:1]
	v_cndmask_b32_e64 v36, v1, 0, s[0:1]
	v_lshl_add_u64 v[34:35], v[36:37], 0, v[24:25]
	v_lshl_add_u64 v[32:33], v[34:35], 0, v[22:23]
	;; [unrolled: 1-line block ×6, first 2 shown]
	s_waitcnt lgkmcnt(0)
	s_barrier
	v_mov_b64_e32 v[4:5], 0
.LBB253_67:
	s_mov_b64 s[0:1], 0x81
	s_waitcnt lgkmcnt(0)
	v_cmp_gt_u64_e32 vcc, s[0:1], v[2:3]
	s_mov_b64 s[2:3], -1
	v_lshl_add_u64 v[26:27], v[4:5], 0, v[2:3]
	v_cmp_eq_u32_e64 s[0:1], 1, v24
	s_cbranch_vccnz .LBB253_71
; %bb.68:
	s_and_b64 vcc, exec, s[2:3]
	s_cbranch_vccnz .LBB253_86
.LBB253_69:
	v_cmp_eq_u32_e32 vcc, 0, v0
	s_and_b64 s[0:1], vcc, s[18:19]
	s_and_saveexec_b64 s[2:3], s[0:1]
	s_cbranch_execnz .LBB253_97
.LBB253_70:
	s_endpgm
.LBB253_71:
	v_cmp_lt_u64_e32 vcc, v[36:37], v[26:27]
	s_or_b64 s[2:3], s[20:21], vcc
	s_and_b64 s[2:3], s[2:3], s[0:1]
	s_and_saveexec_b64 s[0:1], s[2:3]
	s_cbranch_execz .LBB253_73
; %bb.72:
	s_lshl_b64 s[2:3], s[14:15], 3
	s_add_u32 s2, s6, s2
	s_addc_u32 s3, s7, s3
	v_lshl_add_u64 v[38:39], v[36:37], 3, s[2:3]
	global_store_dwordx2 v[38:39], v[66:67], off
.LBB253_73:
	s_or_b64 exec, exec, s[0:1]
	v_cmp_lt_u64_e32 vcc, v[34:35], v[26:27]
	s_or_b64 s[0:1], s[20:21], vcc
	v_cmp_eq_u32_e32 vcc, 1, v22
	s_and_b64 s[2:3], s[0:1], vcc
	s_and_saveexec_b64 s[0:1], s[2:3]
	s_cbranch_execz .LBB253_75
; %bb.74:
	s_lshl_b64 s[2:3], s[14:15], 3
	s_add_u32 s2, s6, s2
	s_addc_u32 s3, s7, s3
	v_lshl_add_u64 v[38:39], v[34:35], 3, s[2:3]
	global_store_dwordx2 v[38:39], v[68:69], off
.LBB253_75:
	s_or_b64 exec, exec, s[0:1]
	v_cmp_lt_u64_e32 vcc, v[32:33], v[26:27]
	s_or_b64 s[0:1], s[20:21], vcc
	v_cmp_eq_u32_e32 vcc, 1, v20
	s_and_b64 s[2:3], s[0:1], vcc
	;; [unrolled: 14-line block ×6, first 2 shown]
	s_and_saveexec_b64 s[0:1], s[2:3]
	s_cbranch_execz .LBB253_85
; %bb.84:
	s_lshl_b64 s[2:3], s[14:15], 3
	s_add_u32 s2, s6, s2
	s_addc_u32 s3, s7, s3
	v_lshl_add_u64 v[38:39], v[6:7], 3, s[2:3]
	global_store_dwordx2 v[38:39], v[10:11], off
.LBB253_85:
	s_or_b64 exec, exec, s[0:1]
	s_branch .LBB253_69
.LBB253_86:
	v_cmp_eq_u32_e32 vcc, 1, v24
	s_and_saveexec_b64 s[0:1], vcc
	s_cbranch_execnz .LBB253_98
; %bb.87:
	s_or_b64 exec, exec, s[0:1]
	v_cmp_eq_u32_e32 vcc, 1, v22
	s_and_saveexec_b64 s[0:1], vcc
	s_cbranch_execnz .LBB253_99
.LBB253_88:
	s_or_b64 exec, exec, s[0:1]
	v_cmp_eq_u32_e32 vcc, 1, v20
	s_and_saveexec_b64 s[0:1], vcc
	s_cbranch_execnz .LBB253_100
.LBB253_89:
	s_or_b64 exec, exec, s[0:1]
	v_cmp_eq_u32_e32 vcc, 1, v18
	s_and_saveexec_b64 s[0:1], vcc
	s_cbranch_execnz .LBB253_101
.LBB253_90:
	s_or_b64 exec, exec, s[0:1]
	v_cmp_eq_u32_e32 vcc, 1, v16
	s_and_saveexec_b64 s[0:1], vcc
	s_cbranch_execnz .LBB253_102
.LBB253_91:
	s_or_b64 exec, exec, s[0:1]
	v_cmp_eq_u32_e32 vcc, 1, v14
	s_and_saveexec_b64 s[0:1], vcc
	s_cbranch_execnz .LBB253_103
.LBB253_92:
	s_or_b64 exec, exec, s[0:1]
	v_cmp_eq_u32_e32 vcc, 1, v12
	s_and_saveexec_b64 s[0:1], vcc
.LBB253_93:
	v_sub_u32_e32 v1, v6, v4
	v_lshlrev_b32_e32 v1, 3, v1
	ds_write_b64 v1, v[10:11]
.LBB253_94:
	s_or_b64 exec, exec, s[0:1]
	v_mov_b32_e32 v7, 0
	v_lshlrev_b64 v[4:5], 3, v[4:5]
	v_mov_b32_e32 v1, v7
	v_lshl_add_u64 v[4:5], s[6:7], 0, v[4:5]
	s_lshl_b64 s[0:1], s[14:15], 3
	v_lshl_add_u64 v[4:5], v[4:5], 0, s[0:1]
	v_or_b32_e32 v6, 0x80, v0
	s_mov_b64 s[0:1], 0
	v_mov_b64_e32 v[8:9], v[0:1]
	s_waitcnt lgkmcnt(0)
	s_barrier
.LBB253_95:                             ; =>This Inner Loop Header: Depth=1
	v_lshlrev_b32_e32 v1, 3, v8
	ds_read_b64 v[12:13], v1
	v_cmp_le_u64_e32 vcc, v[2:3], v[6:7]
	v_lshl_add_u64 v[10:11], v[8:9], 3, v[4:5]
	v_mov_b64_e32 v[8:9], v[6:7]
	v_add_u32_e32 v6, 0x80, v6
	s_or_b64 s[0:1], vcc, s[0:1]
	s_waitcnt lgkmcnt(0)
	global_store_dwordx2 v[10:11], v[12:13], off
	s_andn2_b64 exec, exec, s[0:1]
	s_cbranch_execnz .LBB253_95
; %bb.96:
	s_or_b64 exec, exec, s[0:1]
	v_cmp_eq_u32_e32 vcc, 0, v0
	s_and_b64 s[0:1], vcc, s[18:19]
	s_and_saveexec_b64 s[2:3], s[0:1]
	s_cbranch_execz .LBB253_70
.LBB253_97:
	v_mov_b32_e32 v2, 0
	v_lshl_add_u64 v[0:1], v[26:27], 0, s[14:15]
	global_store_dwordx2 v2, v[0:1], s[16:17]
	s_endpgm
.LBB253_98:
	v_sub_u32_e32 v1, v36, v4
	v_lshlrev_b32_e32 v1, 3, v1
	ds_write_b64 v1, v[66:67]
	s_or_b64 exec, exec, s[0:1]
	v_cmp_eq_u32_e32 vcc, 1, v22
	s_and_saveexec_b64 s[0:1], vcc
	s_cbranch_execz .LBB253_88
.LBB253_99:
	v_sub_u32_e32 v1, v34, v4
	v_lshlrev_b32_e32 v1, 3, v1
	ds_write_b64 v1, v[68:69]
	s_or_b64 exec, exec, s[0:1]
	v_cmp_eq_u32_e32 vcc, 1, v20
	s_and_saveexec_b64 s[0:1], vcc
	s_cbranch_execz .LBB253_89
.LBB253_100:
	v_sub_u32_e32 v1, v32, v4
	v_lshlrev_b32_e32 v1, 3, v1
	ds_write_b64 v1, v[62:63]
	s_or_b64 exec, exec, s[0:1]
	v_cmp_eq_u32_e32 vcc, 1, v18
	s_and_saveexec_b64 s[0:1], vcc
	s_cbranch_execz .LBB253_90
.LBB253_101:
	v_sub_u32_e32 v1, v30, v4
	v_lshlrev_b32_e32 v1, 3, v1
	ds_write_b64 v1, v[64:65]
	s_or_b64 exec, exec, s[0:1]
	v_cmp_eq_u32_e32 vcc, 1, v16
	s_and_saveexec_b64 s[0:1], vcc
	s_cbranch_execz .LBB253_91
.LBB253_102:
	v_sub_u32_e32 v1, v28, v4
	v_lshlrev_b32_e32 v1, 3, v1
	ds_write_b64 v1, v[58:59]
	s_or_b64 exec, exec, s[0:1]
	v_cmp_eq_u32_e32 vcc, 1, v14
	s_and_saveexec_b64 s[0:1], vcc
	s_cbranch_execz .LBB253_92
.LBB253_103:
	v_sub_u32_e32 v1, v8, v4
	v_lshlrev_b32_e32 v1, 3, v1
	ds_write_b64 v1, v[60:61]
	s_or_b64 exec, exec, s[0:1]
	v_cmp_eq_u32_e32 vcc, 1, v12
	s_and_saveexec_b64 s[0:1], vcc
	s_cbranch_execnz .LBB253_93
	s_branch .LBB253_94
	.section	.rodata,"a",@progbits
	.p2align	6, 0x0
	.amdhsa_kernel _ZN7rocprim17ROCPRIM_400000_NS6detail17trampoline_kernelINS0_14default_configENS1_25partition_config_selectorILNS1_17partition_subalgoE5ElNS0_10empty_typeEbEEZZNS1_14partition_implILS5_5ELb0ES3_mN6hipcub16HIPCUB_304000_NS21CountingInputIteratorIllEEPS6_NSA_22TransformInputIteratorIb7NonZeroIfEPflEENS0_5tupleIJPlS6_EEENSJ_IJSD_SD_EEES6_SK_JS6_EEE10hipError_tPvRmT3_T4_T5_T6_T7_T9_mT8_P12ihipStream_tbDpT10_ENKUlT_T0_E_clISt17integral_constantIbLb0EES16_EEDaS11_S12_EUlS11_E_NS1_11comp_targetILNS1_3genE0ELNS1_11target_archE4294967295ELNS1_3gpuE0ELNS1_3repE0EEENS1_30default_config_static_selectorELNS0_4arch9wavefront6targetE1EEEvT1_
		.amdhsa_group_segment_fixed_size 7184
		.amdhsa_private_segment_fixed_size 0
		.amdhsa_kernarg_size 120
		.amdhsa_user_sgpr_count 2
		.amdhsa_user_sgpr_dispatch_ptr 0
		.amdhsa_user_sgpr_queue_ptr 0
		.amdhsa_user_sgpr_kernarg_segment_ptr 1
		.amdhsa_user_sgpr_dispatch_id 0
		.amdhsa_user_sgpr_kernarg_preload_length 0
		.amdhsa_user_sgpr_kernarg_preload_offset 0
		.amdhsa_user_sgpr_private_segment_size 0
		.amdhsa_uses_dynamic_stack 0
		.amdhsa_enable_private_segment 0
		.amdhsa_system_sgpr_workgroup_id_x 1
		.amdhsa_system_sgpr_workgroup_id_y 0
		.amdhsa_system_sgpr_workgroup_id_z 0
		.amdhsa_system_sgpr_workgroup_info 0
		.amdhsa_system_vgpr_workitem_id 0
		.amdhsa_next_free_vgpr 70
		.amdhsa_next_free_sgpr 28
		.amdhsa_accum_offset 72
		.amdhsa_reserve_vcc 1
		.amdhsa_float_round_mode_32 0
		.amdhsa_float_round_mode_16_64 0
		.amdhsa_float_denorm_mode_32 3
		.amdhsa_float_denorm_mode_16_64 3
		.amdhsa_dx10_clamp 1
		.amdhsa_ieee_mode 1
		.amdhsa_fp16_overflow 0
		.amdhsa_tg_split 0
		.amdhsa_exception_fp_ieee_invalid_op 0
		.amdhsa_exception_fp_denorm_src 0
		.amdhsa_exception_fp_ieee_div_zero 0
		.amdhsa_exception_fp_ieee_overflow 0
		.amdhsa_exception_fp_ieee_underflow 0
		.amdhsa_exception_fp_ieee_inexact 0
		.amdhsa_exception_int_div_zero 0
	.end_amdhsa_kernel
	.section	.text._ZN7rocprim17ROCPRIM_400000_NS6detail17trampoline_kernelINS0_14default_configENS1_25partition_config_selectorILNS1_17partition_subalgoE5ElNS0_10empty_typeEbEEZZNS1_14partition_implILS5_5ELb0ES3_mN6hipcub16HIPCUB_304000_NS21CountingInputIteratorIllEEPS6_NSA_22TransformInputIteratorIb7NonZeroIfEPflEENS0_5tupleIJPlS6_EEENSJ_IJSD_SD_EEES6_SK_JS6_EEE10hipError_tPvRmT3_T4_T5_T6_T7_T9_mT8_P12ihipStream_tbDpT10_ENKUlT_T0_E_clISt17integral_constantIbLb0EES16_EEDaS11_S12_EUlS11_E_NS1_11comp_targetILNS1_3genE0ELNS1_11target_archE4294967295ELNS1_3gpuE0ELNS1_3repE0EEENS1_30default_config_static_selectorELNS0_4arch9wavefront6targetE1EEEvT1_,"axG",@progbits,_ZN7rocprim17ROCPRIM_400000_NS6detail17trampoline_kernelINS0_14default_configENS1_25partition_config_selectorILNS1_17partition_subalgoE5ElNS0_10empty_typeEbEEZZNS1_14partition_implILS5_5ELb0ES3_mN6hipcub16HIPCUB_304000_NS21CountingInputIteratorIllEEPS6_NSA_22TransformInputIteratorIb7NonZeroIfEPflEENS0_5tupleIJPlS6_EEENSJ_IJSD_SD_EEES6_SK_JS6_EEE10hipError_tPvRmT3_T4_T5_T6_T7_T9_mT8_P12ihipStream_tbDpT10_ENKUlT_T0_E_clISt17integral_constantIbLb0EES16_EEDaS11_S12_EUlS11_E_NS1_11comp_targetILNS1_3genE0ELNS1_11target_archE4294967295ELNS1_3gpuE0ELNS1_3repE0EEENS1_30default_config_static_selectorELNS0_4arch9wavefront6targetE1EEEvT1_,comdat
.Lfunc_end253:
	.size	_ZN7rocprim17ROCPRIM_400000_NS6detail17trampoline_kernelINS0_14default_configENS1_25partition_config_selectorILNS1_17partition_subalgoE5ElNS0_10empty_typeEbEEZZNS1_14partition_implILS5_5ELb0ES3_mN6hipcub16HIPCUB_304000_NS21CountingInputIteratorIllEEPS6_NSA_22TransformInputIteratorIb7NonZeroIfEPflEENS0_5tupleIJPlS6_EEENSJ_IJSD_SD_EEES6_SK_JS6_EEE10hipError_tPvRmT3_T4_T5_T6_T7_T9_mT8_P12ihipStream_tbDpT10_ENKUlT_T0_E_clISt17integral_constantIbLb0EES16_EEDaS11_S12_EUlS11_E_NS1_11comp_targetILNS1_3genE0ELNS1_11target_archE4294967295ELNS1_3gpuE0ELNS1_3repE0EEENS1_30default_config_static_selectorELNS0_4arch9wavefront6targetE1EEEvT1_, .Lfunc_end253-_ZN7rocprim17ROCPRIM_400000_NS6detail17trampoline_kernelINS0_14default_configENS1_25partition_config_selectorILNS1_17partition_subalgoE5ElNS0_10empty_typeEbEEZZNS1_14partition_implILS5_5ELb0ES3_mN6hipcub16HIPCUB_304000_NS21CountingInputIteratorIllEEPS6_NSA_22TransformInputIteratorIb7NonZeroIfEPflEENS0_5tupleIJPlS6_EEENSJ_IJSD_SD_EEES6_SK_JS6_EEE10hipError_tPvRmT3_T4_T5_T6_T7_T9_mT8_P12ihipStream_tbDpT10_ENKUlT_T0_E_clISt17integral_constantIbLb0EES16_EEDaS11_S12_EUlS11_E_NS1_11comp_targetILNS1_3genE0ELNS1_11target_archE4294967295ELNS1_3gpuE0ELNS1_3repE0EEENS1_30default_config_static_selectorELNS0_4arch9wavefront6targetE1EEEvT1_
                                        ; -- End function
	.set _ZN7rocprim17ROCPRIM_400000_NS6detail17trampoline_kernelINS0_14default_configENS1_25partition_config_selectorILNS1_17partition_subalgoE5ElNS0_10empty_typeEbEEZZNS1_14partition_implILS5_5ELb0ES3_mN6hipcub16HIPCUB_304000_NS21CountingInputIteratorIllEEPS6_NSA_22TransformInputIteratorIb7NonZeroIfEPflEENS0_5tupleIJPlS6_EEENSJ_IJSD_SD_EEES6_SK_JS6_EEE10hipError_tPvRmT3_T4_T5_T6_T7_T9_mT8_P12ihipStream_tbDpT10_ENKUlT_T0_E_clISt17integral_constantIbLb0EES16_EEDaS11_S12_EUlS11_E_NS1_11comp_targetILNS1_3genE0ELNS1_11target_archE4294967295ELNS1_3gpuE0ELNS1_3repE0EEENS1_30default_config_static_selectorELNS0_4arch9wavefront6targetE1EEEvT1_.num_vgpr, 70
	.set _ZN7rocprim17ROCPRIM_400000_NS6detail17trampoline_kernelINS0_14default_configENS1_25partition_config_selectorILNS1_17partition_subalgoE5ElNS0_10empty_typeEbEEZZNS1_14partition_implILS5_5ELb0ES3_mN6hipcub16HIPCUB_304000_NS21CountingInputIteratorIllEEPS6_NSA_22TransformInputIteratorIb7NonZeroIfEPflEENS0_5tupleIJPlS6_EEENSJ_IJSD_SD_EEES6_SK_JS6_EEE10hipError_tPvRmT3_T4_T5_T6_T7_T9_mT8_P12ihipStream_tbDpT10_ENKUlT_T0_E_clISt17integral_constantIbLb0EES16_EEDaS11_S12_EUlS11_E_NS1_11comp_targetILNS1_3genE0ELNS1_11target_archE4294967295ELNS1_3gpuE0ELNS1_3repE0EEENS1_30default_config_static_selectorELNS0_4arch9wavefront6targetE1EEEvT1_.num_agpr, 0
	.set _ZN7rocprim17ROCPRIM_400000_NS6detail17trampoline_kernelINS0_14default_configENS1_25partition_config_selectorILNS1_17partition_subalgoE5ElNS0_10empty_typeEbEEZZNS1_14partition_implILS5_5ELb0ES3_mN6hipcub16HIPCUB_304000_NS21CountingInputIteratorIllEEPS6_NSA_22TransformInputIteratorIb7NonZeroIfEPflEENS0_5tupleIJPlS6_EEENSJ_IJSD_SD_EEES6_SK_JS6_EEE10hipError_tPvRmT3_T4_T5_T6_T7_T9_mT8_P12ihipStream_tbDpT10_ENKUlT_T0_E_clISt17integral_constantIbLb0EES16_EEDaS11_S12_EUlS11_E_NS1_11comp_targetILNS1_3genE0ELNS1_11target_archE4294967295ELNS1_3gpuE0ELNS1_3repE0EEENS1_30default_config_static_selectorELNS0_4arch9wavefront6targetE1EEEvT1_.numbered_sgpr, 28
	.set _ZN7rocprim17ROCPRIM_400000_NS6detail17trampoline_kernelINS0_14default_configENS1_25partition_config_selectorILNS1_17partition_subalgoE5ElNS0_10empty_typeEbEEZZNS1_14partition_implILS5_5ELb0ES3_mN6hipcub16HIPCUB_304000_NS21CountingInputIteratorIllEEPS6_NSA_22TransformInputIteratorIb7NonZeroIfEPflEENS0_5tupleIJPlS6_EEENSJ_IJSD_SD_EEES6_SK_JS6_EEE10hipError_tPvRmT3_T4_T5_T6_T7_T9_mT8_P12ihipStream_tbDpT10_ENKUlT_T0_E_clISt17integral_constantIbLb0EES16_EEDaS11_S12_EUlS11_E_NS1_11comp_targetILNS1_3genE0ELNS1_11target_archE4294967295ELNS1_3gpuE0ELNS1_3repE0EEENS1_30default_config_static_selectorELNS0_4arch9wavefront6targetE1EEEvT1_.num_named_barrier, 0
	.set _ZN7rocprim17ROCPRIM_400000_NS6detail17trampoline_kernelINS0_14default_configENS1_25partition_config_selectorILNS1_17partition_subalgoE5ElNS0_10empty_typeEbEEZZNS1_14partition_implILS5_5ELb0ES3_mN6hipcub16HIPCUB_304000_NS21CountingInputIteratorIllEEPS6_NSA_22TransformInputIteratorIb7NonZeroIfEPflEENS0_5tupleIJPlS6_EEENSJ_IJSD_SD_EEES6_SK_JS6_EEE10hipError_tPvRmT3_T4_T5_T6_T7_T9_mT8_P12ihipStream_tbDpT10_ENKUlT_T0_E_clISt17integral_constantIbLb0EES16_EEDaS11_S12_EUlS11_E_NS1_11comp_targetILNS1_3genE0ELNS1_11target_archE4294967295ELNS1_3gpuE0ELNS1_3repE0EEENS1_30default_config_static_selectorELNS0_4arch9wavefront6targetE1EEEvT1_.private_seg_size, 0
	.set _ZN7rocprim17ROCPRIM_400000_NS6detail17trampoline_kernelINS0_14default_configENS1_25partition_config_selectorILNS1_17partition_subalgoE5ElNS0_10empty_typeEbEEZZNS1_14partition_implILS5_5ELb0ES3_mN6hipcub16HIPCUB_304000_NS21CountingInputIteratorIllEEPS6_NSA_22TransformInputIteratorIb7NonZeroIfEPflEENS0_5tupleIJPlS6_EEENSJ_IJSD_SD_EEES6_SK_JS6_EEE10hipError_tPvRmT3_T4_T5_T6_T7_T9_mT8_P12ihipStream_tbDpT10_ENKUlT_T0_E_clISt17integral_constantIbLb0EES16_EEDaS11_S12_EUlS11_E_NS1_11comp_targetILNS1_3genE0ELNS1_11target_archE4294967295ELNS1_3gpuE0ELNS1_3repE0EEENS1_30default_config_static_selectorELNS0_4arch9wavefront6targetE1EEEvT1_.uses_vcc, 1
	.set _ZN7rocprim17ROCPRIM_400000_NS6detail17trampoline_kernelINS0_14default_configENS1_25partition_config_selectorILNS1_17partition_subalgoE5ElNS0_10empty_typeEbEEZZNS1_14partition_implILS5_5ELb0ES3_mN6hipcub16HIPCUB_304000_NS21CountingInputIteratorIllEEPS6_NSA_22TransformInputIteratorIb7NonZeroIfEPflEENS0_5tupleIJPlS6_EEENSJ_IJSD_SD_EEES6_SK_JS6_EEE10hipError_tPvRmT3_T4_T5_T6_T7_T9_mT8_P12ihipStream_tbDpT10_ENKUlT_T0_E_clISt17integral_constantIbLb0EES16_EEDaS11_S12_EUlS11_E_NS1_11comp_targetILNS1_3genE0ELNS1_11target_archE4294967295ELNS1_3gpuE0ELNS1_3repE0EEENS1_30default_config_static_selectorELNS0_4arch9wavefront6targetE1EEEvT1_.uses_flat_scratch, 0
	.set _ZN7rocprim17ROCPRIM_400000_NS6detail17trampoline_kernelINS0_14default_configENS1_25partition_config_selectorILNS1_17partition_subalgoE5ElNS0_10empty_typeEbEEZZNS1_14partition_implILS5_5ELb0ES3_mN6hipcub16HIPCUB_304000_NS21CountingInputIteratorIllEEPS6_NSA_22TransformInputIteratorIb7NonZeroIfEPflEENS0_5tupleIJPlS6_EEENSJ_IJSD_SD_EEES6_SK_JS6_EEE10hipError_tPvRmT3_T4_T5_T6_T7_T9_mT8_P12ihipStream_tbDpT10_ENKUlT_T0_E_clISt17integral_constantIbLb0EES16_EEDaS11_S12_EUlS11_E_NS1_11comp_targetILNS1_3genE0ELNS1_11target_archE4294967295ELNS1_3gpuE0ELNS1_3repE0EEENS1_30default_config_static_selectorELNS0_4arch9wavefront6targetE1EEEvT1_.has_dyn_sized_stack, 0
	.set _ZN7rocprim17ROCPRIM_400000_NS6detail17trampoline_kernelINS0_14default_configENS1_25partition_config_selectorILNS1_17partition_subalgoE5ElNS0_10empty_typeEbEEZZNS1_14partition_implILS5_5ELb0ES3_mN6hipcub16HIPCUB_304000_NS21CountingInputIteratorIllEEPS6_NSA_22TransformInputIteratorIb7NonZeroIfEPflEENS0_5tupleIJPlS6_EEENSJ_IJSD_SD_EEES6_SK_JS6_EEE10hipError_tPvRmT3_T4_T5_T6_T7_T9_mT8_P12ihipStream_tbDpT10_ENKUlT_T0_E_clISt17integral_constantIbLb0EES16_EEDaS11_S12_EUlS11_E_NS1_11comp_targetILNS1_3genE0ELNS1_11target_archE4294967295ELNS1_3gpuE0ELNS1_3repE0EEENS1_30default_config_static_selectorELNS0_4arch9wavefront6targetE1EEEvT1_.has_recursion, 0
	.set _ZN7rocprim17ROCPRIM_400000_NS6detail17trampoline_kernelINS0_14default_configENS1_25partition_config_selectorILNS1_17partition_subalgoE5ElNS0_10empty_typeEbEEZZNS1_14partition_implILS5_5ELb0ES3_mN6hipcub16HIPCUB_304000_NS21CountingInputIteratorIllEEPS6_NSA_22TransformInputIteratorIb7NonZeroIfEPflEENS0_5tupleIJPlS6_EEENSJ_IJSD_SD_EEES6_SK_JS6_EEE10hipError_tPvRmT3_T4_T5_T6_T7_T9_mT8_P12ihipStream_tbDpT10_ENKUlT_T0_E_clISt17integral_constantIbLb0EES16_EEDaS11_S12_EUlS11_E_NS1_11comp_targetILNS1_3genE0ELNS1_11target_archE4294967295ELNS1_3gpuE0ELNS1_3repE0EEENS1_30default_config_static_selectorELNS0_4arch9wavefront6targetE1EEEvT1_.has_indirect_call, 0
	.section	.AMDGPU.csdata,"",@progbits
; Kernel info:
; codeLenInByte = 6036
; TotalNumSgprs: 34
; NumVgprs: 70
; NumAgprs: 0
; TotalNumVgprs: 70
; ScratchSize: 0
; MemoryBound: 0
; FloatMode: 240
; IeeeMode: 1
; LDSByteSize: 7184 bytes/workgroup (compile time only)
; SGPRBlocks: 4
; VGPRBlocks: 8
; NumSGPRsForWavesPerEU: 34
; NumVGPRsForWavesPerEU: 70
; AccumOffset: 72
; Occupancy: 7
; WaveLimiterHint : 1
; COMPUTE_PGM_RSRC2:SCRATCH_EN: 0
; COMPUTE_PGM_RSRC2:USER_SGPR: 2
; COMPUTE_PGM_RSRC2:TRAP_HANDLER: 0
; COMPUTE_PGM_RSRC2:TGID_X_EN: 1
; COMPUTE_PGM_RSRC2:TGID_Y_EN: 0
; COMPUTE_PGM_RSRC2:TGID_Z_EN: 0
; COMPUTE_PGM_RSRC2:TIDIG_COMP_CNT: 0
; COMPUTE_PGM_RSRC3_GFX90A:ACCUM_OFFSET: 17
; COMPUTE_PGM_RSRC3_GFX90A:TG_SPLIT: 0
	.section	.text._ZN7rocprim17ROCPRIM_400000_NS6detail17trampoline_kernelINS0_14default_configENS1_25partition_config_selectorILNS1_17partition_subalgoE5ElNS0_10empty_typeEbEEZZNS1_14partition_implILS5_5ELb0ES3_mN6hipcub16HIPCUB_304000_NS21CountingInputIteratorIllEEPS6_NSA_22TransformInputIteratorIb7NonZeroIfEPflEENS0_5tupleIJPlS6_EEENSJ_IJSD_SD_EEES6_SK_JS6_EEE10hipError_tPvRmT3_T4_T5_T6_T7_T9_mT8_P12ihipStream_tbDpT10_ENKUlT_T0_E_clISt17integral_constantIbLb0EES16_EEDaS11_S12_EUlS11_E_NS1_11comp_targetILNS1_3genE5ELNS1_11target_archE942ELNS1_3gpuE9ELNS1_3repE0EEENS1_30default_config_static_selectorELNS0_4arch9wavefront6targetE1EEEvT1_,"axG",@progbits,_ZN7rocprim17ROCPRIM_400000_NS6detail17trampoline_kernelINS0_14default_configENS1_25partition_config_selectorILNS1_17partition_subalgoE5ElNS0_10empty_typeEbEEZZNS1_14partition_implILS5_5ELb0ES3_mN6hipcub16HIPCUB_304000_NS21CountingInputIteratorIllEEPS6_NSA_22TransformInputIteratorIb7NonZeroIfEPflEENS0_5tupleIJPlS6_EEENSJ_IJSD_SD_EEES6_SK_JS6_EEE10hipError_tPvRmT3_T4_T5_T6_T7_T9_mT8_P12ihipStream_tbDpT10_ENKUlT_T0_E_clISt17integral_constantIbLb0EES16_EEDaS11_S12_EUlS11_E_NS1_11comp_targetILNS1_3genE5ELNS1_11target_archE942ELNS1_3gpuE9ELNS1_3repE0EEENS1_30default_config_static_selectorELNS0_4arch9wavefront6targetE1EEEvT1_,comdat
	.protected	_ZN7rocprim17ROCPRIM_400000_NS6detail17trampoline_kernelINS0_14default_configENS1_25partition_config_selectorILNS1_17partition_subalgoE5ElNS0_10empty_typeEbEEZZNS1_14partition_implILS5_5ELb0ES3_mN6hipcub16HIPCUB_304000_NS21CountingInputIteratorIllEEPS6_NSA_22TransformInputIteratorIb7NonZeroIfEPflEENS0_5tupleIJPlS6_EEENSJ_IJSD_SD_EEES6_SK_JS6_EEE10hipError_tPvRmT3_T4_T5_T6_T7_T9_mT8_P12ihipStream_tbDpT10_ENKUlT_T0_E_clISt17integral_constantIbLb0EES16_EEDaS11_S12_EUlS11_E_NS1_11comp_targetILNS1_3genE5ELNS1_11target_archE942ELNS1_3gpuE9ELNS1_3repE0EEENS1_30default_config_static_selectorELNS0_4arch9wavefront6targetE1EEEvT1_ ; -- Begin function _ZN7rocprim17ROCPRIM_400000_NS6detail17trampoline_kernelINS0_14default_configENS1_25partition_config_selectorILNS1_17partition_subalgoE5ElNS0_10empty_typeEbEEZZNS1_14partition_implILS5_5ELb0ES3_mN6hipcub16HIPCUB_304000_NS21CountingInputIteratorIllEEPS6_NSA_22TransformInputIteratorIb7NonZeroIfEPflEENS0_5tupleIJPlS6_EEENSJ_IJSD_SD_EEES6_SK_JS6_EEE10hipError_tPvRmT3_T4_T5_T6_T7_T9_mT8_P12ihipStream_tbDpT10_ENKUlT_T0_E_clISt17integral_constantIbLb0EES16_EEDaS11_S12_EUlS11_E_NS1_11comp_targetILNS1_3genE5ELNS1_11target_archE942ELNS1_3gpuE9ELNS1_3repE0EEENS1_30default_config_static_selectorELNS0_4arch9wavefront6targetE1EEEvT1_
	.globl	_ZN7rocprim17ROCPRIM_400000_NS6detail17trampoline_kernelINS0_14default_configENS1_25partition_config_selectorILNS1_17partition_subalgoE5ElNS0_10empty_typeEbEEZZNS1_14partition_implILS5_5ELb0ES3_mN6hipcub16HIPCUB_304000_NS21CountingInputIteratorIllEEPS6_NSA_22TransformInputIteratorIb7NonZeroIfEPflEENS0_5tupleIJPlS6_EEENSJ_IJSD_SD_EEES6_SK_JS6_EEE10hipError_tPvRmT3_T4_T5_T6_T7_T9_mT8_P12ihipStream_tbDpT10_ENKUlT_T0_E_clISt17integral_constantIbLb0EES16_EEDaS11_S12_EUlS11_E_NS1_11comp_targetILNS1_3genE5ELNS1_11target_archE942ELNS1_3gpuE9ELNS1_3repE0EEENS1_30default_config_static_selectorELNS0_4arch9wavefront6targetE1EEEvT1_
	.p2align	8
	.type	_ZN7rocprim17ROCPRIM_400000_NS6detail17trampoline_kernelINS0_14default_configENS1_25partition_config_selectorILNS1_17partition_subalgoE5ElNS0_10empty_typeEbEEZZNS1_14partition_implILS5_5ELb0ES3_mN6hipcub16HIPCUB_304000_NS21CountingInputIteratorIllEEPS6_NSA_22TransformInputIteratorIb7NonZeroIfEPflEENS0_5tupleIJPlS6_EEENSJ_IJSD_SD_EEES6_SK_JS6_EEE10hipError_tPvRmT3_T4_T5_T6_T7_T9_mT8_P12ihipStream_tbDpT10_ENKUlT_T0_E_clISt17integral_constantIbLb0EES16_EEDaS11_S12_EUlS11_E_NS1_11comp_targetILNS1_3genE5ELNS1_11target_archE942ELNS1_3gpuE9ELNS1_3repE0EEENS1_30default_config_static_selectorELNS0_4arch9wavefront6targetE1EEEvT1_,@function
_ZN7rocprim17ROCPRIM_400000_NS6detail17trampoline_kernelINS0_14default_configENS1_25partition_config_selectorILNS1_17partition_subalgoE5ElNS0_10empty_typeEbEEZZNS1_14partition_implILS5_5ELb0ES3_mN6hipcub16HIPCUB_304000_NS21CountingInputIteratorIllEEPS6_NSA_22TransformInputIteratorIb7NonZeroIfEPflEENS0_5tupleIJPlS6_EEENSJ_IJSD_SD_EEES6_SK_JS6_EEE10hipError_tPvRmT3_T4_T5_T6_T7_T9_mT8_P12ihipStream_tbDpT10_ENKUlT_T0_E_clISt17integral_constantIbLb0EES16_EEDaS11_S12_EUlS11_E_NS1_11comp_targetILNS1_3genE5ELNS1_11target_archE942ELNS1_3gpuE9ELNS1_3repE0EEENS1_30default_config_static_selectorELNS0_4arch9wavefront6targetE1EEEvT1_: ; @_ZN7rocprim17ROCPRIM_400000_NS6detail17trampoline_kernelINS0_14default_configENS1_25partition_config_selectorILNS1_17partition_subalgoE5ElNS0_10empty_typeEbEEZZNS1_14partition_implILS5_5ELb0ES3_mN6hipcub16HIPCUB_304000_NS21CountingInputIteratorIllEEPS6_NSA_22TransformInputIteratorIb7NonZeroIfEPflEENS0_5tupleIJPlS6_EEENSJ_IJSD_SD_EEES6_SK_JS6_EEE10hipError_tPvRmT3_T4_T5_T6_T7_T9_mT8_P12ihipStream_tbDpT10_ENKUlT_T0_E_clISt17integral_constantIbLb0EES16_EEDaS11_S12_EUlS11_E_NS1_11comp_targetILNS1_3genE5ELNS1_11target_archE942ELNS1_3gpuE9ELNS1_3repE0EEENS1_30default_config_static_selectorELNS0_4arch9wavefront6targetE1EEEvT1_
; %bb.0:
	.section	.rodata,"a",@progbits
	.p2align	6, 0x0
	.amdhsa_kernel _ZN7rocprim17ROCPRIM_400000_NS6detail17trampoline_kernelINS0_14default_configENS1_25partition_config_selectorILNS1_17partition_subalgoE5ElNS0_10empty_typeEbEEZZNS1_14partition_implILS5_5ELb0ES3_mN6hipcub16HIPCUB_304000_NS21CountingInputIteratorIllEEPS6_NSA_22TransformInputIteratorIb7NonZeroIfEPflEENS0_5tupleIJPlS6_EEENSJ_IJSD_SD_EEES6_SK_JS6_EEE10hipError_tPvRmT3_T4_T5_T6_T7_T9_mT8_P12ihipStream_tbDpT10_ENKUlT_T0_E_clISt17integral_constantIbLb0EES16_EEDaS11_S12_EUlS11_E_NS1_11comp_targetILNS1_3genE5ELNS1_11target_archE942ELNS1_3gpuE9ELNS1_3repE0EEENS1_30default_config_static_selectorELNS0_4arch9wavefront6targetE1EEEvT1_
		.amdhsa_group_segment_fixed_size 0
		.amdhsa_private_segment_fixed_size 0
		.amdhsa_kernarg_size 120
		.amdhsa_user_sgpr_count 2
		.amdhsa_user_sgpr_dispatch_ptr 0
		.amdhsa_user_sgpr_queue_ptr 0
		.amdhsa_user_sgpr_kernarg_segment_ptr 1
		.amdhsa_user_sgpr_dispatch_id 0
		.amdhsa_user_sgpr_kernarg_preload_length 0
		.amdhsa_user_sgpr_kernarg_preload_offset 0
		.amdhsa_user_sgpr_private_segment_size 0
		.amdhsa_uses_dynamic_stack 0
		.amdhsa_enable_private_segment 0
		.amdhsa_system_sgpr_workgroup_id_x 1
		.amdhsa_system_sgpr_workgroup_id_y 0
		.amdhsa_system_sgpr_workgroup_id_z 0
		.amdhsa_system_sgpr_workgroup_info 0
		.amdhsa_system_vgpr_workitem_id 0
		.amdhsa_next_free_vgpr 1
		.amdhsa_next_free_sgpr 0
		.amdhsa_accum_offset 4
		.amdhsa_reserve_vcc 0
		.amdhsa_float_round_mode_32 0
		.amdhsa_float_round_mode_16_64 0
		.amdhsa_float_denorm_mode_32 3
		.amdhsa_float_denorm_mode_16_64 3
		.amdhsa_dx10_clamp 1
		.amdhsa_ieee_mode 1
		.amdhsa_fp16_overflow 0
		.amdhsa_tg_split 0
		.amdhsa_exception_fp_ieee_invalid_op 0
		.amdhsa_exception_fp_denorm_src 0
		.amdhsa_exception_fp_ieee_div_zero 0
		.amdhsa_exception_fp_ieee_overflow 0
		.amdhsa_exception_fp_ieee_underflow 0
		.amdhsa_exception_fp_ieee_inexact 0
		.amdhsa_exception_int_div_zero 0
	.end_amdhsa_kernel
	.section	.text._ZN7rocprim17ROCPRIM_400000_NS6detail17trampoline_kernelINS0_14default_configENS1_25partition_config_selectorILNS1_17partition_subalgoE5ElNS0_10empty_typeEbEEZZNS1_14partition_implILS5_5ELb0ES3_mN6hipcub16HIPCUB_304000_NS21CountingInputIteratorIllEEPS6_NSA_22TransformInputIteratorIb7NonZeroIfEPflEENS0_5tupleIJPlS6_EEENSJ_IJSD_SD_EEES6_SK_JS6_EEE10hipError_tPvRmT3_T4_T5_T6_T7_T9_mT8_P12ihipStream_tbDpT10_ENKUlT_T0_E_clISt17integral_constantIbLb0EES16_EEDaS11_S12_EUlS11_E_NS1_11comp_targetILNS1_3genE5ELNS1_11target_archE942ELNS1_3gpuE9ELNS1_3repE0EEENS1_30default_config_static_selectorELNS0_4arch9wavefront6targetE1EEEvT1_,"axG",@progbits,_ZN7rocprim17ROCPRIM_400000_NS6detail17trampoline_kernelINS0_14default_configENS1_25partition_config_selectorILNS1_17partition_subalgoE5ElNS0_10empty_typeEbEEZZNS1_14partition_implILS5_5ELb0ES3_mN6hipcub16HIPCUB_304000_NS21CountingInputIteratorIllEEPS6_NSA_22TransformInputIteratorIb7NonZeroIfEPflEENS0_5tupleIJPlS6_EEENSJ_IJSD_SD_EEES6_SK_JS6_EEE10hipError_tPvRmT3_T4_T5_T6_T7_T9_mT8_P12ihipStream_tbDpT10_ENKUlT_T0_E_clISt17integral_constantIbLb0EES16_EEDaS11_S12_EUlS11_E_NS1_11comp_targetILNS1_3genE5ELNS1_11target_archE942ELNS1_3gpuE9ELNS1_3repE0EEENS1_30default_config_static_selectorELNS0_4arch9wavefront6targetE1EEEvT1_,comdat
.Lfunc_end254:
	.size	_ZN7rocprim17ROCPRIM_400000_NS6detail17trampoline_kernelINS0_14default_configENS1_25partition_config_selectorILNS1_17partition_subalgoE5ElNS0_10empty_typeEbEEZZNS1_14partition_implILS5_5ELb0ES3_mN6hipcub16HIPCUB_304000_NS21CountingInputIteratorIllEEPS6_NSA_22TransformInputIteratorIb7NonZeroIfEPflEENS0_5tupleIJPlS6_EEENSJ_IJSD_SD_EEES6_SK_JS6_EEE10hipError_tPvRmT3_T4_T5_T6_T7_T9_mT8_P12ihipStream_tbDpT10_ENKUlT_T0_E_clISt17integral_constantIbLb0EES16_EEDaS11_S12_EUlS11_E_NS1_11comp_targetILNS1_3genE5ELNS1_11target_archE942ELNS1_3gpuE9ELNS1_3repE0EEENS1_30default_config_static_selectorELNS0_4arch9wavefront6targetE1EEEvT1_, .Lfunc_end254-_ZN7rocprim17ROCPRIM_400000_NS6detail17trampoline_kernelINS0_14default_configENS1_25partition_config_selectorILNS1_17partition_subalgoE5ElNS0_10empty_typeEbEEZZNS1_14partition_implILS5_5ELb0ES3_mN6hipcub16HIPCUB_304000_NS21CountingInputIteratorIllEEPS6_NSA_22TransformInputIteratorIb7NonZeroIfEPflEENS0_5tupleIJPlS6_EEENSJ_IJSD_SD_EEES6_SK_JS6_EEE10hipError_tPvRmT3_T4_T5_T6_T7_T9_mT8_P12ihipStream_tbDpT10_ENKUlT_T0_E_clISt17integral_constantIbLb0EES16_EEDaS11_S12_EUlS11_E_NS1_11comp_targetILNS1_3genE5ELNS1_11target_archE942ELNS1_3gpuE9ELNS1_3repE0EEENS1_30default_config_static_selectorELNS0_4arch9wavefront6targetE1EEEvT1_
                                        ; -- End function
	.set _ZN7rocprim17ROCPRIM_400000_NS6detail17trampoline_kernelINS0_14default_configENS1_25partition_config_selectorILNS1_17partition_subalgoE5ElNS0_10empty_typeEbEEZZNS1_14partition_implILS5_5ELb0ES3_mN6hipcub16HIPCUB_304000_NS21CountingInputIteratorIllEEPS6_NSA_22TransformInputIteratorIb7NonZeroIfEPflEENS0_5tupleIJPlS6_EEENSJ_IJSD_SD_EEES6_SK_JS6_EEE10hipError_tPvRmT3_T4_T5_T6_T7_T9_mT8_P12ihipStream_tbDpT10_ENKUlT_T0_E_clISt17integral_constantIbLb0EES16_EEDaS11_S12_EUlS11_E_NS1_11comp_targetILNS1_3genE5ELNS1_11target_archE942ELNS1_3gpuE9ELNS1_3repE0EEENS1_30default_config_static_selectorELNS0_4arch9wavefront6targetE1EEEvT1_.num_vgpr, 0
	.set _ZN7rocprim17ROCPRIM_400000_NS6detail17trampoline_kernelINS0_14default_configENS1_25partition_config_selectorILNS1_17partition_subalgoE5ElNS0_10empty_typeEbEEZZNS1_14partition_implILS5_5ELb0ES3_mN6hipcub16HIPCUB_304000_NS21CountingInputIteratorIllEEPS6_NSA_22TransformInputIteratorIb7NonZeroIfEPflEENS0_5tupleIJPlS6_EEENSJ_IJSD_SD_EEES6_SK_JS6_EEE10hipError_tPvRmT3_T4_T5_T6_T7_T9_mT8_P12ihipStream_tbDpT10_ENKUlT_T0_E_clISt17integral_constantIbLb0EES16_EEDaS11_S12_EUlS11_E_NS1_11comp_targetILNS1_3genE5ELNS1_11target_archE942ELNS1_3gpuE9ELNS1_3repE0EEENS1_30default_config_static_selectorELNS0_4arch9wavefront6targetE1EEEvT1_.num_agpr, 0
	.set _ZN7rocprim17ROCPRIM_400000_NS6detail17trampoline_kernelINS0_14default_configENS1_25partition_config_selectorILNS1_17partition_subalgoE5ElNS0_10empty_typeEbEEZZNS1_14partition_implILS5_5ELb0ES3_mN6hipcub16HIPCUB_304000_NS21CountingInputIteratorIllEEPS6_NSA_22TransformInputIteratorIb7NonZeroIfEPflEENS0_5tupleIJPlS6_EEENSJ_IJSD_SD_EEES6_SK_JS6_EEE10hipError_tPvRmT3_T4_T5_T6_T7_T9_mT8_P12ihipStream_tbDpT10_ENKUlT_T0_E_clISt17integral_constantIbLb0EES16_EEDaS11_S12_EUlS11_E_NS1_11comp_targetILNS1_3genE5ELNS1_11target_archE942ELNS1_3gpuE9ELNS1_3repE0EEENS1_30default_config_static_selectorELNS0_4arch9wavefront6targetE1EEEvT1_.numbered_sgpr, 0
	.set _ZN7rocprim17ROCPRIM_400000_NS6detail17trampoline_kernelINS0_14default_configENS1_25partition_config_selectorILNS1_17partition_subalgoE5ElNS0_10empty_typeEbEEZZNS1_14partition_implILS5_5ELb0ES3_mN6hipcub16HIPCUB_304000_NS21CountingInputIteratorIllEEPS6_NSA_22TransformInputIteratorIb7NonZeroIfEPflEENS0_5tupleIJPlS6_EEENSJ_IJSD_SD_EEES6_SK_JS6_EEE10hipError_tPvRmT3_T4_T5_T6_T7_T9_mT8_P12ihipStream_tbDpT10_ENKUlT_T0_E_clISt17integral_constantIbLb0EES16_EEDaS11_S12_EUlS11_E_NS1_11comp_targetILNS1_3genE5ELNS1_11target_archE942ELNS1_3gpuE9ELNS1_3repE0EEENS1_30default_config_static_selectorELNS0_4arch9wavefront6targetE1EEEvT1_.num_named_barrier, 0
	.set _ZN7rocprim17ROCPRIM_400000_NS6detail17trampoline_kernelINS0_14default_configENS1_25partition_config_selectorILNS1_17partition_subalgoE5ElNS0_10empty_typeEbEEZZNS1_14partition_implILS5_5ELb0ES3_mN6hipcub16HIPCUB_304000_NS21CountingInputIteratorIllEEPS6_NSA_22TransformInputIteratorIb7NonZeroIfEPflEENS0_5tupleIJPlS6_EEENSJ_IJSD_SD_EEES6_SK_JS6_EEE10hipError_tPvRmT3_T4_T5_T6_T7_T9_mT8_P12ihipStream_tbDpT10_ENKUlT_T0_E_clISt17integral_constantIbLb0EES16_EEDaS11_S12_EUlS11_E_NS1_11comp_targetILNS1_3genE5ELNS1_11target_archE942ELNS1_3gpuE9ELNS1_3repE0EEENS1_30default_config_static_selectorELNS0_4arch9wavefront6targetE1EEEvT1_.private_seg_size, 0
	.set _ZN7rocprim17ROCPRIM_400000_NS6detail17trampoline_kernelINS0_14default_configENS1_25partition_config_selectorILNS1_17partition_subalgoE5ElNS0_10empty_typeEbEEZZNS1_14partition_implILS5_5ELb0ES3_mN6hipcub16HIPCUB_304000_NS21CountingInputIteratorIllEEPS6_NSA_22TransformInputIteratorIb7NonZeroIfEPflEENS0_5tupleIJPlS6_EEENSJ_IJSD_SD_EEES6_SK_JS6_EEE10hipError_tPvRmT3_T4_T5_T6_T7_T9_mT8_P12ihipStream_tbDpT10_ENKUlT_T0_E_clISt17integral_constantIbLb0EES16_EEDaS11_S12_EUlS11_E_NS1_11comp_targetILNS1_3genE5ELNS1_11target_archE942ELNS1_3gpuE9ELNS1_3repE0EEENS1_30default_config_static_selectorELNS0_4arch9wavefront6targetE1EEEvT1_.uses_vcc, 0
	.set _ZN7rocprim17ROCPRIM_400000_NS6detail17trampoline_kernelINS0_14default_configENS1_25partition_config_selectorILNS1_17partition_subalgoE5ElNS0_10empty_typeEbEEZZNS1_14partition_implILS5_5ELb0ES3_mN6hipcub16HIPCUB_304000_NS21CountingInputIteratorIllEEPS6_NSA_22TransformInputIteratorIb7NonZeroIfEPflEENS0_5tupleIJPlS6_EEENSJ_IJSD_SD_EEES6_SK_JS6_EEE10hipError_tPvRmT3_T4_T5_T6_T7_T9_mT8_P12ihipStream_tbDpT10_ENKUlT_T0_E_clISt17integral_constantIbLb0EES16_EEDaS11_S12_EUlS11_E_NS1_11comp_targetILNS1_3genE5ELNS1_11target_archE942ELNS1_3gpuE9ELNS1_3repE0EEENS1_30default_config_static_selectorELNS0_4arch9wavefront6targetE1EEEvT1_.uses_flat_scratch, 0
	.set _ZN7rocprim17ROCPRIM_400000_NS6detail17trampoline_kernelINS0_14default_configENS1_25partition_config_selectorILNS1_17partition_subalgoE5ElNS0_10empty_typeEbEEZZNS1_14partition_implILS5_5ELb0ES3_mN6hipcub16HIPCUB_304000_NS21CountingInputIteratorIllEEPS6_NSA_22TransformInputIteratorIb7NonZeroIfEPflEENS0_5tupleIJPlS6_EEENSJ_IJSD_SD_EEES6_SK_JS6_EEE10hipError_tPvRmT3_T4_T5_T6_T7_T9_mT8_P12ihipStream_tbDpT10_ENKUlT_T0_E_clISt17integral_constantIbLb0EES16_EEDaS11_S12_EUlS11_E_NS1_11comp_targetILNS1_3genE5ELNS1_11target_archE942ELNS1_3gpuE9ELNS1_3repE0EEENS1_30default_config_static_selectorELNS0_4arch9wavefront6targetE1EEEvT1_.has_dyn_sized_stack, 0
	.set _ZN7rocprim17ROCPRIM_400000_NS6detail17trampoline_kernelINS0_14default_configENS1_25partition_config_selectorILNS1_17partition_subalgoE5ElNS0_10empty_typeEbEEZZNS1_14partition_implILS5_5ELb0ES3_mN6hipcub16HIPCUB_304000_NS21CountingInputIteratorIllEEPS6_NSA_22TransformInputIteratorIb7NonZeroIfEPflEENS0_5tupleIJPlS6_EEENSJ_IJSD_SD_EEES6_SK_JS6_EEE10hipError_tPvRmT3_T4_T5_T6_T7_T9_mT8_P12ihipStream_tbDpT10_ENKUlT_T0_E_clISt17integral_constantIbLb0EES16_EEDaS11_S12_EUlS11_E_NS1_11comp_targetILNS1_3genE5ELNS1_11target_archE942ELNS1_3gpuE9ELNS1_3repE0EEENS1_30default_config_static_selectorELNS0_4arch9wavefront6targetE1EEEvT1_.has_recursion, 0
	.set _ZN7rocprim17ROCPRIM_400000_NS6detail17trampoline_kernelINS0_14default_configENS1_25partition_config_selectorILNS1_17partition_subalgoE5ElNS0_10empty_typeEbEEZZNS1_14partition_implILS5_5ELb0ES3_mN6hipcub16HIPCUB_304000_NS21CountingInputIteratorIllEEPS6_NSA_22TransformInputIteratorIb7NonZeroIfEPflEENS0_5tupleIJPlS6_EEENSJ_IJSD_SD_EEES6_SK_JS6_EEE10hipError_tPvRmT3_T4_T5_T6_T7_T9_mT8_P12ihipStream_tbDpT10_ENKUlT_T0_E_clISt17integral_constantIbLb0EES16_EEDaS11_S12_EUlS11_E_NS1_11comp_targetILNS1_3genE5ELNS1_11target_archE942ELNS1_3gpuE9ELNS1_3repE0EEENS1_30default_config_static_selectorELNS0_4arch9wavefront6targetE1EEEvT1_.has_indirect_call, 0
	.section	.AMDGPU.csdata,"",@progbits
; Kernel info:
; codeLenInByte = 0
; TotalNumSgprs: 6
; NumVgprs: 0
; NumAgprs: 0
; TotalNumVgprs: 0
; ScratchSize: 0
; MemoryBound: 0
; FloatMode: 240
; IeeeMode: 1
; LDSByteSize: 0 bytes/workgroup (compile time only)
; SGPRBlocks: 0
; VGPRBlocks: 0
; NumSGPRsForWavesPerEU: 6
; NumVGPRsForWavesPerEU: 1
; AccumOffset: 4
; Occupancy: 8
; WaveLimiterHint : 0
; COMPUTE_PGM_RSRC2:SCRATCH_EN: 0
; COMPUTE_PGM_RSRC2:USER_SGPR: 2
; COMPUTE_PGM_RSRC2:TRAP_HANDLER: 0
; COMPUTE_PGM_RSRC2:TGID_X_EN: 1
; COMPUTE_PGM_RSRC2:TGID_Y_EN: 0
; COMPUTE_PGM_RSRC2:TGID_Z_EN: 0
; COMPUTE_PGM_RSRC2:TIDIG_COMP_CNT: 0
; COMPUTE_PGM_RSRC3_GFX90A:ACCUM_OFFSET: 0
; COMPUTE_PGM_RSRC3_GFX90A:TG_SPLIT: 0
	.section	.text._ZN7rocprim17ROCPRIM_400000_NS6detail17trampoline_kernelINS0_14default_configENS1_25partition_config_selectorILNS1_17partition_subalgoE5ElNS0_10empty_typeEbEEZZNS1_14partition_implILS5_5ELb0ES3_mN6hipcub16HIPCUB_304000_NS21CountingInputIteratorIllEEPS6_NSA_22TransformInputIteratorIb7NonZeroIfEPflEENS0_5tupleIJPlS6_EEENSJ_IJSD_SD_EEES6_SK_JS6_EEE10hipError_tPvRmT3_T4_T5_T6_T7_T9_mT8_P12ihipStream_tbDpT10_ENKUlT_T0_E_clISt17integral_constantIbLb0EES16_EEDaS11_S12_EUlS11_E_NS1_11comp_targetILNS1_3genE4ELNS1_11target_archE910ELNS1_3gpuE8ELNS1_3repE0EEENS1_30default_config_static_selectorELNS0_4arch9wavefront6targetE1EEEvT1_,"axG",@progbits,_ZN7rocprim17ROCPRIM_400000_NS6detail17trampoline_kernelINS0_14default_configENS1_25partition_config_selectorILNS1_17partition_subalgoE5ElNS0_10empty_typeEbEEZZNS1_14partition_implILS5_5ELb0ES3_mN6hipcub16HIPCUB_304000_NS21CountingInputIteratorIllEEPS6_NSA_22TransformInputIteratorIb7NonZeroIfEPflEENS0_5tupleIJPlS6_EEENSJ_IJSD_SD_EEES6_SK_JS6_EEE10hipError_tPvRmT3_T4_T5_T6_T7_T9_mT8_P12ihipStream_tbDpT10_ENKUlT_T0_E_clISt17integral_constantIbLb0EES16_EEDaS11_S12_EUlS11_E_NS1_11comp_targetILNS1_3genE4ELNS1_11target_archE910ELNS1_3gpuE8ELNS1_3repE0EEENS1_30default_config_static_selectorELNS0_4arch9wavefront6targetE1EEEvT1_,comdat
	.protected	_ZN7rocprim17ROCPRIM_400000_NS6detail17trampoline_kernelINS0_14default_configENS1_25partition_config_selectorILNS1_17partition_subalgoE5ElNS0_10empty_typeEbEEZZNS1_14partition_implILS5_5ELb0ES3_mN6hipcub16HIPCUB_304000_NS21CountingInputIteratorIllEEPS6_NSA_22TransformInputIteratorIb7NonZeroIfEPflEENS0_5tupleIJPlS6_EEENSJ_IJSD_SD_EEES6_SK_JS6_EEE10hipError_tPvRmT3_T4_T5_T6_T7_T9_mT8_P12ihipStream_tbDpT10_ENKUlT_T0_E_clISt17integral_constantIbLb0EES16_EEDaS11_S12_EUlS11_E_NS1_11comp_targetILNS1_3genE4ELNS1_11target_archE910ELNS1_3gpuE8ELNS1_3repE0EEENS1_30default_config_static_selectorELNS0_4arch9wavefront6targetE1EEEvT1_ ; -- Begin function _ZN7rocprim17ROCPRIM_400000_NS6detail17trampoline_kernelINS0_14default_configENS1_25partition_config_selectorILNS1_17partition_subalgoE5ElNS0_10empty_typeEbEEZZNS1_14partition_implILS5_5ELb0ES3_mN6hipcub16HIPCUB_304000_NS21CountingInputIteratorIllEEPS6_NSA_22TransformInputIteratorIb7NonZeroIfEPflEENS0_5tupleIJPlS6_EEENSJ_IJSD_SD_EEES6_SK_JS6_EEE10hipError_tPvRmT3_T4_T5_T6_T7_T9_mT8_P12ihipStream_tbDpT10_ENKUlT_T0_E_clISt17integral_constantIbLb0EES16_EEDaS11_S12_EUlS11_E_NS1_11comp_targetILNS1_3genE4ELNS1_11target_archE910ELNS1_3gpuE8ELNS1_3repE0EEENS1_30default_config_static_selectorELNS0_4arch9wavefront6targetE1EEEvT1_
	.globl	_ZN7rocprim17ROCPRIM_400000_NS6detail17trampoline_kernelINS0_14default_configENS1_25partition_config_selectorILNS1_17partition_subalgoE5ElNS0_10empty_typeEbEEZZNS1_14partition_implILS5_5ELb0ES3_mN6hipcub16HIPCUB_304000_NS21CountingInputIteratorIllEEPS6_NSA_22TransformInputIteratorIb7NonZeroIfEPflEENS0_5tupleIJPlS6_EEENSJ_IJSD_SD_EEES6_SK_JS6_EEE10hipError_tPvRmT3_T4_T5_T6_T7_T9_mT8_P12ihipStream_tbDpT10_ENKUlT_T0_E_clISt17integral_constantIbLb0EES16_EEDaS11_S12_EUlS11_E_NS1_11comp_targetILNS1_3genE4ELNS1_11target_archE910ELNS1_3gpuE8ELNS1_3repE0EEENS1_30default_config_static_selectorELNS0_4arch9wavefront6targetE1EEEvT1_
	.p2align	8
	.type	_ZN7rocprim17ROCPRIM_400000_NS6detail17trampoline_kernelINS0_14default_configENS1_25partition_config_selectorILNS1_17partition_subalgoE5ElNS0_10empty_typeEbEEZZNS1_14partition_implILS5_5ELb0ES3_mN6hipcub16HIPCUB_304000_NS21CountingInputIteratorIllEEPS6_NSA_22TransformInputIteratorIb7NonZeroIfEPflEENS0_5tupleIJPlS6_EEENSJ_IJSD_SD_EEES6_SK_JS6_EEE10hipError_tPvRmT3_T4_T5_T6_T7_T9_mT8_P12ihipStream_tbDpT10_ENKUlT_T0_E_clISt17integral_constantIbLb0EES16_EEDaS11_S12_EUlS11_E_NS1_11comp_targetILNS1_3genE4ELNS1_11target_archE910ELNS1_3gpuE8ELNS1_3repE0EEENS1_30default_config_static_selectorELNS0_4arch9wavefront6targetE1EEEvT1_,@function
_ZN7rocprim17ROCPRIM_400000_NS6detail17trampoline_kernelINS0_14default_configENS1_25partition_config_selectorILNS1_17partition_subalgoE5ElNS0_10empty_typeEbEEZZNS1_14partition_implILS5_5ELb0ES3_mN6hipcub16HIPCUB_304000_NS21CountingInputIteratorIllEEPS6_NSA_22TransformInputIteratorIb7NonZeroIfEPflEENS0_5tupleIJPlS6_EEENSJ_IJSD_SD_EEES6_SK_JS6_EEE10hipError_tPvRmT3_T4_T5_T6_T7_T9_mT8_P12ihipStream_tbDpT10_ENKUlT_T0_E_clISt17integral_constantIbLb0EES16_EEDaS11_S12_EUlS11_E_NS1_11comp_targetILNS1_3genE4ELNS1_11target_archE910ELNS1_3gpuE8ELNS1_3repE0EEENS1_30default_config_static_selectorELNS0_4arch9wavefront6targetE1EEEvT1_: ; @_ZN7rocprim17ROCPRIM_400000_NS6detail17trampoline_kernelINS0_14default_configENS1_25partition_config_selectorILNS1_17partition_subalgoE5ElNS0_10empty_typeEbEEZZNS1_14partition_implILS5_5ELb0ES3_mN6hipcub16HIPCUB_304000_NS21CountingInputIteratorIllEEPS6_NSA_22TransformInputIteratorIb7NonZeroIfEPflEENS0_5tupleIJPlS6_EEENSJ_IJSD_SD_EEES6_SK_JS6_EEE10hipError_tPvRmT3_T4_T5_T6_T7_T9_mT8_P12ihipStream_tbDpT10_ENKUlT_T0_E_clISt17integral_constantIbLb0EES16_EEDaS11_S12_EUlS11_E_NS1_11comp_targetILNS1_3genE4ELNS1_11target_archE910ELNS1_3gpuE8ELNS1_3repE0EEENS1_30default_config_static_selectorELNS0_4arch9wavefront6targetE1EEEvT1_
; %bb.0:
	.section	.rodata,"a",@progbits
	.p2align	6, 0x0
	.amdhsa_kernel _ZN7rocprim17ROCPRIM_400000_NS6detail17trampoline_kernelINS0_14default_configENS1_25partition_config_selectorILNS1_17partition_subalgoE5ElNS0_10empty_typeEbEEZZNS1_14partition_implILS5_5ELb0ES3_mN6hipcub16HIPCUB_304000_NS21CountingInputIteratorIllEEPS6_NSA_22TransformInputIteratorIb7NonZeroIfEPflEENS0_5tupleIJPlS6_EEENSJ_IJSD_SD_EEES6_SK_JS6_EEE10hipError_tPvRmT3_T4_T5_T6_T7_T9_mT8_P12ihipStream_tbDpT10_ENKUlT_T0_E_clISt17integral_constantIbLb0EES16_EEDaS11_S12_EUlS11_E_NS1_11comp_targetILNS1_3genE4ELNS1_11target_archE910ELNS1_3gpuE8ELNS1_3repE0EEENS1_30default_config_static_selectorELNS0_4arch9wavefront6targetE1EEEvT1_
		.amdhsa_group_segment_fixed_size 0
		.amdhsa_private_segment_fixed_size 0
		.amdhsa_kernarg_size 120
		.amdhsa_user_sgpr_count 2
		.amdhsa_user_sgpr_dispatch_ptr 0
		.amdhsa_user_sgpr_queue_ptr 0
		.amdhsa_user_sgpr_kernarg_segment_ptr 1
		.amdhsa_user_sgpr_dispatch_id 0
		.amdhsa_user_sgpr_kernarg_preload_length 0
		.amdhsa_user_sgpr_kernarg_preload_offset 0
		.amdhsa_user_sgpr_private_segment_size 0
		.amdhsa_uses_dynamic_stack 0
		.amdhsa_enable_private_segment 0
		.amdhsa_system_sgpr_workgroup_id_x 1
		.amdhsa_system_sgpr_workgroup_id_y 0
		.amdhsa_system_sgpr_workgroup_id_z 0
		.amdhsa_system_sgpr_workgroup_info 0
		.amdhsa_system_vgpr_workitem_id 0
		.amdhsa_next_free_vgpr 1
		.amdhsa_next_free_sgpr 0
		.amdhsa_accum_offset 4
		.amdhsa_reserve_vcc 0
		.amdhsa_float_round_mode_32 0
		.amdhsa_float_round_mode_16_64 0
		.amdhsa_float_denorm_mode_32 3
		.amdhsa_float_denorm_mode_16_64 3
		.amdhsa_dx10_clamp 1
		.amdhsa_ieee_mode 1
		.amdhsa_fp16_overflow 0
		.amdhsa_tg_split 0
		.amdhsa_exception_fp_ieee_invalid_op 0
		.amdhsa_exception_fp_denorm_src 0
		.amdhsa_exception_fp_ieee_div_zero 0
		.amdhsa_exception_fp_ieee_overflow 0
		.amdhsa_exception_fp_ieee_underflow 0
		.amdhsa_exception_fp_ieee_inexact 0
		.amdhsa_exception_int_div_zero 0
	.end_amdhsa_kernel
	.section	.text._ZN7rocprim17ROCPRIM_400000_NS6detail17trampoline_kernelINS0_14default_configENS1_25partition_config_selectorILNS1_17partition_subalgoE5ElNS0_10empty_typeEbEEZZNS1_14partition_implILS5_5ELb0ES3_mN6hipcub16HIPCUB_304000_NS21CountingInputIteratorIllEEPS6_NSA_22TransformInputIteratorIb7NonZeroIfEPflEENS0_5tupleIJPlS6_EEENSJ_IJSD_SD_EEES6_SK_JS6_EEE10hipError_tPvRmT3_T4_T5_T6_T7_T9_mT8_P12ihipStream_tbDpT10_ENKUlT_T0_E_clISt17integral_constantIbLb0EES16_EEDaS11_S12_EUlS11_E_NS1_11comp_targetILNS1_3genE4ELNS1_11target_archE910ELNS1_3gpuE8ELNS1_3repE0EEENS1_30default_config_static_selectorELNS0_4arch9wavefront6targetE1EEEvT1_,"axG",@progbits,_ZN7rocprim17ROCPRIM_400000_NS6detail17trampoline_kernelINS0_14default_configENS1_25partition_config_selectorILNS1_17partition_subalgoE5ElNS0_10empty_typeEbEEZZNS1_14partition_implILS5_5ELb0ES3_mN6hipcub16HIPCUB_304000_NS21CountingInputIteratorIllEEPS6_NSA_22TransformInputIteratorIb7NonZeroIfEPflEENS0_5tupleIJPlS6_EEENSJ_IJSD_SD_EEES6_SK_JS6_EEE10hipError_tPvRmT3_T4_T5_T6_T7_T9_mT8_P12ihipStream_tbDpT10_ENKUlT_T0_E_clISt17integral_constantIbLb0EES16_EEDaS11_S12_EUlS11_E_NS1_11comp_targetILNS1_3genE4ELNS1_11target_archE910ELNS1_3gpuE8ELNS1_3repE0EEENS1_30default_config_static_selectorELNS0_4arch9wavefront6targetE1EEEvT1_,comdat
.Lfunc_end255:
	.size	_ZN7rocprim17ROCPRIM_400000_NS6detail17trampoline_kernelINS0_14default_configENS1_25partition_config_selectorILNS1_17partition_subalgoE5ElNS0_10empty_typeEbEEZZNS1_14partition_implILS5_5ELb0ES3_mN6hipcub16HIPCUB_304000_NS21CountingInputIteratorIllEEPS6_NSA_22TransformInputIteratorIb7NonZeroIfEPflEENS0_5tupleIJPlS6_EEENSJ_IJSD_SD_EEES6_SK_JS6_EEE10hipError_tPvRmT3_T4_T5_T6_T7_T9_mT8_P12ihipStream_tbDpT10_ENKUlT_T0_E_clISt17integral_constantIbLb0EES16_EEDaS11_S12_EUlS11_E_NS1_11comp_targetILNS1_3genE4ELNS1_11target_archE910ELNS1_3gpuE8ELNS1_3repE0EEENS1_30default_config_static_selectorELNS0_4arch9wavefront6targetE1EEEvT1_, .Lfunc_end255-_ZN7rocprim17ROCPRIM_400000_NS6detail17trampoline_kernelINS0_14default_configENS1_25partition_config_selectorILNS1_17partition_subalgoE5ElNS0_10empty_typeEbEEZZNS1_14partition_implILS5_5ELb0ES3_mN6hipcub16HIPCUB_304000_NS21CountingInputIteratorIllEEPS6_NSA_22TransformInputIteratorIb7NonZeroIfEPflEENS0_5tupleIJPlS6_EEENSJ_IJSD_SD_EEES6_SK_JS6_EEE10hipError_tPvRmT3_T4_T5_T6_T7_T9_mT8_P12ihipStream_tbDpT10_ENKUlT_T0_E_clISt17integral_constantIbLb0EES16_EEDaS11_S12_EUlS11_E_NS1_11comp_targetILNS1_3genE4ELNS1_11target_archE910ELNS1_3gpuE8ELNS1_3repE0EEENS1_30default_config_static_selectorELNS0_4arch9wavefront6targetE1EEEvT1_
                                        ; -- End function
	.set _ZN7rocprim17ROCPRIM_400000_NS6detail17trampoline_kernelINS0_14default_configENS1_25partition_config_selectorILNS1_17partition_subalgoE5ElNS0_10empty_typeEbEEZZNS1_14partition_implILS5_5ELb0ES3_mN6hipcub16HIPCUB_304000_NS21CountingInputIteratorIllEEPS6_NSA_22TransformInputIteratorIb7NonZeroIfEPflEENS0_5tupleIJPlS6_EEENSJ_IJSD_SD_EEES6_SK_JS6_EEE10hipError_tPvRmT3_T4_T5_T6_T7_T9_mT8_P12ihipStream_tbDpT10_ENKUlT_T0_E_clISt17integral_constantIbLb0EES16_EEDaS11_S12_EUlS11_E_NS1_11comp_targetILNS1_3genE4ELNS1_11target_archE910ELNS1_3gpuE8ELNS1_3repE0EEENS1_30default_config_static_selectorELNS0_4arch9wavefront6targetE1EEEvT1_.num_vgpr, 0
	.set _ZN7rocprim17ROCPRIM_400000_NS6detail17trampoline_kernelINS0_14default_configENS1_25partition_config_selectorILNS1_17partition_subalgoE5ElNS0_10empty_typeEbEEZZNS1_14partition_implILS5_5ELb0ES3_mN6hipcub16HIPCUB_304000_NS21CountingInputIteratorIllEEPS6_NSA_22TransformInputIteratorIb7NonZeroIfEPflEENS0_5tupleIJPlS6_EEENSJ_IJSD_SD_EEES6_SK_JS6_EEE10hipError_tPvRmT3_T4_T5_T6_T7_T9_mT8_P12ihipStream_tbDpT10_ENKUlT_T0_E_clISt17integral_constantIbLb0EES16_EEDaS11_S12_EUlS11_E_NS1_11comp_targetILNS1_3genE4ELNS1_11target_archE910ELNS1_3gpuE8ELNS1_3repE0EEENS1_30default_config_static_selectorELNS0_4arch9wavefront6targetE1EEEvT1_.num_agpr, 0
	.set _ZN7rocprim17ROCPRIM_400000_NS6detail17trampoline_kernelINS0_14default_configENS1_25partition_config_selectorILNS1_17partition_subalgoE5ElNS0_10empty_typeEbEEZZNS1_14partition_implILS5_5ELb0ES3_mN6hipcub16HIPCUB_304000_NS21CountingInputIteratorIllEEPS6_NSA_22TransformInputIteratorIb7NonZeroIfEPflEENS0_5tupleIJPlS6_EEENSJ_IJSD_SD_EEES6_SK_JS6_EEE10hipError_tPvRmT3_T4_T5_T6_T7_T9_mT8_P12ihipStream_tbDpT10_ENKUlT_T0_E_clISt17integral_constantIbLb0EES16_EEDaS11_S12_EUlS11_E_NS1_11comp_targetILNS1_3genE4ELNS1_11target_archE910ELNS1_3gpuE8ELNS1_3repE0EEENS1_30default_config_static_selectorELNS0_4arch9wavefront6targetE1EEEvT1_.numbered_sgpr, 0
	.set _ZN7rocprim17ROCPRIM_400000_NS6detail17trampoline_kernelINS0_14default_configENS1_25partition_config_selectorILNS1_17partition_subalgoE5ElNS0_10empty_typeEbEEZZNS1_14partition_implILS5_5ELb0ES3_mN6hipcub16HIPCUB_304000_NS21CountingInputIteratorIllEEPS6_NSA_22TransformInputIteratorIb7NonZeroIfEPflEENS0_5tupleIJPlS6_EEENSJ_IJSD_SD_EEES6_SK_JS6_EEE10hipError_tPvRmT3_T4_T5_T6_T7_T9_mT8_P12ihipStream_tbDpT10_ENKUlT_T0_E_clISt17integral_constantIbLb0EES16_EEDaS11_S12_EUlS11_E_NS1_11comp_targetILNS1_3genE4ELNS1_11target_archE910ELNS1_3gpuE8ELNS1_3repE0EEENS1_30default_config_static_selectorELNS0_4arch9wavefront6targetE1EEEvT1_.num_named_barrier, 0
	.set _ZN7rocprim17ROCPRIM_400000_NS6detail17trampoline_kernelINS0_14default_configENS1_25partition_config_selectorILNS1_17partition_subalgoE5ElNS0_10empty_typeEbEEZZNS1_14partition_implILS5_5ELb0ES3_mN6hipcub16HIPCUB_304000_NS21CountingInputIteratorIllEEPS6_NSA_22TransformInputIteratorIb7NonZeroIfEPflEENS0_5tupleIJPlS6_EEENSJ_IJSD_SD_EEES6_SK_JS6_EEE10hipError_tPvRmT3_T4_T5_T6_T7_T9_mT8_P12ihipStream_tbDpT10_ENKUlT_T0_E_clISt17integral_constantIbLb0EES16_EEDaS11_S12_EUlS11_E_NS1_11comp_targetILNS1_3genE4ELNS1_11target_archE910ELNS1_3gpuE8ELNS1_3repE0EEENS1_30default_config_static_selectorELNS0_4arch9wavefront6targetE1EEEvT1_.private_seg_size, 0
	.set _ZN7rocprim17ROCPRIM_400000_NS6detail17trampoline_kernelINS0_14default_configENS1_25partition_config_selectorILNS1_17partition_subalgoE5ElNS0_10empty_typeEbEEZZNS1_14partition_implILS5_5ELb0ES3_mN6hipcub16HIPCUB_304000_NS21CountingInputIteratorIllEEPS6_NSA_22TransformInputIteratorIb7NonZeroIfEPflEENS0_5tupleIJPlS6_EEENSJ_IJSD_SD_EEES6_SK_JS6_EEE10hipError_tPvRmT3_T4_T5_T6_T7_T9_mT8_P12ihipStream_tbDpT10_ENKUlT_T0_E_clISt17integral_constantIbLb0EES16_EEDaS11_S12_EUlS11_E_NS1_11comp_targetILNS1_3genE4ELNS1_11target_archE910ELNS1_3gpuE8ELNS1_3repE0EEENS1_30default_config_static_selectorELNS0_4arch9wavefront6targetE1EEEvT1_.uses_vcc, 0
	.set _ZN7rocprim17ROCPRIM_400000_NS6detail17trampoline_kernelINS0_14default_configENS1_25partition_config_selectorILNS1_17partition_subalgoE5ElNS0_10empty_typeEbEEZZNS1_14partition_implILS5_5ELb0ES3_mN6hipcub16HIPCUB_304000_NS21CountingInputIteratorIllEEPS6_NSA_22TransformInputIteratorIb7NonZeroIfEPflEENS0_5tupleIJPlS6_EEENSJ_IJSD_SD_EEES6_SK_JS6_EEE10hipError_tPvRmT3_T4_T5_T6_T7_T9_mT8_P12ihipStream_tbDpT10_ENKUlT_T0_E_clISt17integral_constantIbLb0EES16_EEDaS11_S12_EUlS11_E_NS1_11comp_targetILNS1_3genE4ELNS1_11target_archE910ELNS1_3gpuE8ELNS1_3repE0EEENS1_30default_config_static_selectorELNS0_4arch9wavefront6targetE1EEEvT1_.uses_flat_scratch, 0
	.set _ZN7rocprim17ROCPRIM_400000_NS6detail17trampoline_kernelINS0_14default_configENS1_25partition_config_selectorILNS1_17partition_subalgoE5ElNS0_10empty_typeEbEEZZNS1_14partition_implILS5_5ELb0ES3_mN6hipcub16HIPCUB_304000_NS21CountingInputIteratorIllEEPS6_NSA_22TransformInputIteratorIb7NonZeroIfEPflEENS0_5tupleIJPlS6_EEENSJ_IJSD_SD_EEES6_SK_JS6_EEE10hipError_tPvRmT3_T4_T5_T6_T7_T9_mT8_P12ihipStream_tbDpT10_ENKUlT_T0_E_clISt17integral_constantIbLb0EES16_EEDaS11_S12_EUlS11_E_NS1_11comp_targetILNS1_3genE4ELNS1_11target_archE910ELNS1_3gpuE8ELNS1_3repE0EEENS1_30default_config_static_selectorELNS0_4arch9wavefront6targetE1EEEvT1_.has_dyn_sized_stack, 0
	.set _ZN7rocprim17ROCPRIM_400000_NS6detail17trampoline_kernelINS0_14default_configENS1_25partition_config_selectorILNS1_17partition_subalgoE5ElNS0_10empty_typeEbEEZZNS1_14partition_implILS5_5ELb0ES3_mN6hipcub16HIPCUB_304000_NS21CountingInputIteratorIllEEPS6_NSA_22TransformInputIteratorIb7NonZeroIfEPflEENS0_5tupleIJPlS6_EEENSJ_IJSD_SD_EEES6_SK_JS6_EEE10hipError_tPvRmT3_T4_T5_T6_T7_T9_mT8_P12ihipStream_tbDpT10_ENKUlT_T0_E_clISt17integral_constantIbLb0EES16_EEDaS11_S12_EUlS11_E_NS1_11comp_targetILNS1_3genE4ELNS1_11target_archE910ELNS1_3gpuE8ELNS1_3repE0EEENS1_30default_config_static_selectorELNS0_4arch9wavefront6targetE1EEEvT1_.has_recursion, 0
	.set _ZN7rocprim17ROCPRIM_400000_NS6detail17trampoline_kernelINS0_14default_configENS1_25partition_config_selectorILNS1_17partition_subalgoE5ElNS0_10empty_typeEbEEZZNS1_14partition_implILS5_5ELb0ES3_mN6hipcub16HIPCUB_304000_NS21CountingInputIteratorIllEEPS6_NSA_22TransformInputIteratorIb7NonZeroIfEPflEENS0_5tupleIJPlS6_EEENSJ_IJSD_SD_EEES6_SK_JS6_EEE10hipError_tPvRmT3_T4_T5_T6_T7_T9_mT8_P12ihipStream_tbDpT10_ENKUlT_T0_E_clISt17integral_constantIbLb0EES16_EEDaS11_S12_EUlS11_E_NS1_11comp_targetILNS1_3genE4ELNS1_11target_archE910ELNS1_3gpuE8ELNS1_3repE0EEENS1_30default_config_static_selectorELNS0_4arch9wavefront6targetE1EEEvT1_.has_indirect_call, 0
	.section	.AMDGPU.csdata,"",@progbits
; Kernel info:
; codeLenInByte = 0
; TotalNumSgprs: 6
; NumVgprs: 0
; NumAgprs: 0
; TotalNumVgprs: 0
; ScratchSize: 0
; MemoryBound: 0
; FloatMode: 240
; IeeeMode: 1
; LDSByteSize: 0 bytes/workgroup (compile time only)
; SGPRBlocks: 0
; VGPRBlocks: 0
; NumSGPRsForWavesPerEU: 6
; NumVGPRsForWavesPerEU: 1
; AccumOffset: 4
; Occupancy: 8
; WaveLimiterHint : 0
; COMPUTE_PGM_RSRC2:SCRATCH_EN: 0
; COMPUTE_PGM_RSRC2:USER_SGPR: 2
; COMPUTE_PGM_RSRC2:TRAP_HANDLER: 0
; COMPUTE_PGM_RSRC2:TGID_X_EN: 1
; COMPUTE_PGM_RSRC2:TGID_Y_EN: 0
; COMPUTE_PGM_RSRC2:TGID_Z_EN: 0
; COMPUTE_PGM_RSRC2:TIDIG_COMP_CNT: 0
; COMPUTE_PGM_RSRC3_GFX90A:ACCUM_OFFSET: 0
; COMPUTE_PGM_RSRC3_GFX90A:TG_SPLIT: 0
	.section	.text._ZN7rocprim17ROCPRIM_400000_NS6detail17trampoline_kernelINS0_14default_configENS1_25partition_config_selectorILNS1_17partition_subalgoE5ElNS0_10empty_typeEbEEZZNS1_14partition_implILS5_5ELb0ES3_mN6hipcub16HIPCUB_304000_NS21CountingInputIteratorIllEEPS6_NSA_22TransformInputIteratorIb7NonZeroIfEPflEENS0_5tupleIJPlS6_EEENSJ_IJSD_SD_EEES6_SK_JS6_EEE10hipError_tPvRmT3_T4_T5_T6_T7_T9_mT8_P12ihipStream_tbDpT10_ENKUlT_T0_E_clISt17integral_constantIbLb0EES16_EEDaS11_S12_EUlS11_E_NS1_11comp_targetILNS1_3genE3ELNS1_11target_archE908ELNS1_3gpuE7ELNS1_3repE0EEENS1_30default_config_static_selectorELNS0_4arch9wavefront6targetE1EEEvT1_,"axG",@progbits,_ZN7rocprim17ROCPRIM_400000_NS6detail17trampoline_kernelINS0_14default_configENS1_25partition_config_selectorILNS1_17partition_subalgoE5ElNS0_10empty_typeEbEEZZNS1_14partition_implILS5_5ELb0ES3_mN6hipcub16HIPCUB_304000_NS21CountingInputIteratorIllEEPS6_NSA_22TransformInputIteratorIb7NonZeroIfEPflEENS0_5tupleIJPlS6_EEENSJ_IJSD_SD_EEES6_SK_JS6_EEE10hipError_tPvRmT3_T4_T5_T6_T7_T9_mT8_P12ihipStream_tbDpT10_ENKUlT_T0_E_clISt17integral_constantIbLb0EES16_EEDaS11_S12_EUlS11_E_NS1_11comp_targetILNS1_3genE3ELNS1_11target_archE908ELNS1_3gpuE7ELNS1_3repE0EEENS1_30default_config_static_selectorELNS0_4arch9wavefront6targetE1EEEvT1_,comdat
	.protected	_ZN7rocprim17ROCPRIM_400000_NS6detail17trampoline_kernelINS0_14default_configENS1_25partition_config_selectorILNS1_17partition_subalgoE5ElNS0_10empty_typeEbEEZZNS1_14partition_implILS5_5ELb0ES3_mN6hipcub16HIPCUB_304000_NS21CountingInputIteratorIllEEPS6_NSA_22TransformInputIteratorIb7NonZeroIfEPflEENS0_5tupleIJPlS6_EEENSJ_IJSD_SD_EEES6_SK_JS6_EEE10hipError_tPvRmT3_T4_T5_T6_T7_T9_mT8_P12ihipStream_tbDpT10_ENKUlT_T0_E_clISt17integral_constantIbLb0EES16_EEDaS11_S12_EUlS11_E_NS1_11comp_targetILNS1_3genE3ELNS1_11target_archE908ELNS1_3gpuE7ELNS1_3repE0EEENS1_30default_config_static_selectorELNS0_4arch9wavefront6targetE1EEEvT1_ ; -- Begin function _ZN7rocprim17ROCPRIM_400000_NS6detail17trampoline_kernelINS0_14default_configENS1_25partition_config_selectorILNS1_17partition_subalgoE5ElNS0_10empty_typeEbEEZZNS1_14partition_implILS5_5ELb0ES3_mN6hipcub16HIPCUB_304000_NS21CountingInputIteratorIllEEPS6_NSA_22TransformInputIteratorIb7NonZeroIfEPflEENS0_5tupleIJPlS6_EEENSJ_IJSD_SD_EEES6_SK_JS6_EEE10hipError_tPvRmT3_T4_T5_T6_T7_T9_mT8_P12ihipStream_tbDpT10_ENKUlT_T0_E_clISt17integral_constantIbLb0EES16_EEDaS11_S12_EUlS11_E_NS1_11comp_targetILNS1_3genE3ELNS1_11target_archE908ELNS1_3gpuE7ELNS1_3repE0EEENS1_30default_config_static_selectorELNS0_4arch9wavefront6targetE1EEEvT1_
	.globl	_ZN7rocprim17ROCPRIM_400000_NS6detail17trampoline_kernelINS0_14default_configENS1_25partition_config_selectorILNS1_17partition_subalgoE5ElNS0_10empty_typeEbEEZZNS1_14partition_implILS5_5ELb0ES3_mN6hipcub16HIPCUB_304000_NS21CountingInputIteratorIllEEPS6_NSA_22TransformInputIteratorIb7NonZeroIfEPflEENS0_5tupleIJPlS6_EEENSJ_IJSD_SD_EEES6_SK_JS6_EEE10hipError_tPvRmT3_T4_T5_T6_T7_T9_mT8_P12ihipStream_tbDpT10_ENKUlT_T0_E_clISt17integral_constantIbLb0EES16_EEDaS11_S12_EUlS11_E_NS1_11comp_targetILNS1_3genE3ELNS1_11target_archE908ELNS1_3gpuE7ELNS1_3repE0EEENS1_30default_config_static_selectorELNS0_4arch9wavefront6targetE1EEEvT1_
	.p2align	8
	.type	_ZN7rocprim17ROCPRIM_400000_NS6detail17trampoline_kernelINS0_14default_configENS1_25partition_config_selectorILNS1_17partition_subalgoE5ElNS0_10empty_typeEbEEZZNS1_14partition_implILS5_5ELb0ES3_mN6hipcub16HIPCUB_304000_NS21CountingInputIteratorIllEEPS6_NSA_22TransformInputIteratorIb7NonZeroIfEPflEENS0_5tupleIJPlS6_EEENSJ_IJSD_SD_EEES6_SK_JS6_EEE10hipError_tPvRmT3_T4_T5_T6_T7_T9_mT8_P12ihipStream_tbDpT10_ENKUlT_T0_E_clISt17integral_constantIbLb0EES16_EEDaS11_S12_EUlS11_E_NS1_11comp_targetILNS1_3genE3ELNS1_11target_archE908ELNS1_3gpuE7ELNS1_3repE0EEENS1_30default_config_static_selectorELNS0_4arch9wavefront6targetE1EEEvT1_,@function
_ZN7rocprim17ROCPRIM_400000_NS6detail17trampoline_kernelINS0_14default_configENS1_25partition_config_selectorILNS1_17partition_subalgoE5ElNS0_10empty_typeEbEEZZNS1_14partition_implILS5_5ELb0ES3_mN6hipcub16HIPCUB_304000_NS21CountingInputIteratorIllEEPS6_NSA_22TransformInputIteratorIb7NonZeroIfEPflEENS0_5tupleIJPlS6_EEENSJ_IJSD_SD_EEES6_SK_JS6_EEE10hipError_tPvRmT3_T4_T5_T6_T7_T9_mT8_P12ihipStream_tbDpT10_ENKUlT_T0_E_clISt17integral_constantIbLb0EES16_EEDaS11_S12_EUlS11_E_NS1_11comp_targetILNS1_3genE3ELNS1_11target_archE908ELNS1_3gpuE7ELNS1_3repE0EEENS1_30default_config_static_selectorELNS0_4arch9wavefront6targetE1EEEvT1_: ; @_ZN7rocprim17ROCPRIM_400000_NS6detail17trampoline_kernelINS0_14default_configENS1_25partition_config_selectorILNS1_17partition_subalgoE5ElNS0_10empty_typeEbEEZZNS1_14partition_implILS5_5ELb0ES3_mN6hipcub16HIPCUB_304000_NS21CountingInputIteratorIllEEPS6_NSA_22TransformInputIteratorIb7NonZeroIfEPflEENS0_5tupleIJPlS6_EEENSJ_IJSD_SD_EEES6_SK_JS6_EEE10hipError_tPvRmT3_T4_T5_T6_T7_T9_mT8_P12ihipStream_tbDpT10_ENKUlT_T0_E_clISt17integral_constantIbLb0EES16_EEDaS11_S12_EUlS11_E_NS1_11comp_targetILNS1_3genE3ELNS1_11target_archE908ELNS1_3gpuE7ELNS1_3repE0EEENS1_30default_config_static_selectorELNS0_4arch9wavefront6targetE1EEEvT1_
; %bb.0:
	.section	.rodata,"a",@progbits
	.p2align	6, 0x0
	.amdhsa_kernel _ZN7rocprim17ROCPRIM_400000_NS6detail17trampoline_kernelINS0_14default_configENS1_25partition_config_selectorILNS1_17partition_subalgoE5ElNS0_10empty_typeEbEEZZNS1_14partition_implILS5_5ELb0ES3_mN6hipcub16HIPCUB_304000_NS21CountingInputIteratorIllEEPS6_NSA_22TransformInputIteratorIb7NonZeroIfEPflEENS0_5tupleIJPlS6_EEENSJ_IJSD_SD_EEES6_SK_JS6_EEE10hipError_tPvRmT3_T4_T5_T6_T7_T9_mT8_P12ihipStream_tbDpT10_ENKUlT_T0_E_clISt17integral_constantIbLb0EES16_EEDaS11_S12_EUlS11_E_NS1_11comp_targetILNS1_3genE3ELNS1_11target_archE908ELNS1_3gpuE7ELNS1_3repE0EEENS1_30default_config_static_selectorELNS0_4arch9wavefront6targetE1EEEvT1_
		.amdhsa_group_segment_fixed_size 0
		.amdhsa_private_segment_fixed_size 0
		.amdhsa_kernarg_size 120
		.amdhsa_user_sgpr_count 2
		.amdhsa_user_sgpr_dispatch_ptr 0
		.amdhsa_user_sgpr_queue_ptr 0
		.amdhsa_user_sgpr_kernarg_segment_ptr 1
		.amdhsa_user_sgpr_dispatch_id 0
		.amdhsa_user_sgpr_kernarg_preload_length 0
		.amdhsa_user_sgpr_kernarg_preload_offset 0
		.amdhsa_user_sgpr_private_segment_size 0
		.amdhsa_uses_dynamic_stack 0
		.amdhsa_enable_private_segment 0
		.amdhsa_system_sgpr_workgroup_id_x 1
		.amdhsa_system_sgpr_workgroup_id_y 0
		.amdhsa_system_sgpr_workgroup_id_z 0
		.amdhsa_system_sgpr_workgroup_info 0
		.amdhsa_system_vgpr_workitem_id 0
		.amdhsa_next_free_vgpr 1
		.amdhsa_next_free_sgpr 0
		.amdhsa_accum_offset 4
		.amdhsa_reserve_vcc 0
		.amdhsa_float_round_mode_32 0
		.amdhsa_float_round_mode_16_64 0
		.amdhsa_float_denorm_mode_32 3
		.amdhsa_float_denorm_mode_16_64 3
		.amdhsa_dx10_clamp 1
		.amdhsa_ieee_mode 1
		.amdhsa_fp16_overflow 0
		.amdhsa_tg_split 0
		.amdhsa_exception_fp_ieee_invalid_op 0
		.amdhsa_exception_fp_denorm_src 0
		.amdhsa_exception_fp_ieee_div_zero 0
		.amdhsa_exception_fp_ieee_overflow 0
		.amdhsa_exception_fp_ieee_underflow 0
		.amdhsa_exception_fp_ieee_inexact 0
		.amdhsa_exception_int_div_zero 0
	.end_amdhsa_kernel
	.section	.text._ZN7rocprim17ROCPRIM_400000_NS6detail17trampoline_kernelINS0_14default_configENS1_25partition_config_selectorILNS1_17partition_subalgoE5ElNS0_10empty_typeEbEEZZNS1_14partition_implILS5_5ELb0ES3_mN6hipcub16HIPCUB_304000_NS21CountingInputIteratorIllEEPS6_NSA_22TransformInputIteratorIb7NonZeroIfEPflEENS0_5tupleIJPlS6_EEENSJ_IJSD_SD_EEES6_SK_JS6_EEE10hipError_tPvRmT3_T4_T5_T6_T7_T9_mT8_P12ihipStream_tbDpT10_ENKUlT_T0_E_clISt17integral_constantIbLb0EES16_EEDaS11_S12_EUlS11_E_NS1_11comp_targetILNS1_3genE3ELNS1_11target_archE908ELNS1_3gpuE7ELNS1_3repE0EEENS1_30default_config_static_selectorELNS0_4arch9wavefront6targetE1EEEvT1_,"axG",@progbits,_ZN7rocprim17ROCPRIM_400000_NS6detail17trampoline_kernelINS0_14default_configENS1_25partition_config_selectorILNS1_17partition_subalgoE5ElNS0_10empty_typeEbEEZZNS1_14partition_implILS5_5ELb0ES3_mN6hipcub16HIPCUB_304000_NS21CountingInputIteratorIllEEPS6_NSA_22TransformInputIteratorIb7NonZeroIfEPflEENS0_5tupleIJPlS6_EEENSJ_IJSD_SD_EEES6_SK_JS6_EEE10hipError_tPvRmT3_T4_T5_T6_T7_T9_mT8_P12ihipStream_tbDpT10_ENKUlT_T0_E_clISt17integral_constantIbLb0EES16_EEDaS11_S12_EUlS11_E_NS1_11comp_targetILNS1_3genE3ELNS1_11target_archE908ELNS1_3gpuE7ELNS1_3repE0EEENS1_30default_config_static_selectorELNS0_4arch9wavefront6targetE1EEEvT1_,comdat
.Lfunc_end256:
	.size	_ZN7rocprim17ROCPRIM_400000_NS6detail17trampoline_kernelINS0_14default_configENS1_25partition_config_selectorILNS1_17partition_subalgoE5ElNS0_10empty_typeEbEEZZNS1_14partition_implILS5_5ELb0ES3_mN6hipcub16HIPCUB_304000_NS21CountingInputIteratorIllEEPS6_NSA_22TransformInputIteratorIb7NonZeroIfEPflEENS0_5tupleIJPlS6_EEENSJ_IJSD_SD_EEES6_SK_JS6_EEE10hipError_tPvRmT3_T4_T5_T6_T7_T9_mT8_P12ihipStream_tbDpT10_ENKUlT_T0_E_clISt17integral_constantIbLb0EES16_EEDaS11_S12_EUlS11_E_NS1_11comp_targetILNS1_3genE3ELNS1_11target_archE908ELNS1_3gpuE7ELNS1_3repE0EEENS1_30default_config_static_selectorELNS0_4arch9wavefront6targetE1EEEvT1_, .Lfunc_end256-_ZN7rocprim17ROCPRIM_400000_NS6detail17trampoline_kernelINS0_14default_configENS1_25partition_config_selectorILNS1_17partition_subalgoE5ElNS0_10empty_typeEbEEZZNS1_14partition_implILS5_5ELb0ES3_mN6hipcub16HIPCUB_304000_NS21CountingInputIteratorIllEEPS6_NSA_22TransformInputIteratorIb7NonZeroIfEPflEENS0_5tupleIJPlS6_EEENSJ_IJSD_SD_EEES6_SK_JS6_EEE10hipError_tPvRmT3_T4_T5_T6_T7_T9_mT8_P12ihipStream_tbDpT10_ENKUlT_T0_E_clISt17integral_constantIbLb0EES16_EEDaS11_S12_EUlS11_E_NS1_11comp_targetILNS1_3genE3ELNS1_11target_archE908ELNS1_3gpuE7ELNS1_3repE0EEENS1_30default_config_static_selectorELNS0_4arch9wavefront6targetE1EEEvT1_
                                        ; -- End function
	.set _ZN7rocprim17ROCPRIM_400000_NS6detail17trampoline_kernelINS0_14default_configENS1_25partition_config_selectorILNS1_17partition_subalgoE5ElNS0_10empty_typeEbEEZZNS1_14partition_implILS5_5ELb0ES3_mN6hipcub16HIPCUB_304000_NS21CountingInputIteratorIllEEPS6_NSA_22TransformInputIteratorIb7NonZeroIfEPflEENS0_5tupleIJPlS6_EEENSJ_IJSD_SD_EEES6_SK_JS6_EEE10hipError_tPvRmT3_T4_T5_T6_T7_T9_mT8_P12ihipStream_tbDpT10_ENKUlT_T0_E_clISt17integral_constantIbLb0EES16_EEDaS11_S12_EUlS11_E_NS1_11comp_targetILNS1_3genE3ELNS1_11target_archE908ELNS1_3gpuE7ELNS1_3repE0EEENS1_30default_config_static_selectorELNS0_4arch9wavefront6targetE1EEEvT1_.num_vgpr, 0
	.set _ZN7rocprim17ROCPRIM_400000_NS6detail17trampoline_kernelINS0_14default_configENS1_25partition_config_selectorILNS1_17partition_subalgoE5ElNS0_10empty_typeEbEEZZNS1_14partition_implILS5_5ELb0ES3_mN6hipcub16HIPCUB_304000_NS21CountingInputIteratorIllEEPS6_NSA_22TransformInputIteratorIb7NonZeroIfEPflEENS0_5tupleIJPlS6_EEENSJ_IJSD_SD_EEES6_SK_JS6_EEE10hipError_tPvRmT3_T4_T5_T6_T7_T9_mT8_P12ihipStream_tbDpT10_ENKUlT_T0_E_clISt17integral_constantIbLb0EES16_EEDaS11_S12_EUlS11_E_NS1_11comp_targetILNS1_3genE3ELNS1_11target_archE908ELNS1_3gpuE7ELNS1_3repE0EEENS1_30default_config_static_selectorELNS0_4arch9wavefront6targetE1EEEvT1_.num_agpr, 0
	.set _ZN7rocprim17ROCPRIM_400000_NS6detail17trampoline_kernelINS0_14default_configENS1_25partition_config_selectorILNS1_17partition_subalgoE5ElNS0_10empty_typeEbEEZZNS1_14partition_implILS5_5ELb0ES3_mN6hipcub16HIPCUB_304000_NS21CountingInputIteratorIllEEPS6_NSA_22TransformInputIteratorIb7NonZeroIfEPflEENS0_5tupleIJPlS6_EEENSJ_IJSD_SD_EEES6_SK_JS6_EEE10hipError_tPvRmT3_T4_T5_T6_T7_T9_mT8_P12ihipStream_tbDpT10_ENKUlT_T0_E_clISt17integral_constantIbLb0EES16_EEDaS11_S12_EUlS11_E_NS1_11comp_targetILNS1_3genE3ELNS1_11target_archE908ELNS1_3gpuE7ELNS1_3repE0EEENS1_30default_config_static_selectorELNS0_4arch9wavefront6targetE1EEEvT1_.numbered_sgpr, 0
	.set _ZN7rocprim17ROCPRIM_400000_NS6detail17trampoline_kernelINS0_14default_configENS1_25partition_config_selectorILNS1_17partition_subalgoE5ElNS0_10empty_typeEbEEZZNS1_14partition_implILS5_5ELb0ES3_mN6hipcub16HIPCUB_304000_NS21CountingInputIteratorIllEEPS6_NSA_22TransformInputIteratorIb7NonZeroIfEPflEENS0_5tupleIJPlS6_EEENSJ_IJSD_SD_EEES6_SK_JS6_EEE10hipError_tPvRmT3_T4_T5_T6_T7_T9_mT8_P12ihipStream_tbDpT10_ENKUlT_T0_E_clISt17integral_constantIbLb0EES16_EEDaS11_S12_EUlS11_E_NS1_11comp_targetILNS1_3genE3ELNS1_11target_archE908ELNS1_3gpuE7ELNS1_3repE0EEENS1_30default_config_static_selectorELNS0_4arch9wavefront6targetE1EEEvT1_.num_named_barrier, 0
	.set _ZN7rocprim17ROCPRIM_400000_NS6detail17trampoline_kernelINS0_14default_configENS1_25partition_config_selectorILNS1_17partition_subalgoE5ElNS0_10empty_typeEbEEZZNS1_14partition_implILS5_5ELb0ES3_mN6hipcub16HIPCUB_304000_NS21CountingInputIteratorIllEEPS6_NSA_22TransformInputIteratorIb7NonZeroIfEPflEENS0_5tupleIJPlS6_EEENSJ_IJSD_SD_EEES6_SK_JS6_EEE10hipError_tPvRmT3_T4_T5_T6_T7_T9_mT8_P12ihipStream_tbDpT10_ENKUlT_T0_E_clISt17integral_constantIbLb0EES16_EEDaS11_S12_EUlS11_E_NS1_11comp_targetILNS1_3genE3ELNS1_11target_archE908ELNS1_3gpuE7ELNS1_3repE0EEENS1_30default_config_static_selectorELNS0_4arch9wavefront6targetE1EEEvT1_.private_seg_size, 0
	.set _ZN7rocprim17ROCPRIM_400000_NS6detail17trampoline_kernelINS0_14default_configENS1_25partition_config_selectorILNS1_17partition_subalgoE5ElNS0_10empty_typeEbEEZZNS1_14partition_implILS5_5ELb0ES3_mN6hipcub16HIPCUB_304000_NS21CountingInputIteratorIllEEPS6_NSA_22TransformInputIteratorIb7NonZeroIfEPflEENS0_5tupleIJPlS6_EEENSJ_IJSD_SD_EEES6_SK_JS6_EEE10hipError_tPvRmT3_T4_T5_T6_T7_T9_mT8_P12ihipStream_tbDpT10_ENKUlT_T0_E_clISt17integral_constantIbLb0EES16_EEDaS11_S12_EUlS11_E_NS1_11comp_targetILNS1_3genE3ELNS1_11target_archE908ELNS1_3gpuE7ELNS1_3repE0EEENS1_30default_config_static_selectorELNS0_4arch9wavefront6targetE1EEEvT1_.uses_vcc, 0
	.set _ZN7rocprim17ROCPRIM_400000_NS6detail17trampoline_kernelINS0_14default_configENS1_25partition_config_selectorILNS1_17partition_subalgoE5ElNS0_10empty_typeEbEEZZNS1_14partition_implILS5_5ELb0ES3_mN6hipcub16HIPCUB_304000_NS21CountingInputIteratorIllEEPS6_NSA_22TransformInputIteratorIb7NonZeroIfEPflEENS0_5tupleIJPlS6_EEENSJ_IJSD_SD_EEES6_SK_JS6_EEE10hipError_tPvRmT3_T4_T5_T6_T7_T9_mT8_P12ihipStream_tbDpT10_ENKUlT_T0_E_clISt17integral_constantIbLb0EES16_EEDaS11_S12_EUlS11_E_NS1_11comp_targetILNS1_3genE3ELNS1_11target_archE908ELNS1_3gpuE7ELNS1_3repE0EEENS1_30default_config_static_selectorELNS0_4arch9wavefront6targetE1EEEvT1_.uses_flat_scratch, 0
	.set _ZN7rocprim17ROCPRIM_400000_NS6detail17trampoline_kernelINS0_14default_configENS1_25partition_config_selectorILNS1_17partition_subalgoE5ElNS0_10empty_typeEbEEZZNS1_14partition_implILS5_5ELb0ES3_mN6hipcub16HIPCUB_304000_NS21CountingInputIteratorIllEEPS6_NSA_22TransformInputIteratorIb7NonZeroIfEPflEENS0_5tupleIJPlS6_EEENSJ_IJSD_SD_EEES6_SK_JS6_EEE10hipError_tPvRmT3_T4_T5_T6_T7_T9_mT8_P12ihipStream_tbDpT10_ENKUlT_T0_E_clISt17integral_constantIbLb0EES16_EEDaS11_S12_EUlS11_E_NS1_11comp_targetILNS1_3genE3ELNS1_11target_archE908ELNS1_3gpuE7ELNS1_3repE0EEENS1_30default_config_static_selectorELNS0_4arch9wavefront6targetE1EEEvT1_.has_dyn_sized_stack, 0
	.set _ZN7rocprim17ROCPRIM_400000_NS6detail17trampoline_kernelINS0_14default_configENS1_25partition_config_selectorILNS1_17partition_subalgoE5ElNS0_10empty_typeEbEEZZNS1_14partition_implILS5_5ELb0ES3_mN6hipcub16HIPCUB_304000_NS21CountingInputIteratorIllEEPS6_NSA_22TransformInputIteratorIb7NonZeroIfEPflEENS0_5tupleIJPlS6_EEENSJ_IJSD_SD_EEES6_SK_JS6_EEE10hipError_tPvRmT3_T4_T5_T6_T7_T9_mT8_P12ihipStream_tbDpT10_ENKUlT_T0_E_clISt17integral_constantIbLb0EES16_EEDaS11_S12_EUlS11_E_NS1_11comp_targetILNS1_3genE3ELNS1_11target_archE908ELNS1_3gpuE7ELNS1_3repE0EEENS1_30default_config_static_selectorELNS0_4arch9wavefront6targetE1EEEvT1_.has_recursion, 0
	.set _ZN7rocprim17ROCPRIM_400000_NS6detail17trampoline_kernelINS0_14default_configENS1_25partition_config_selectorILNS1_17partition_subalgoE5ElNS0_10empty_typeEbEEZZNS1_14partition_implILS5_5ELb0ES3_mN6hipcub16HIPCUB_304000_NS21CountingInputIteratorIllEEPS6_NSA_22TransformInputIteratorIb7NonZeroIfEPflEENS0_5tupleIJPlS6_EEENSJ_IJSD_SD_EEES6_SK_JS6_EEE10hipError_tPvRmT3_T4_T5_T6_T7_T9_mT8_P12ihipStream_tbDpT10_ENKUlT_T0_E_clISt17integral_constantIbLb0EES16_EEDaS11_S12_EUlS11_E_NS1_11comp_targetILNS1_3genE3ELNS1_11target_archE908ELNS1_3gpuE7ELNS1_3repE0EEENS1_30default_config_static_selectorELNS0_4arch9wavefront6targetE1EEEvT1_.has_indirect_call, 0
	.section	.AMDGPU.csdata,"",@progbits
; Kernel info:
; codeLenInByte = 0
; TotalNumSgprs: 6
; NumVgprs: 0
; NumAgprs: 0
; TotalNumVgprs: 0
; ScratchSize: 0
; MemoryBound: 0
; FloatMode: 240
; IeeeMode: 1
; LDSByteSize: 0 bytes/workgroup (compile time only)
; SGPRBlocks: 0
; VGPRBlocks: 0
; NumSGPRsForWavesPerEU: 6
; NumVGPRsForWavesPerEU: 1
; AccumOffset: 4
; Occupancy: 8
; WaveLimiterHint : 0
; COMPUTE_PGM_RSRC2:SCRATCH_EN: 0
; COMPUTE_PGM_RSRC2:USER_SGPR: 2
; COMPUTE_PGM_RSRC2:TRAP_HANDLER: 0
; COMPUTE_PGM_RSRC2:TGID_X_EN: 1
; COMPUTE_PGM_RSRC2:TGID_Y_EN: 0
; COMPUTE_PGM_RSRC2:TGID_Z_EN: 0
; COMPUTE_PGM_RSRC2:TIDIG_COMP_CNT: 0
; COMPUTE_PGM_RSRC3_GFX90A:ACCUM_OFFSET: 0
; COMPUTE_PGM_RSRC3_GFX90A:TG_SPLIT: 0
	.section	.text._ZN7rocprim17ROCPRIM_400000_NS6detail17trampoline_kernelINS0_14default_configENS1_25partition_config_selectorILNS1_17partition_subalgoE5ElNS0_10empty_typeEbEEZZNS1_14partition_implILS5_5ELb0ES3_mN6hipcub16HIPCUB_304000_NS21CountingInputIteratorIllEEPS6_NSA_22TransformInputIteratorIb7NonZeroIfEPflEENS0_5tupleIJPlS6_EEENSJ_IJSD_SD_EEES6_SK_JS6_EEE10hipError_tPvRmT3_T4_T5_T6_T7_T9_mT8_P12ihipStream_tbDpT10_ENKUlT_T0_E_clISt17integral_constantIbLb0EES16_EEDaS11_S12_EUlS11_E_NS1_11comp_targetILNS1_3genE2ELNS1_11target_archE906ELNS1_3gpuE6ELNS1_3repE0EEENS1_30default_config_static_selectorELNS0_4arch9wavefront6targetE1EEEvT1_,"axG",@progbits,_ZN7rocprim17ROCPRIM_400000_NS6detail17trampoline_kernelINS0_14default_configENS1_25partition_config_selectorILNS1_17partition_subalgoE5ElNS0_10empty_typeEbEEZZNS1_14partition_implILS5_5ELb0ES3_mN6hipcub16HIPCUB_304000_NS21CountingInputIteratorIllEEPS6_NSA_22TransformInputIteratorIb7NonZeroIfEPflEENS0_5tupleIJPlS6_EEENSJ_IJSD_SD_EEES6_SK_JS6_EEE10hipError_tPvRmT3_T4_T5_T6_T7_T9_mT8_P12ihipStream_tbDpT10_ENKUlT_T0_E_clISt17integral_constantIbLb0EES16_EEDaS11_S12_EUlS11_E_NS1_11comp_targetILNS1_3genE2ELNS1_11target_archE906ELNS1_3gpuE6ELNS1_3repE0EEENS1_30default_config_static_selectorELNS0_4arch9wavefront6targetE1EEEvT1_,comdat
	.protected	_ZN7rocprim17ROCPRIM_400000_NS6detail17trampoline_kernelINS0_14default_configENS1_25partition_config_selectorILNS1_17partition_subalgoE5ElNS0_10empty_typeEbEEZZNS1_14partition_implILS5_5ELb0ES3_mN6hipcub16HIPCUB_304000_NS21CountingInputIteratorIllEEPS6_NSA_22TransformInputIteratorIb7NonZeroIfEPflEENS0_5tupleIJPlS6_EEENSJ_IJSD_SD_EEES6_SK_JS6_EEE10hipError_tPvRmT3_T4_T5_T6_T7_T9_mT8_P12ihipStream_tbDpT10_ENKUlT_T0_E_clISt17integral_constantIbLb0EES16_EEDaS11_S12_EUlS11_E_NS1_11comp_targetILNS1_3genE2ELNS1_11target_archE906ELNS1_3gpuE6ELNS1_3repE0EEENS1_30default_config_static_selectorELNS0_4arch9wavefront6targetE1EEEvT1_ ; -- Begin function _ZN7rocprim17ROCPRIM_400000_NS6detail17trampoline_kernelINS0_14default_configENS1_25partition_config_selectorILNS1_17partition_subalgoE5ElNS0_10empty_typeEbEEZZNS1_14partition_implILS5_5ELb0ES3_mN6hipcub16HIPCUB_304000_NS21CountingInputIteratorIllEEPS6_NSA_22TransformInputIteratorIb7NonZeroIfEPflEENS0_5tupleIJPlS6_EEENSJ_IJSD_SD_EEES6_SK_JS6_EEE10hipError_tPvRmT3_T4_T5_T6_T7_T9_mT8_P12ihipStream_tbDpT10_ENKUlT_T0_E_clISt17integral_constantIbLb0EES16_EEDaS11_S12_EUlS11_E_NS1_11comp_targetILNS1_3genE2ELNS1_11target_archE906ELNS1_3gpuE6ELNS1_3repE0EEENS1_30default_config_static_selectorELNS0_4arch9wavefront6targetE1EEEvT1_
	.globl	_ZN7rocprim17ROCPRIM_400000_NS6detail17trampoline_kernelINS0_14default_configENS1_25partition_config_selectorILNS1_17partition_subalgoE5ElNS0_10empty_typeEbEEZZNS1_14partition_implILS5_5ELb0ES3_mN6hipcub16HIPCUB_304000_NS21CountingInputIteratorIllEEPS6_NSA_22TransformInputIteratorIb7NonZeroIfEPflEENS0_5tupleIJPlS6_EEENSJ_IJSD_SD_EEES6_SK_JS6_EEE10hipError_tPvRmT3_T4_T5_T6_T7_T9_mT8_P12ihipStream_tbDpT10_ENKUlT_T0_E_clISt17integral_constantIbLb0EES16_EEDaS11_S12_EUlS11_E_NS1_11comp_targetILNS1_3genE2ELNS1_11target_archE906ELNS1_3gpuE6ELNS1_3repE0EEENS1_30default_config_static_selectorELNS0_4arch9wavefront6targetE1EEEvT1_
	.p2align	8
	.type	_ZN7rocprim17ROCPRIM_400000_NS6detail17trampoline_kernelINS0_14default_configENS1_25partition_config_selectorILNS1_17partition_subalgoE5ElNS0_10empty_typeEbEEZZNS1_14partition_implILS5_5ELb0ES3_mN6hipcub16HIPCUB_304000_NS21CountingInputIteratorIllEEPS6_NSA_22TransformInputIteratorIb7NonZeroIfEPflEENS0_5tupleIJPlS6_EEENSJ_IJSD_SD_EEES6_SK_JS6_EEE10hipError_tPvRmT3_T4_T5_T6_T7_T9_mT8_P12ihipStream_tbDpT10_ENKUlT_T0_E_clISt17integral_constantIbLb0EES16_EEDaS11_S12_EUlS11_E_NS1_11comp_targetILNS1_3genE2ELNS1_11target_archE906ELNS1_3gpuE6ELNS1_3repE0EEENS1_30default_config_static_selectorELNS0_4arch9wavefront6targetE1EEEvT1_,@function
_ZN7rocprim17ROCPRIM_400000_NS6detail17trampoline_kernelINS0_14default_configENS1_25partition_config_selectorILNS1_17partition_subalgoE5ElNS0_10empty_typeEbEEZZNS1_14partition_implILS5_5ELb0ES3_mN6hipcub16HIPCUB_304000_NS21CountingInputIteratorIllEEPS6_NSA_22TransformInputIteratorIb7NonZeroIfEPflEENS0_5tupleIJPlS6_EEENSJ_IJSD_SD_EEES6_SK_JS6_EEE10hipError_tPvRmT3_T4_T5_T6_T7_T9_mT8_P12ihipStream_tbDpT10_ENKUlT_T0_E_clISt17integral_constantIbLb0EES16_EEDaS11_S12_EUlS11_E_NS1_11comp_targetILNS1_3genE2ELNS1_11target_archE906ELNS1_3gpuE6ELNS1_3repE0EEENS1_30default_config_static_selectorELNS0_4arch9wavefront6targetE1EEEvT1_: ; @_ZN7rocprim17ROCPRIM_400000_NS6detail17trampoline_kernelINS0_14default_configENS1_25partition_config_selectorILNS1_17partition_subalgoE5ElNS0_10empty_typeEbEEZZNS1_14partition_implILS5_5ELb0ES3_mN6hipcub16HIPCUB_304000_NS21CountingInputIteratorIllEEPS6_NSA_22TransformInputIteratorIb7NonZeroIfEPflEENS0_5tupleIJPlS6_EEENSJ_IJSD_SD_EEES6_SK_JS6_EEE10hipError_tPvRmT3_T4_T5_T6_T7_T9_mT8_P12ihipStream_tbDpT10_ENKUlT_T0_E_clISt17integral_constantIbLb0EES16_EEDaS11_S12_EUlS11_E_NS1_11comp_targetILNS1_3genE2ELNS1_11target_archE906ELNS1_3gpuE6ELNS1_3repE0EEENS1_30default_config_static_selectorELNS0_4arch9wavefront6targetE1EEEvT1_
; %bb.0:
	.section	.rodata,"a",@progbits
	.p2align	6, 0x0
	.amdhsa_kernel _ZN7rocprim17ROCPRIM_400000_NS6detail17trampoline_kernelINS0_14default_configENS1_25partition_config_selectorILNS1_17partition_subalgoE5ElNS0_10empty_typeEbEEZZNS1_14partition_implILS5_5ELb0ES3_mN6hipcub16HIPCUB_304000_NS21CountingInputIteratorIllEEPS6_NSA_22TransformInputIteratorIb7NonZeroIfEPflEENS0_5tupleIJPlS6_EEENSJ_IJSD_SD_EEES6_SK_JS6_EEE10hipError_tPvRmT3_T4_T5_T6_T7_T9_mT8_P12ihipStream_tbDpT10_ENKUlT_T0_E_clISt17integral_constantIbLb0EES16_EEDaS11_S12_EUlS11_E_NS1_11comp_targetILNS1_3genE2ELNS1_11target_archE906ELNS1_3gpuE6ELNS1_3repE0EEENS1_30default_config_static_selectorELNS0_4arch9wavefront6targetE1EEEvT1_
		.amdhsa_group_segment_fixed_size 0
		.amdhsa_private_segment_fixed_size 0
		.amdhsa_kernarg_size 120
		.amdhsa_user_sgpr_count 2
		.amdhsa_user_sgpr_dispatch_ptr 0
		.amdhsa_user_sgpr_queue_ptr 0
		.amdhsa_user_sgpr_kernarg_segment_ptr 1
		.amdhsa_user_sgpr_dispatch_id 0
		.amdhsa_user_sgpr_kernarg_preload_length 0
		.amdhsa_user_sgpr_kernarg_preload_offset 0
		.amdhsa_user_sgpr_private_segment_size 0
		.amdhsa_uses_dynamic_stack 0
		.amdhsa_enable_private_segment 0
		.amdhsa_system_sgpr_workgroup_id_x 1
		.amdhsa_system_sgpr_workgroup_id_y 0
		.amdhsa_system_sgpr_workgroup_id_z 0
		.amdhsa_system_sgpr_workgroup_info 0
		.amdhsa_system_vgpr_workitem_id 0
		.amdhsa_next_free_vgpr 1
		.amdhsa_next_free_sgpr 0
		.amdhsa_accum_offset 4
		.amdhsa_reserve_vcc 0
		.amdhsa_float_round_mode_32 0
		.amdhsa_float_round_mode_16_64 0
		.amdhsa_float_denorm_mode_32 3
		.amdhsa_float_denorm_mode_16_64 3
		.amdhsa_dx10_clamp 1
		.amdhsa_ieee_mode 1
		.amdhsa_fp16_overflow 0
		.amdhsa_tg_split 0
		.amdhsa_exception_fp_ieee_invalid_op 0
		.amdhsa_exception_fp_denorm_src 0
		.amdhsa_exception_fp_ieee_div_zero 0
		.amdhsa_exception_fp_ieee_overflow 0
		.amdhsa_exception_fp_ieee_underflow 0
		.amdhsa_exception_fp_ieee_inexact 0
		.amdhsa_exception_int_div_zero 0
	.end_amdhsa_kernel
	.section	.text._ZN7rocprim17ROCPRIM_400000_NS6detail17trampoline_kernelINS0_14default_configENS1_25partition_config_selectorILNS1_17partition_subalgoE5ElNS0_10empty_typeEbEEZZNS1_14partition_implILS5_5ELb0ES3_mN6hipcub16HIPCUB_304000_NS21CountingInputIteratorIllEEPS6_NSA_22TransformInputIteratorIb7NonZeroIfEPflEENS0_5tupleIJPlS6_EEENSJ_IJSD_SD_EEES6_SK_JS6_EEE10hipError_tPvRmT3_T4_T5_T6_T7_T9_mT8_P12ihipStream_tbDpT10_ENKUlT_T0_E_clISt17integral_constantIbLb0EES16_EEDaS11_S12_EUlS11_E_NS1_11comp_targetILNS1_3genE2ELNS1_11target_archE906ELNS1_3gpuE6ELNS1_3repE0EEENS1_30default_config_static_selectorELNS0_4arch9wavefront6targetE1EEEvT1_,"axG",@progbits,_ZN7rocprim17ROCPRIM_400000_NS6detail17trampoline_kernelINS0_14default_configENS1_25partition_config_selectorILNS1_17partition_subalgoE5ElNS0_10empty_typeEbEEZZNS1_14partition_implILS5_5ELb0ES3_mN6hipcub16HIPCUB_304000_NS21CountingInputIteratorIllEEPS6_NSA_22TransformInputIteratorIb7NonZeroIfEPflEENS0_5tupleIJPlS6_EEENSJ_IJSD_SD_EEES6_SK_JS6_EEE10hipError_tPvRmT3_T4_T5_T6_T7_T9_mT8_P12ihipStream_tbDpT10_ENKUlT_T0_E_clISt17integral_constantIbLb0EES16_EEDaS11_S12_EUlS11_E_NS1_11comp_targetILNS1_3genE2ELNS1_11target_archE906ELNS1_3gpuE6ELNS1_3repE0EEENS1_30default_config_static_selectorELNS0_4arch9wavefront6targetE1EEEvT1_,comdat
.Lfunc_end257:
	.size	_ZN7rocprim17ROCPRIM_400000_NS6detail17trampoline_kernelINS0_14default_configENS1_25partition_config_selectorILNS1_17partition_subalgoE5ElNS0_10empty_typeEbEEZZNS1_14partition_implILS5_5ELb0ES3_mN6hipcub16HIPCUB_304000_NS21CountingInputIteratorIllEEPS6_NSA_22TransformInputIteratorIb7NonZeroIfEPflEENS0_5tupleIJPlS6_EEENSJ_IJSD_SD_EEES6_SK_JS6_EEE10hipError_tPvRmT3_T4_T5_T6_T7_T9_mT8_P12ihipStream_tbDpT10_ENKUlT_T0_E_clISt17integral_constantIbLb0EES16_EEDaS11_S12_EUlS11_E_NS1_11comp_targetILNS1_3genE2ELNS1_11target_archE906ELNS1_3gpuE6ELNS1_3repE0EEENS1_30default_config_static_selectorELNS0_4arch9wavefront6targetE1EEEvT1_, .Lfunc_end257-_ZN7rocprim17ROCPRIM_400000_NS6detail17trampoline_kernelINS0_14default_configENS1_25partition_config_selectorILNS1_17partition_subalgoE5ElNS0_10empty_typeEbEEZZNS1_14partition_implILS5_5ELb0ES3_mN6hipcub16HIPCUB_304000_NS21CountingInputIteratorIllEEPS6_NSA_22TransformInputIteratorIb7NonZeroIfEPflEENS0_5tupleIJPlS6_EEENSJ_IJSD_SD_EEES6_SK_JS6_EEE10hipError_tPvRmT3_T4_T5_T6_T7_T9_mT8_P12ihipStream_tbDpT10_ENKUlT_T0_E_clISt17integral_constantIbLb0EES16_EEDaS11_S12_EUlS11_E_NS1_11comp_targetILNS1_3genE2ELNS1_11target_archE906ELNS1_3gpuE6ELNS1_3repE0EEENS1_30default_config_static_selectorELNS0_4arch9wavefront6targetE1EEEvT1_
                                        ; -- End function
	.set _ZN7rocprim17ROCPRIM_400000_NS6detail17trampoline_kernelINS0_14default_configENS1_25partition_config_selectorILNS1_17partition_subalgoE5ElNS0_10empty_typeEbEEZZNS1_14partition_implILS5_5ELb0ES3_mN6hipcub16HIPCUB_304000_NS21CountingInputIteratorIllEEPS6_NSA_22TransformInputIteratorIb7NonZeroIfEPflEENS0_5tupleIJPlS6_EEENSJ_IJSD_SD_EEES6_SK_JS6_EEE10hipError_tPvRmT3_T4_T5_T6_T7_T9_mT8_P12ihipStream_tbDpT10_ENKUlT_T0_E_clISt17integral_constantIbLb0EES16_EEDaS11_S12_EUlS11_E_NS1_11comp_targetILNS1_3genE2ELNS1_11target_archE906ELNS1_3gpuE6ELNS1_3repE0EEENS1_30default_config_static_selectorELNS0_4arch9wavefront6targetE1EEEvT1_.num_vgpr, 0
	.set _ZN7rocprim17ROCPRIM_400000_NS6detail17trampoline_kernelINS0_14default_configENS1_25partition_config_selectorILNS1_17partition_subalgoE5ElNS0_10empty_typeEbEEZZNS1_14partition_implILS5_5ELb0ES3_mN6hipcub16HIPCUB_304000_NS21CountingInputIteratorIllEEPS6_NSA_22TransformInputIteratorIb7NonZeroIfEPflEENS0_5tupleIJPlS6_EEENSJ_IJSD_SD_EEES6_SK_JS6_EEE10hipError_tPvRmT3_T4_T5_T6_T7_T9_mT8_P12ihipStream_tbDpT10_ENKUlT_T0_E_clISt17integral_constantIbLb0EES16_EEDaS11_S12_EUlS11_E_NS1_11comp_targetILNS1_3genE2ELNS1_11target_archE906ELNS1_3gpuE6ELNS1_3repE0EEENS1_30default_config_static_selectorELNS0_4arch9wavefront6targetE1EEEvT1_.num_agpr, 0
	.set _ZN7rocprim17ROCPRIM_400000_NS6detail17trampoline_kernelINS0_14default_configENS1_25partition_config_selectorILNS1_17partition_subalgoE5ElNS0_10empty_typeEbEEZZNS1_14partition_implILS5_5ELb0ES3_mN6hipcub16HIPCUB_304000_NS21CountingInputIteratorIllEEPS6_NSA_22TransformInputIteratorIb7NonZeroIfEPflEENS0_5tupleIJPlS6_EEENSJ_IJSD_SD_EEES6_SK_JS6_EEE10hipError_tPvRmT3_T4_T5_T6_T7_T9_mT8_P12ihipStream_tbDpT10_ENKUlT_T0_E_clISt17integral_constantIbLb0EES16_EEDaS11_S12_EUlS11_E_NS1_11comp_targetILNS1_3genE2ELNS1_11target_archE906ELNS1_3gpuE6ELNS1_3repE0EEENS1_30default_config_static_selectorELNS0_4arch9wavefront6targetE1EEEvT1_.numbered_sgpr, 0
	.set _ZN7rocprim17ROCPRIM_400000_NS6detail17trampoline_kernelINS0_14default_configENS1_25partition_config_selectorILNS1_17partition_subalgoE5ElNS0_10empty_typeEbEEZZNS1_14partition_implILS5_5ELb0ES3_mN6hipcub16HIPCUB_304000_NS21CountingInputIteratorIllEEPS6_NSA_22TransformInputIteratorIb7NonZeroIfEPflEENS0_5tupleIJPlS6_EEENSJ_IJSD_SD_EEES6_SK_JS6_EEE10hipError_tPvRmT3_T4_T5_T6_T7_T9_mT8_P12ihipStream_tbDpT10_ENKUlT_T0_E_clISt17integral_constantIbLb0EES16_EEDaS11_S12_EUlS11_E_NS1_11comp_targetILNS1_3genE2ELNS1_11target_archE906ELNS1_3gpuE6ELNS1_3repE0EEENS1_30default_config_static_selectorELNS0_4arch9wavefront6targetE1EEEvT1_.num_named_barrier, 0
	.set _ZN7rocprim17ROCPRIM_400000_NS6detail17trampoline_kernelINS0_14default_configENS1_25partition_config_selectorILNS1_17partition_subalgoE5ElNS0_10empty_typeEbEEZZNS1_14partition_implILS5_5ELb0ES3_mN6hipcub16HIPCUB_304000_NS21CountingInputIteratorIllEEPS6_NSA_22TransformInputIteratorIb7NonZeroIfEPflEENS0_5tupleIJPlS6_EEENSJ_IJSD_SD_EEES6_SK_JS6_EEE10hipError_tPvRmT3_T4_T5_T6_T7_T9_mT8_P12ihipStream_tbDpT10_ENKUlT_T0_E_clISt17integral_constantIbLb0EES16_EEDaS11_S12_EUlS11_E_NS1_11comp_targetILNS1_3genE2ELNS1_11target_archE906ELNS1_3gpuE6ELNS1_3repE0EEENS1_30default_config_static_selectorELNS0_4arch9wavefront6targetE1EEEvT1_.private_seg_size, 0
	.set _ZN7rocprim17ROCPRIM_400000_NS6detail17trampoline_kernelINS0_14default_configENS1_25partition_config_selectorILNS1_17partition_subalgoE5ElNS0_10empty_typeEbEEZZNS1_14partition_implILS5_5ELb0ES3_mN6hipcub16HIPCUB_304000_NS21CountingInputIteratorIllEEPS6_NSA_22TransformInputIteratorIb7NonZeroIfEPflEENS0_5tupleIJPlS6_EEENSJ_IJSD_SD_EEES6_SK_JS6_EEE10hipError_tPvRmT3_T4_T5_T6_T7_T9_mT8_P12ihipStream_tbDpT10_ENKUlT_T0_E_clISt17integral_constantIbLb0EES16_EEDaS11_S12_EUlS11_E_NS1_11comp_targetILNS1_3genE2ELNS1_11target_archE906ELNS1_3gpuE6ELNS1_3repE0EEENS1_30default_config_static_selectorELNS0_4arch9wavefront6targetE1EEEvT1_.uses_vcc, 0
	.set _ZN7rocprim17ROCPRIM_400000_NS6detail17trampoline_kernelINS0_14default_configENS1_25partition_config_selectorILNS1_17partition_subalgoE5ElNS0_10empty_typeEbEEZZNS1_14partition_implILS5_5ELb0ES3_mN6hipcub16HIPCUB_304000_NS21CountingInputIteratorIllEEPS6_NSA_22TransformInputIteratorIb7NonZeroIfEPflEENS0_5tupleIJPlS6_EEENSJ_IJSD_SD_EEES6_SK_JS6_EEE10hipError_tPvRmT3_T4_T5_T6_T7_T9_mT8_P12ihipStream_tbDpT10_ENKUlT_T0_E_clISt17integral_constantIbLb0EES16_EEDaS11_S12_EUlS11_E_NS1_11comp_targetILNS1_3genE2ELNS1_11target_archE906ELNS1_3gpuE6ELNS1_3repE0EEENS1_30default_config_static_selectorELNS0_4arch9wavefront6targetE1EEEvT1_.uses_flat_scratch, 0
	.set _ZN7rocprim17ROCPRIM_400000_NS6detail17trampoline_kernelINS0_14default_configENS1_25partition_config_selectorILNS1_17partition_subalgoE5ElNS0_10empty_typeEbEEZZNS1_14partition_implILS5_5ELb0ES3_mN6hipcub16HIPCUB_304000_NS21CountingInputIteratorIllEEPS6_NSA_22TransformInputIteratorIb7NonZeroIfEPflEENS0_5tupleIJPlS6_EEENSJ_IJSD_SD_EEES6_SK_JS6_EEE10hipError_tPvRmT3_T4_T5_T6_T7_T9_mT8_P12ihipStream_tbDpT10_ENKUlT_T0_E_clISt17integral_constantIbLb0EES16_EEDaS11_S12_EUlS11_E_NS1_11comp_targetILNS1_3genE2ELNS1_11target_archE906ELNS1_3gpuE6ELNS1_3repE0EEENS1_30default_config_static_selectorELNS0_4arch9wavefront6targetE1EEEvT1_.has_dyn_sized_stack, 0
	.set _ZN7rocprim17ROCPRIM_400000_NS6detail17trampoline_kernelINS0_14default_configENS1_25partition_config_selectorILNS1_17partition_subalgoE5ElNS0_10empty_typeEbEEZZNS1_14partition_implILS5_5ELb0ES3_mN6hipcub16HIPCUB_304000_NS21CountingInputIteratorIllEEPS6_NSA_22TransformInputIteratorIb7NonZeroIfEPflEENS0_5tupleIJPlS6_EEENSJ_IJSD_SD_EEES6_SK_JS6_EEE10hipError_tPvRmT3_T4_T5_T6_T7_T9_mT8_P12ihipStream_tbDpT10_ENKUlT_T0_E_clISt17integral_constantIbLb0EES16_EEDaS11_S12_EUlS11_E_NS1_11comp_targetILNS1_3genE2ELNS1_11target_archE906ELNS1_3gpuE6ELNS1_3repE0EEENS1_30default_config_static_selectorELNS0_4arch9wavefront6targetE1EEEvT1_.has_recursion, 0
	.set _ZN7rocprim17ROCPRIM_400000_NS6detail17trampoline_kernelINS0_14default_configENS1_25partition_config_selectorILNS1_17partition_subalgoE5ElNS0_10empty_typeEbEEZZNS1_14partition_implILS5_5ELb0ES3_mN6hipcub16HIPCUB_304000_NS21CountingInputIteratorIllEEPS6_NSA_22TransformInputIteratorIb7NonZeroIfEPflEENS0_5tupleIJPlS6_EEENSJ_IJSD_SD_EEES6_SK_JS6_EEE10hipError_tPvRmT3_T4_T5_T6_T7_T9_mT8_P12ihipStream_tbDpT10_ENKUlT_T0_E_clISt17integral_constantIbLb0EES16_EEDaS11_S12_EUlS11_E_NS1_11comp_targetILNS1_3genE2ELNS1_11target_archE906ELNS1_3gpuE6ELNS1_3repE0EEENS1_30default_config_static_selectorELNS0_4arch9wavefront6targetE1EEEvT1_.has_indirect_call, 0
	.section	.AMDGPU.csdata,"",@progbits
; Kernel info:
; codeLenInByte = 0
; TotalNumSgprs: 6
; NumVgprs: 0
; NumAgprs: 0
; TotalNumVgprs: 0
; ScratchSize: 0
; MemoryBound: 0
; FloatMode: 240
; IeeeMode: 1
; LDSByteSize: 0 bytes/workgroup (compile time only)
; SGPRBlocks: 0
; VGPRBlocks: 0
; NumSGPRsForWavesPerEU: 6
; NumVGPRsForWavesPerEU: 1
; AccumOffset: 4
; Occupancy: 8
; WaveLimiterHint : 0
; COMPUTE_PGM_RSRC2:SCRATCH_EN: 0
; COMPUTE_PGM_RSRC2:USER_SGPR: 2
; COMPUTE_PGM_RSRC2:TRAP_HANDLER: 0
; COMPUTE_PGM_RSRC2:TGID_X_EN: 1
; COMPUTE_PGM_RSRC2:TGID_Y_EN: 0
; COMPUTE_PGM_RSRC2:TGID_Z_EN: 0
; COMPUTE_PGM_RSRC2:TIDIG_COMP_CNT: 0
; COMPUTE_PGM_RSRC3_GFX90A:ACCUM_OFFSET: 0
; COMPUTE_PGM_RSRC3_GFX90A:TG_SPLIT: 0
	.section	.text._ZN7rocprim17ROCPRIM_400000_NS6detail17trampoline_kernelINS0_14default_configENS1_25partition_config_selectorILNS1_17partition_subalgoE5ElNS0_10empty_typeEbEEZZNS1_14partition_implILS5_5ELb0ES3_mN6hipcub16HIPCUB_304000_NS21CountingInputIteratorIllEEPS6_NSA_22TransformInputIteratorIb7NonZeroIfEPflEENS0_5tupleIJPlS6_EEENSJ_IJSD_SD_EEES6_SK_JS6_EEE10hipError_tPvRmT3_T4_T5_T6_T7_T9_mT8_P12ihipStream_tbDpT10_ENKUlT_T0_E_clISt17integral_constantIbLb0EES16_EEDaS11_S12_EUlS11_E_NS1_11comp_targetILNS1_3genE10ELNS1_11target_archE1200ELNS1_3gpuE4ELNS1_3repE0EEENS1_30default_config_static_selectorELNS0_4arch9wavefront6targetE1EEEvT1_,"axG",@progbits,_ZN7rocprim17ROCPRIM_400000_NS6detail17trampoline_kernelINS0_14default_configENS1_25partition_config_selectorILNS1_17partition_subalgoE5ElNS0_10empty_typeEbEEZZNS1_14partition_implILS5_5ELb0ES3_mN6hipcub16HIPCUB_304000_NS21CountingInputIteratorIllEEPS6_NSA_22TransformInputIteratorIb7NonZeroIfEPflEENS0_5tupleIJPlS6_EEENSJ_IJSD_SD_EEES6_SK_JS6_EEE10hipError_tPvRmT3_T4_T5_T6_T7_T9_mT8_P12ihipStream_tbDpT10_ENKUlT_T0_E_clISt17integral_constantIbLb0EES16_EEDaS11_S12_EUlS11_E_NS1_11comp_targetILNS1_3genE10ELNS1_11target_archE1200ELNS1_3gpuE4ELNS1_3repE0EEENS1_30default_config_static_selectorELNS0_4arch9wavefront6targetE1EEEvT1_,comdat
	.protected	_ZN7rocprim17ROCPRIM_400000_NS6detail17trampoline_kernelINS0_14default_configENS1_25partition_config_selectorILNS1_17partition_subalgoE5ElNS0_10empty_typeEbEEZZNS1_14partition_implILS5_5ELb0ES3_mN6hipcub16HIPCUB_304000_NS21CountingInputIteratorIllEEPS6_NSA_22TransformInputIteratorIb7NonZeroIfEPflEENS0_5tupleIJPlS6_EEENSJ_IJSD_SD_EEES6_SK_JS6_EEE10hipError_tPvRmT3_T4_T5_T6_T7_T9_mT8_P12ihipStream_tbDpT10_ENKUlT_T0_E_clISt17integral_constantIbLb0EES16_EEDaS11_S12_EUlS11_E_NS1_11comp_targetILNS1_3genE10ELNS1_11target_archE1200ELNS1_3gpuE4ELNS1_3repE0EEENS1_30default_config_static_selectorELNS0_4arch9wavefront6targetE1EEEvT1_ ; -- Begin function _ZN7rocprim17ROCPRIM_400000_NS6detail17trampoline_kernelINS0_14default_configENS1_25partition_config_selectorILNS1_17partition_subalgoE5ElNS0_10empty_typeEbEEZZNS1_14partition_implILS5_5ELb0ES3_mN6hipcub16HIPCUB_304000_NS21CountingInputIteratorIllEEPS6_NSA_22TransformInputIteratorIb7NonZeroIfEPflEENS0_5tupleIJPlS6_EEENSJ_IJSD_SD_EEES6_SK_JS6_EEE10hipError_tPvRmT3_T4_T5_T6_T7_T9_mT8_P12ihipStream_tbDpT10_ENKUlT_T0_E_clISt17integral_constantIbLb0EES16_EEDaS11_S12_EUlS11_E_NS1_11comp_targetILNS1_3genE10ELNS1_11target_archE1200ELNS1_3gpuE4ELNS1_3repE0EEENS1_30default_config_static_selectorELNS0_4arch9wavefront6targetE1EEEvT1_
	.globl	_ZN7rocprim17ROCPRIM_400000_NS6detail17trampoline_kernelINS0_14default_configENS1_25partition_config_selectorILNS1_17partition_subalgoE5ElNS0_10empty_typeEbEEZZNS1_14partition_implILS5_5ELb0ES3_mN6hipcub16HIPCUB_304000_NS21CountingInputIteratorIllEEPS6_NSA_22TransformInputIteratorIb7NonZeroIfEPflEENS0_5tupleIJPlS6_EEENSJ_IJSD_SD_EEES6_SK_JS6_EEE10hipError_tPvRmT3_T4_T5_T6_T7_T9_mT8_P12ihipStream_tbDpT10_ENKUlT_T0_E_clISt17integral_constantIbLb0EES16_EEDaS11_S12_EUlS11_E_NS1_11comp_targetILNS1_3genE10ELNS1_11target_archE1200ELNS1_3gpuE4ELNS1_3repE0EEENS1_30default_config_static_selectorELNS0_4arch9wavefront6targetE1EEEvT1_
	.p2align	8
	.type	_ZN7rocprim17ROCPRIM_400000_NS6detail17trampoline_kernelINS0_14default_configENS1_25partition_config_selectorILNS1_17partition_subalgoE5ElNS0_10empty_typeEbEEZZNS1_14partition_implILS5_5ELb0ES3_mN6hipcub16HIPCUB_304000_NS21CountingInputIteratorIllEEPS6_NSA_22TransformInputIteratorIb7NonZeroIfEPflEENS0_5tupleIJPlS6_EEENSJ_IJSD_SD_EEES6_SK_JS6_EEE10hipError_tPvRmT3_T4_T5_T6_T7_T9_mT8_P12ihipStream_tbDpT10_ENKUlT_T0_E_clISt17integral_constantIbLb0EES16_EEDaS11_S12_EUlS11_E_NS1_11comp_targetILNS1_3genE10ELNS1_11target_archE1200ELNS1_3gpuE4ELNS1_3repE0EEENS1_30default_config_static_selectorELNS0_4arch9wavefront6targetE1EEEvT1_,@function
_ZN7rocprim17ROCPRIM_400000_NS6detail17trampoline_kernelINS0_14default_configENS1_25partition_config_selectorILNS1_17partition_subalgoE5ElNS0_10empty_typeEbEEZZNS1_14partition_implILS5_5ELb0ES3_mN6hipcub16HIPCUB_304000_NS21CountingInputIteratorIllEEPS6_NSA_22TransformInputIteratorIb7NonZeroIfEPflEENS0_5tupleIJPlS6_EEENSJ_IJSD_SD_EEES6_SK_JS6_EEE10hipError_tPvRmT3_T4_T5_T6_T7_T9_mT8_P12ihipStream_tbDpT10_ENKUlT_T0_E_clISt17integral_constantIbLb0EES16_EEDaS11_S12_EUlS11_E_NS1_11comp_targetILNS1_3genE10ELNS1_11target_archE1200ELNS1_3gpuE4ELNS1_3repE0EEENS1_30default_config_static_selectorELNS0_4arch9wavefront6targetE1EEEvT1_: ; @_ZN7rocprim17ROCPRIM_400000_NS6detail17trampoline_kernelINS0_14default_configENS1_25partition_config_selectorILNS1_17partition_subalgoE5ElNS0_10empty_typeEbEEZZNS1_14partition_implILS5_5ELb0ES3_mN6hipcub16HIPCUB_304000_NS21CountingInputIteratorIllEEPS6_NSA_22TransformInputIteratorIb7NonZeroIfEPflEENS0_5tupleIJPlS6_EEENSJ_IJSD_SD_EEES6_SK_JS6_EEE10hipError_tPvRmT3_T4_T5_T6_T7_T9_mT8_P12ihipStream_tbDpT10_ENKUlT_T0_E_clISt17integral_constantIbLb0EES16_EEDaS11_S12_EUlS11_E_NS1_11comp_targetILNS1_3genE10ELNS1_11target_archE1200ELNS1_3gpuE4ELNS1_3repE0EEENS1_30default_config_static_selectorELNS0_4arch9wavefront6targetE1EEEvT1_
; %bb.0:
	.section	.rodata,"a",@progbits
	.p2align	6, 0x0
	.amdhsa_kernel _ZN7rocprim17ROCPRIM_400000_NS6detail17trampoline_kernelINS0_14default_configENS1_25partition_config_selectorILNS1_17partition_subalgoE5ElNS0_10empty_typeEbEEZZNS1_14partition_implILS5_5ELb0ES3_mN6hipcub16HIPCUB_304000_NS21CountingInputIteratorIllEEPS6_NSA_22TransformInputIteratorIb7NonZeroIfEPflEENS0_5tupleIJPlS6_EEENSJ_IJSD_SD_EEES6_SK_JS6_EEE10hipError_tPvRmT3_T4_T5_T6_T7_T9_mT8_P12ihipStream_tbDpT10_ENKUlT_T0_E_clISt17integral_constantIbLb0EES16_EEDaS11_S12_EUlS11_E_NS1_11comp_targetILNS1_3genE10ELNS1_11target_archE1200ELNS1_3gpuE4ELNS1_3repE0EEENS1_30default_config_static_selectorELNS0_4arch9wavefront6targetE1EEEvT1_
		.amdhsa_group_segment_fixed_size 0
		.amdhsa_private_segment_fixed_size 0
		.amdhsa_kernarg_size 120
		.amdhsa_user_sgpr_count 2
		.amdhsa_user_sgpr_dispatch_ptr 0
		.amdhsa_user_sgpr_queue_ptr 0
		.amdhsa_user_sgpr_kernarg_segment_ptr 1
		.amdhsa_user_sgpr_dispatch_id 0
		.amdhsa_user_sgpr_kernarg_preload_length 0
		.amdhsa_user_sgpr_kernarg_preload_offset 0
		.amdhsa_user_sgpr_private_segment_size 0
		.amdhsa_uses_dynamic_stack 0
		.amdhsa_enable_private_segment 0
		.amdhsa_system_sgpr_workgroup_id_x 1
		.amdhsa_system_sgpr_workgroup_id_y 0
		.amdhsa_system_sgpr_workgroup_id_z 0
		.amdhsa_system_sgpr_workgroup_info 0
		.amdhsa_system_vgpr_workitem_id 0
		.amdhsa_next_free_vgpr 1
		.amdhsa_next_free_sgpr 0
		.amdhsa_accum_offset 4
		.amdhsa_reserve_vcc 0
		.amdhsa_float_round_mode_32 0
		.amdhsa_float_round_mode_16_64 0
		.amdhsa_float_denorm_mode_32 3
		.amdhsa_float_denorm_mode_16_64 3
		.amdhsa_dx10_clamp 1
		.amdhsa_ieee_mode 1
		.amdhsa_fp16_overflow 0
		.amdhsa_tg_split 0
		.amdhsa_exception_fp_ieee_invalid_op 0
		.amdhsa_exception_fp_denorm_src 0
		.amdhsa_exception_fp_ieee_div_zero 0
		.amdhsa_exception_fp_ieee_overflow 0
		.amdhsa_exception_fp_ieee_underflow 0
		.amdhsa_exception_fp_ieee_inexact 0
		.amdhsa_exception_int_div_zero 0
	.end_amdhsa_kernel
	.section	.text._ZN7rocprim17ROCPRIM_400000_NS6detail17trampoline_kernelINS0_14default_configENS1_25partition_config_selectorILNS1_17partition_subalgoE5ElNS0_10empty_typeEbEEZZNS1_14partition_implILS5_5ELb0ES3_mN6hipcub16HIPCUB_304000_NS21CountingInputIteratorIllEEPS6_NSA_22TransformInputIteratorIb7NonZeroIfEPflEENS0_5tupleIJPlS6_EEENSJ_IJSD_SD_EEES6_SK_JS6_EEE10hipError_tPvRmT3_T4_T5_T6_T7_T9_mT8_P12ihipStream_tbDpT10_ENKUlT_T0_E_clISt17integral_constantIbLb0EES16_EEDaS11_S12_EUlS11_E_NS1_11comp_targetILNS1_3genE10ELNS1_11target_archE1200ELNS1_3gpuE4ELNS1_3repE0EEENS1_30default_config_static_selectorELNS0_4arch9wavefront6targetE1EEEvT1_,"axG",@progbits,_ZN7rocprim17ROCPRIM_400000_NS6detail17trampoline_kernelINS0_14default_configENS1_25partition_config_selectorILNS1_17partition_subalgoE5ElNS0_10empty_typeEbEEZZNS1_14partition_implILS5_5ELb0ES3_mN6hipcub16HIPCUB_304000_NS21CountingInputIteratorIllEEPS6_NSA_22TransformInputIteratorIb7NonZeroIfEPflEENS0_5tupleIJPlS6_EEENSJ_IJSD_SD_EEES6_SK_JS6_EEE10hipError_tPvRmT3_T4_T5_T6_T7_T9_mT8_P12ihipStream_tbDpT10_ENKUlT_T0_E_clISt17integral_constantIbLb0EES16_EEDaS11_S12_EUlS11_E_NS1_11comp_targetILNS1_3genE10ELNS1_11target_archE1200ELNS1_3gpuE4ELNS1_3repE0EEENS1_30default_config_static_selectorELNS0_4arch9wavefront6targetE1EEEvT1_,comdat
.Lfunc_end258:
	.size	_ZN7rocprim17ROCPRIM_400000_NS6detail17trampoline_kernelINS0_14default_configENS1_25partition_config_selectorILNS1_17partition_subalgoE5ElNS0_10empty_typeEbEEZZNS1_14partition_implILS5_5ELb0ES3_mN6hipcub16HIPCUB_304000_NS21CountingInputIteratorIllEEPS6_NSA_22TransformInputIteratorIb7NonZeroIfEPflEENS0_5tupleIJPlS6_EEENSJ_IJSD_SD_EEES6_SK_JS6_EEE10hipError_tPvRmT3_T4_T5_T6_T7_T9_mT8_P12ihipStream_tbDpT10_ENKUlT_T0_E_clISt17integral_constantIbLb0EES16_EEDaS11_S12_EUlS11_E_NS1_11comp_targetILNS1_3genE10ELNS1_11target_archE1200ELNS1_3gpuE4ELNS1_3repE0EEENS1_30default_config_static_selectorELNS0_4arch9wavefront6targetE1EEEvT1_, .Lfunc_end258-_ZN7rocprim17ROCPRIM_400000_NS6detail17trampoline_kernelINS0_14default_configENS1_25partition_config_selectorILNS1_17partition_subalgoE5ElNS0_10empty_typeEbEEZZNS1_14partition_implILS5_5ELb0ES3_mN6hipcub16HIPCUB_304000_NS21CountingInputIteratorIllEEPS6_NSA_22TransformInputIteratorIb7NonZeroIfEPflEENS0_5tupleIJPlS6_EEENSJ_IJSD_SD_EEES6_SK_JS6_EEE10hipError_tPvRmT3_T4_T5_T6_T7_T9_mT8_P12ihipStream_tbDpT10_ENKUlT_T0_E_clISt17integral_constantIbLb0EES16_EEDaS11_S12_EUlS11_E_NS1_11comp_targetILNS1_3genE10ELNS1_11target_archE1200ELNS1_3gpuE4ELNS1_3repE0EEENS1_30default_config_static_selectorELNS0_4arch9wavefront6targetE1EEEvT1_
                                        ; -- End function
	.set _ZN7rocprim17ROCPRIM_400000_NS6detail17trampoline_kernelINS0_14default_configENS1_25partition_config_selectorILNS1_17partition_subalgoE5ElNS0_10empty_typeEbEEZZNS1_14partition_implILS5_5ELb0ES3_mN6hipcub16HIPCUB_304000_NS21CountingInputIteratorIllEEPS6_NSA_22TransformInputIteratorIb7NonZeroIfEPflEENS0_5tupleIJPlS6_EEENSJ_IJSD_SD_EEES6_SK_JS6_EEE10hipError_tPvRmT3_T4_T5_T6_T7_T9_mT8_P12ihipStream_tbDpT10_ENKUlT_T0_E_clISt17integral_constantIbLb0EES16_EEDaS11_S12_EUlS11_E_NS1_11comp_targetILNS1_3genE10ELNS1_11target_archE1200ELNS1_3gpuE4ELNS1_3repE0EEENS1_30default_config_static_selectorELNS0_4arch9wavefront6targetE1EEEvT1_.num_vgpr, 0
	.set _ZN7rocprim17ROCPRIM_400000_NS6detail17trampoline_kernelINS0_14default_configENS1_25partition_config_selectorILNS1_17partition_subalgoE5ElNS0_10empty_typeEbEEZZNS1_14partition_implILS5_5ELb0ES3_mN6hipcub16HIPCUB_304000_NS21CountingInputIteratorIllEEPS6_NSA_22TransformInputIteratorIb7NonZeroIfEPflEENS0_5tupleIJPlS6_EEENSJ_IJSD_SD_EEES6_SK_JS6_EEE10hipError_tPvRmT3_T4_T5_T6_T7_T9_mT8_P12ihipStream_tbDpT10_ENKUlT_T0_E_clISt17integral_constantIbLb0EES16_EEDaS11_S12_EUlS11_E_NS1_11comp_targetILNS1_3genE10ELNS1_11target_archE1200ELNS1_3gpuE4ELNS1_3repE0EEENS1_30default_config_static_selectorELNS0_4arch9wavefront6targetE1EEEvT1_.num_agpr, 0
	.set _ZN7rocprim17ROCPRIM_400000_NS6detail17trampoline_kernelINS0_14default_configENS1_25partition_config_selectorILNS1_17partition_subalgoE5ElNS0_10empty_typeEbEEZZNS1_14partition_implILS5_5ELb0ES3_mN6hipcub16HIPCUB_304000_NS21CountingInputIteratorIllEEPS6_NSA_22TransformInputIteratorIb7NonZeroIfEPflEENS0_5tupleIJPlS6_EEENSJ_IJSD_SD_EEES6_SK_JS6_EEE10hipError_tPvRmT3_T4_T5_T6_T7_T9_mT8_P12ihipStream_tbDpT10_ENKUlT_T0_E_clISt17integral_constantIbLb0EES16_EEDaS11_S12_EUlS11_E_NS1_11comp_targetILNS1_3genE10ELNS1_11target_archE1200ELNS1_3gpuE4ELNS1_3repE0EEENS1_30default_config_static_selectorELNS0_4arch9wavefront6targetE1EEEvT1_.numbered_sgpr, 0
	.set _ZN7rocprim17ROCPRIM_400000_NS6detail17trampoline_kernelINS0_14default_configENS1_25partition_config_selectorILNS1_17partition_subalgoE5ElNS0_10empty_typeEbEEZZNS1_14partition_implILS5_5ELb0ES3_mN6hipcub16HIPCUB_304000_NS21CountingInputIteratorIllEEPS6_NSA_22TransformInputIteratorIb7NonZeroIfEPflEENS0_5tupleIJPlS6_EEENSJ_IJSD_SD_EEES6_SK_JS6_EEE10hipError_tPvRmT3_T4_T5_T6_T7_T9_mT8_P12ihipStream_tbDpT10_ENKUlT_T0_E_clISt17integral_constantIbLb0EES16_EEDaS11_S12_EUlS11_E_NS1_11comp_targetILNS1_3genE10ELNS1_11target_archE1200ELNS1_3gpuE4ELNS1_3repE0EEENS1_30default_config_static_selectorELNS0_4arch9wavefront6targetE1EEEvT1_.num_named_barrier, 0
	.set _ZN7rocprim17ROCPRIM_400000_NS6detail17trampoline_kernelINS0_14default_configENS1_25partition_config_selectorILNS1_17partition_subalgoE5ElNS0_10empty_typeEbEEZZNS1_14partition_implILS5_5ELb0ES3_mN6hipcub16HIPCUB_304000_NS21CountingInputIteratorIllEEPS6_NSA_22TransformInputIteratorIb7NonZeroIfEPflEENS0_5tupleIJPlS6_EEENSJ_IJSD_SD_EEES6_SK_JS6_EEE10hipError_tPvRmT3_T4_T5_T6_T7_T9_mT8_P12ihipStream_tbDpT10_ENKUlT_T0_E_clISt17integral_constantIbLb0EES16_EEDaS11_S12_EUlS11_E_NS1_11comp_targetILNS1_3genE10ELNS1_11target_archE1200ELNS1_3gpuE4ELNS1_3repE0EEENS1_30default_config_static_selectorELNS0_4arch9wavefront6targetE1EEEvT1_.private_seg_size, 0
	.set _ZN7rocprim17ROCPRIM_400000_NS6detail17trampoline_kernelINS0_14default_configENS1_25partition_config_selectorILNS1_17partition_subalgoE5ElNS0_10empty_typeEbEEZZNS1_14partition_implILS5_5ELb0ES3_mN6hipcub16HIPCUB_304000_NS21CountingInputIteratorIllEEPS6_NSA_22TransformInputIteratorIb7NonZeroIfEPflEENS0_5tupleIJPlS6_EEENSJ_IJSD_SD_EEES6_SK_JS6_EEE10hipError_tPvRmT3_T4_T5_T6_T7_T9_mT8_P12ihipStream_tbDpT10_ENKUlT_T0_E_clISt17integral_constantIbLb0EES16_EEDaS11_S12_EUlS11_E_NS1_11comp_targetILNS1_3genE10ELNS1_11target_archE1200ELNS1_3gpuE4ELNS1_3repE0EEENS1_30default_config_static_selectorELNS0_4arch9wavefront6targetE1EEEvT1_.uses_vcc, 0
	.set _ZN7rocprim17ROCPRIM_400000_NS6detail17trampoline_kernelINS0_14default_configENS1_25partition_config_selectorILNS1_17partition_subalgoE5ElNS0_10empty_typeEbEEZZNS1_14partition_implILS5_5ELb0ES3_mN6hipcub16HIPCUB_304000_NS21CountingInputIteratorIllEEPS6_NSA_22TransformInputIteratorIb7NonZeroIfEPflEENS0_5tupleIJPlS6_EEENSJ_IJSD_SD_EEES6_SK_JS6_EEE10hipError_tPvRmT3_T4_T5_T6_T7_T9_mT8_P12ihipStream_tbDpT10_ENKUlT_T0_E_clISt17integral_constantIbLb0EES16_EEDaS11_S12_EUlS11_E_NS1_11comp_targetILNS1_3genE10ELNS1_11target_archE1200ELNS1_3gpuE4ELNS1_3repE0EEENS1_30default_config_static_selectorELNS0_4arch9wavefront6targetE1EEEvT1_.uses_flat_scratch, 0
	.set _ZN7rocprim17ROCPRIM_400000_NS6detail17trampoline_kernelINS0_14default_configENS1_25partition_config_selectorILNS1_17partition_subalgoE5ElNS0_10empty_typeEbEEZZNS1_14partition_implILS5_5ELb0ES3_mN6hipcub16HIPCUB_304000_NS21CountingInputIteratorIllEEPS6_NSA_22TransformInputIteratorIb7NonZeroIfEPflEENS0_5tupleIJPlS6_EEENSJ_IJSD_SD_EEES6_SK_JS6_EEE10hipError_tPvRmT3_T4_T5_T6_T7_T9_mT8_P12ihipStream_tbDpT10_ENKUlT_T0_E_clISt17integral_constantIbLb0EES16_EEDaS11_S12_EUlS11_E_NS1_11comp_targetILNS1_3genE10ELNS1_11target_archE1200ELNS1_3gpuE4ELNS1_3repE0EEENS1_30default_config_static_selectorELNS0_4arch9wavefront6targetE1EEEvT1_.has_dyn_sized_stack, 0
	.set _ZN7rocprim17ROCPRIM_400000_NS6detail17trampoline_kernelINS0_14default_configENS1_25partition_config_selectorILNS1_17partition_subalgoE5ElNS0_10empty_typeEbEEZZNS1_14partition_implILS5_5ELb0ES3_mN6hipcub16HIPCUB_304000_NS21CountingInputIteratorIllEEPS6_NSA_22TransformInputIteratorIb7NonZeroIfEPflEENS0_5tupleIJPlS6_EEENSJ_IJSD_SD_EEES6_SK_JS6_EEE10hipError_tPvRmT3_T4_T5_T6_T7_T9_mT8_P12ihipStream_tbDpT10_ENKUlT_T0_E_clISt17integral_constantIbLb0EES16_EEDaS11_S12_EUlS11_E_NS1_11comp_targetILNS1_3genE10ELNS1_11target_archE1200ELNS1_3gpuE4ELNS1_3repE0EEENS1_30default_config_static_selectorELNS0_4arch9wavefront6targetE1EEEvT1_.has_recursion, 0
	.set _ZN7rocprim17ROCPRIM_400000_NS6detail17trampoline_kernelINS0_14default_configENS1_25partition_config_selectorILNS1_17partition_subalgoE5ElNS0_10empty_typeEbEEZZNS1_14partition_implILS5_5ELb0ES3_mN6hipcub16HIPCUB_304000_NS21CountingInputIteratorIllEEPS6_NSA_22TransformInputIteratorIb7NonZeroIfEPflEENS0_5tupleIJPlS6_EEENSJ_IJSD_SD_EEES6_SK_JS6_EEE10hipError_tPvRmT3_T4_T5_T6_T7_T9_mT8_P12ihipStream_tbDpT10_ENKUlT_T0_E_clISt17integral_constantIbLb0EES16_EEDaS11_S12_EUlS11_E_NS1_11comp_targetILNS1_3genE10ELNS1_11target_archE1200ELNS1_3gpuE4ELNS1_3repE0EEENS1_30default_config_static_selectorELNS0_4arch9wavefront6targetE1EEEvT1_.has_indirect_call, 0
	.section	.AMDGPU.csdata,"",@progbits
; Kernel info:
; codeLenInByte = 0
; TotalNumSgprs: 6
; NumVgprs: 0
; NumAgprs: 0
; TotalNumVgprs: 0
; ScratchSize: 0
; MemoryBound: 0
; FloatMode: 240
; IeeeMode: 1
; LDSByteSize: 0 bytes/workgroup (compile time only)
; SGPRBlocks: 0
; VGPRBlocks: 0
; NumSGPRsForWavesPerEU: 6
; NumVGPRsForWavesPerEU: 1
; AccumOffset: 4
; Occupancy: 8
; WaveLimiterHint : 0
; COMPUTE_PGM_RSRC2:SCRATCH_EN: 0
; COMPUTE_PGM_RSRC2:USER_SGPR: 2
; COMPUTE_PGM_RSRC2:TRAP_HANDLER: 0
; COMPUTE_PGM_RSRC2:TGID_X_EN: 1
; COMPUTE_PGM_RSRC2:TGID_Y_EN: 0
; COMPUTE_PGM_RSRC2:TGID_Z_EN: 0
; COMPUTE_PGM_RSRC2:TIDIG_COMP_CNT: 0
; COMPUTE_PGM_RSRC3_GFX90A:ACCUM_OFFSET: 0
; COMPUTE_PGM_RSRC3_GFX90A:TG_SPLIT: 0
	.section	.text._ZN7rocprim17ROCPRIM_400000_NS6detail17trampoline_kernelINS0_14default_configENS1_25partition_config_selectorILNS1_17partition_subalgoE5ElNS0_10empty_typeEbEEZZNS1_14partition_implILS5_5ELb0ES3_mN6hipcub16HIPCUB_304000_NS21CountingInputIteratorIllEEPS6_NSA_22TransformInputIteratorIb7NonZeroIfEPflEENS0_5tupleIJPlS6_EEENSJ_IJSD_SD_EEES6_SK_JS6_EEE10hipError_tPvRmT3_T4_T5_T6_T7_T9_mT8_P12ihipStream_tbDpT10_ENKUlT_T0_E_clISt17integral_constantIbLb0EES16_EEDaS11_S12_EUlS11_E_NS1_11comp_targetILNS1_3genE9ELNS1_11target_archE1100ELNS1_3gpuE3ELNS1_3repE0EEENS1_30default_config_static_selectorELNS0_4arch9wavefront6targetE1EEEvT1_,"axG",@progbits,_ZN7rocprim17ROCPRIM_400000_NS6detail17trampoline_kernelINS0_14default_configENS1_25partition_config_selectorILNS1_17partition_subalgoE5ElNS0_10empty_typeEbEEZZNS1_14partition_implILS5_5ELb0ES3_mN6hipcub16HIPCUB_304000_NS21CountingInputIteratorIllEEPS6_NSA_22TransformInputIteratorIb7NonZeroIfEPflEENS0_5tupleIJPlS6_EEENSJ_IJSD_SD_EEES6_SK_JS6_EEE10hipError_tPvRmT3_T4_T5_T6_T7_T9_mT8_P12ihipStream_tbDpT10_ENKUlT_T0_E_clISt17integral_constantIbLb0EES16_EEDaS11_S12_EUlS11_E_NS1_11comp_targetILNS1_3genE9ELNS1_11target_archE1100ELNS1_3gpuE3ELNS1_3repE0EEENS1_30default_config_static_selectorELNS0_4arch9wavefront6targetE1EEEvT1_,comdat
	.protected	_ZN7rocprim17ROCPRIM_400000_NS6detail17trampoline_kernelINS0_14default_configENS1_25partition_config_selectorILNS1_17partition_subalgoE5ElNS0_10empty_typeEbEEZZNS1_14partition_implILS5_5ELb0ES3_mN6hipcub16HIPCUB_304000_NS21CountingInputIteratorIllEEPS6_NSA_22TransformInputIteratorIb7NonZeroIfEPflEENS0_5tupleIJPlS6_EEENSJ_IJSD_SD_EEES6_SK_JS6_EEE10hipError_tPvRmT3_T4_T5_T6_T7_T9_mT8_P12ihipStream_tbDpT10_ENKUlT_T0_E_clISt17integral_constantIbLb0EES16_EEDaS11_S12_EUlS11_E_NS1_11comp_targetILNS1_3genE9ELNS1_11target_archE1100ELNS1_3gpuE3ELNS1_3repE0EEENS1_30default_config_static_selectorELNS0_4arch9wavefront6targetE1EEEvT1_ ; -- Begin function _ZN7rocprim17ROCPRIM_400000_NS6detail17trampoline_kernelINS0_14default_configENS1_25partition_config_selectorILNS1_17partition_subalgoE5ElNS0_10empty_typeEbEEZZNS1_14partition_implILS5_5ELb0ES3_mN6hipcub16HIPCUB_304000_NS21CountingInputIteratorIllEEPS6_NSA_22TransformInputIteratorIb7NonZeroIfEPflEENS0_5tupleIJPlS6_EEENSJ_IJSD_SD_EEES6_SK_JS6_EEE10hipError_tPvRmT3_T4_T5_T6_T7_T9_mT8_P12ihipStream_tbDpT10_ENKUlT_T0_E_clISt17integral_constantIbLb0EES16_EEDaS11_S12_EUlS11_E_NS1_11comp_targetILNS1_3genE9ELNS1_11target_archE1100ELNS1_3gpuE3ELNS1_3repE0EEENS1_30default_config_static_selectorELNS0_4arch9wavefront6targetE1EEEvT1_
	.globl	_ZN7rocprim17ROCPRIM_400000_NS6detail17trampoline_kernelINS0_14default_configENS1_25partition_config_selectorILNS1_17partition_subalgoE5ElNS0_10empty_typeEbEEZZNS1_14partition_implILS5_5ELb0ES3_mN6hipcub16HIPCUB_304000_NS21CountingInputIteratorIllEEPS6_NSA_22TransformInputIteratorIb7NonZeroIfEPflEENS0_5tupleIJPlS6_EEENSJ_IJSD_SD_EEES6_SK_JS6_EEE10hipError_tPvRmT3_T4_T5_T6_T7_T9_mT8_P12ihipStream_tbDpT10_ENKUlT_T0_E_clISt17integral_constantIbLb0EES16_EEDaS11_S12_EUlS11_E_NS1_11comp_targetILNS1_3genE9ELNS1_11target_archE1100ELNS1_3gpuE3ELNS1_3repE0EEENS1_30default_config_static_selectorELNS0_4arch9wavefront6targetE1EEEvT1_
	.p2align	8
	.type	_ZN7rocprim17ROCPRIM_400000_NS6detail17trampoline_kernelINS0_14default_configENS1_25partition_config_selectorILNS1_17partition_subalgoE5ElNS0_10empty_typeEbEEZZNS1_14partition_implILS5_5ELb0ES3_mN6hipcub16HIPCUB_304000_NS21CountingInputIteratorIllEEPS6_NSA_22TransformInputIteratorIb7NonZeroIfEPflEENS0_5tupleIJPlS6_EEENSJ_IJSD_SD_EEES6_SK_JS6_EEE10hipError_tPvRmT3_T4_T5_T6_T7_T9_mT8_P12ihipStream_tbDpT10_ENKUlT_T0_E_clISt17integral_constantIbLb0EES16_EEDaS11_S12_EUlS11_E_NS1_11comp_targetILNS1_3genE9ELNS1_11target_archE1100ELNS1_3gpuE3ELNS1_3repE0EEENS1_30default_config_static_selectorELNS0_4arch9wavefront6targetE1EEEvT1_,@function
_ZN7rocprim17ROCPRIM_400000_NS6detail17trampoline_kernelINS0_14default_configENS1_25partition_config_selectorILNS1_17partition_subalgoE5ElNS0_10empty_typeEbEEZZNS1_14partition_implILS5_5ELb0ES3_mN6hipcub16HIPCUB_304000_NS21CountingInputIteratorIllEEPS6_NSA_22TransformInputIteratorIb7NonZeroIfEPflEENS0_5tupleIJPlS6_EEENSJ_IJSD_SD_EEES6_SK_JS6_EEE10hipError_tPvRmT3_T4_T5_T6_T7_T9_mT8_P12ihipStream_tbDpT10_ENKUlT_T0_E_clISt17integral_constantIbLb0EES16_EEDaS11_S12_EUlS11_E_NS1_11comp_targetILNS1_3genE9ELNS1_11target_archE1100ELNS1_3gpuE3ELNS1_3repE0EEENS1_30default_config_static_selectorELNS0_4arch9wavefront6targetE1EEEvT1_: ; @_ZN7rocprim17ROCPRIM_400000_NS6detail17trampoline_kernelINS0_14default_configENS1_25partition_config_selectorILNS1_17partition_subalgoE5ElNS0_10empty_typeEbEEZZNS1_14partition_implILS5_5ELb0ES3_mN6hipcub16HIPCUB_304000_NS21CountingInputIteratorIllEEPS6_NSA_22TransformInputIteratorIb7NonZeroIfEPflEENS0_5tupleIJPlS6_EEENSJ_IJSD_SD_EEES6_SK_JS6_EEE10hipError_tPvRmT3_T4_T5_T6_T7_T9_mT8_P12ihipStream_tbDpT10_ENKUlT_T0_E_clISt17integral_constantIbLb0EES16_EEDaS11_S12_EUlS11_E_NS1_11comp_targetILNS1_3genE9ELNS1_11target_archE1100ELNS1_3gpuE3ELNS1_3repE0EEENS1_30default_config_static_selectorELNS0_4arch9wavefront6targetE1EEEvT1_
; %bb.0:
	.section	.rodata,"a",@progbits
	.p2align	6, 0x0
	.amdhsa_kernel _ZN7rocprim17ROCPRIM_400000_NS6detail17trampoline_kernelINS0_14default_configENS1_25partition_config_selectorILNS1_17partition_subalgoE5ElNS0_10empty_typeEbEEZZNS1_14partition_implILS5_5ELb0ES3_mN6hipcub16HIPCUB_304000_NS21CountingInputIteratorIllEEPS6_NSA_22TransformInputIteratorIb7NonZeroIfEPflEENS0_5tupleIJPlS6_EEENSJ_IJSD_SD_EEES6_SK_JS6_EEE10hipError_tPvRmT3_T4_T5_T6_T7_T9_mT8_P12ihipStream_tbDpT10_ENKUlT_T0_E_clISt17integral_constantIbLb0EES16_EEDaS11_S12_EUlS11_E_NS1_11comp_targetILNS1_3genE9ELNS1_11target_archE1100ELNS1_3gpuE3ELNS1_3repE0EEENS1_30default_config_static_selectorELNS0_4arch9wavefront6targetE1EEEvT1_
		.amdhsa_group_segment_fixed_size 0
		.amdhsa_private_segment_fixed_size 0
		.amdhsa_kernarg_size 120
		.amdhsa_user_sgpr_count 2
		.amdhsa_user_sgpr_dispatch_ptr 0
		.amdhsa_user_sgpr_queue_ptr 0
		.amdhsa_user_sgpr_kernarg_segment_ptr 1
		.amdhsa_user_sgpr_dispatch_id 0
		.amdhsa_user_sgpr_kernarg_preload_length 0
		.amdhsa_user_sgpr_kernarg_preload_offset 0
		.amdhsa_user_sgpr_private_segment_size 0
		.amdhsa_uses_dynamic_stack 0
		.amdhsa_enable_private_segment 0
		.amdhsa_system_sgpr_workgroup_id_x 1
		.amdhsa_system_sgpr_workgroup_id_y 0
		.amdhsa_system_sgpr_workgroup_id_z 0
		.amdhsa_system_sgpr_workgroup_info 0
		.amdhsa_system_vgpr_workitem_id 0
		.amdhsa_next_free_vgpr 1
		.amdhsa_next_free_sgpr 0
		.amdhsa_accum_offset 4
		.amdhsa_reserve_vcc 0
		.amdhsa_float_round_mode_32 0
		.amdhsa_float_round_mode_16_64 0
		.amdhsa_float_denorm_mode_32 3
		.amdhsa_float_denorm_mode_16_64 3
		.amdhsa_dx10_clamp 1
		.amdhsa_ieee_mode 1
		.amdhsa_fp16_overflow 0
		.amdhsa_tg_split 0
		.amdhsa_exception_fp_ieee_invalid_op 0
		.amdhsa_exception_fp_denorm_src 0
		.amdhsa_exception_fp_ieee_div_zero 0
		.amdhsa_exception_fp_ieee_overflow 0
		.amdhsa_exception_fp_ieee_underflow 0
		.amdhsa_exception_fp_ieee_inexact 0
		.amdhsa_exception_int_div_zero 0
	.end_amdhsa_kernel
	.section	.text._ZN7rocprim17ROCPRIM_400000_NS6detail17trampoline_kernelINS0_14default_configENS1_25partition_config_selectorILNS1_17partition_subalgoE5ElNS0_10empty_typeEbEEZZNS1_14partition_implILS5_5ELb0ES3_mN6hipcub16HIPCUB_304000_NS21CountingInputIteratorIllEEPS6_NSA_22TransformInputIteratorIb7NonZeroIfEPflEENS0_5tupleIJPlS6_EEENSJ_IJSD_SD_EEES6_SK_JS6_EEE10hipError_tPvRmT3_T4_T5_T6_T7_T9_mT8_P12ihipStream_tbDpT10_ENKUlT_T0_E_clISt17integral_constantIbLb0EES16_EEDaS11_S12_EUlS11_E_NS1_11comp_targetILNS1_3genE9ELNS1_11target_archE1100ELNS1_3gpuE3ELNS1_3repE0EEENS1_30default_config_static_selectorELNS0_4arch9wavefront6targetE1EEEvT1_,"axG",@progbits,_ZN7rocprim17ROCPRIM_400000_NS6detail17trampoline_kernelINS0_14default_configENS1_25partition_config_selectorILNS1_17partition_subalgoE5ElNS0_10empty_typeEbEEZZNS1_14partition_implILS5_5ELb0ES3_mN6hipcub16HIPCUB_304000_NS21CountingInputIteratorIllEEPS6_NSA_22TransformInputIteratorIb7NonZeroIfEPflEENS0_5tupleIJPlS6_EEENSJ_IJSD_SD_EEES6_SK_JS6_EEE10hipError_tPvRmT3_T4_T5_T6_T7_T9_mT8_P12ihipStream_tbDpT10_ENKUlT_T0_E_clISt17integral_constantIbLb0EES16_EEDaS11_S12_EUlS11_E_NS1_11comp_targetILNS1_3genE9ELNS1_11target_archE1100ELNS1_3gpuE3ELNS1_3repE0EEENS1_30default_config_static_selectorELNS0_4arch9wavefront6targetE1EEEvT1_,comdat
.Lfunc_end259:
	.size	_ZN7rocprim17ROCPRIM_400000_NS6detail17trampoline_kernelINS0_14default_configENS1_25partition_config_selectorILNS1_17partition_subalgoE5ElNS0_10empty_typeEbEEZZNS1_14partition_implILS5_5ELb0ES3_mN6hipcub16HIPCUB_304000_NS21CountingInputIteratorIllEEPS6_NSA_22TransformInputIteratorIb7NonZeroIfEPflEENS0_5tupleIJPlS6_EEENSJ_IJSD_SD_EEES6_SK_JS6_EEE10hipError_tPvRmT3_T4_T5_T6_T7_T9_mT8_P12ihipStream_tbDpT10_ENKUlT_T0_E_clISt17integral_constantIbLb0EES16_EEDaS11_S12_EUlS11_E_NS1_11comp_targetILNS1_3genE9ELNS1_11target_archE1100ELNS1_3gpuE3ELNS1_3repE0EEENS1_30default_config_static_selectorELNS0_4arch9wavefront6targetE1EEEvT1_, .Lfunc_end259-_ZN7rocprim17ROCPRIM_400000_NS6detail17trampoline_kernelINS0_14default_configENS1_25partition_config_selectorILNS1_17partition_subalgoE5ElNS0_10empty_typeEbEEZZNS1_14partition_implILS5_5ELb0ES3_mN6hipcub16HIPCUB_304000_NS21CountingInputIteratorIllEEPS6_NSA_22TransformInputIteratorIb7NonZeroIfEPflEENS0_5tupleIJPlS6_EEENSJ_IJSD_SD_EEES6_SK_JS6_EEE10hipError_tPvRmT3_T4_T5_T6_T7_T9_mT8_P12ihipStream_tbDpT10_ENKUlT_T0_E_clISt17integral_constantIbLb0EES16_EEDaS11_S12_EUlS11_E_NS1_11comp_targetILNS1_3genE9ELNS1_11target_archE1100ELNS1_3gpuE3ELNS1_3repE0EEENS1_30default_config_static_selectorELNS0_4arch9wavefront6targetE1EEEvT1_
                                        ; -- End function
	.set _ZN7rocprim17ROCPRIM_400000_NS6detail17trampoline_kernelINS0_14default_configENS1_25partition_config_selectorILNS1_17partition_subalgoE5ElNS0_10empty_typeEbEEZZNS1_14partition_implILS5_5ELb0ES3_mN6hipcub16HIPCUB_304000_NS21CountingInputIteratorIllEEPS6_NSA_22TransformInputIteratorIb7NonZeroIfEPflEENS0_5tupleIJPlS6_EEENSJ_IJSD_SD_EEES6_SK_JS6_EEE10hipError_tPvRmT3_T4_T5_T6_T7_T9_mT8_P12ihipStream_tbDpT10_ENKUlT_T0_E_clISt17integral_constantIbLb0EES16_EEDaS11_S12_EUlS11_E_NS1_11comp_targetILNS1_3genE9ELNS1_11target_archE1100ELNS1_3gpuE3ELNS1_3repE0EEENS1_30default_config_static_selectorELNS0_4arch9wavefront6targetE1EEEvT1_.num_vgpr, 0
	.set _ZN7rocprim17ROCPRIM_400000_NS6detail17trampoline_kernelINS0_14default_configENS1_25partition_config_selectorILNS1_17partition_subalgoE5ElNS0_10empty_typeEbEEZZNS1_14partition_implILS5_5ELb0ES3_mN6hipcub16HIPCUB_304000_NS21CountingInputIteratorIllEEPS6_NSA_22TransformInputIteratorIb7NonZeroIfEPflEENS0_5tupleIJPlS6_EEENSJ_IJSD_SD_EEES6_SK_JS6_EEE10hipError_tPvRmT3_T4_T5_T6_T7_T9_mT8_P12ihipStream_tbDpT10_ENKUlT_T0_E_clISt17integral_constantIbLb0EES16_EEDaS11_S12_EUlS11_E_NS1_11comp_targetILNS1_3genE9ELNS1_11target_archE1100ELNS1_3gpuE3ELNS1_3repE0EEENS1_30default_config_static_selectorELNS0_4arch9wavefront6targetE1EEEvT1_.num_agpr, 0
	.set _ZN7rocprim17ROCPRIM_400000_NS6detail17trampoline_kernelINS0_14default_configENS1_25partition_config_selectorILNS1_17partition_subalgoE5ElNS0_10empty_typeEbEEZZNS1_14partition_implILS5_5ELb0ES3_mN6hipcub16HIPCUB_304000_NS21CountingInputIteratorIllEEPS6_NSA_22TransformInputIteratorIb7NonZeroIfEPflEENS0_5tupleIJPlS6_EEENSJ_IJSD_SD_EEES6_SK_JS6_EEE10hipError_tPvRmT3_T4_T5_T6_T7_T9_mT8_P12ihipStream_tbDpT10_ENKUlT_T0_E_clISt17integral_constantIbLb0EES16_EEDaS11_S12_EUlS11_E_NS1_11comp_targetILNS1_3genE9ELNS1_11target_archE1100ELNS1_3gpuE3ELNS1_3repE0EEENS1_30default_config_static_selectorELNS0_4arch9wavefront6targetE1EEEvT1_.numbered_sgpr, 0
	.set _ZN7rocprim17ROCPRIM_400000_NS6detail17trampoline_kernelINS0_14default_configENS1_25partition_config_selectorILNS1_17partition_subalgoE5ElNS0_10empty_typeEbEEZZNS1_14partition_implILS5_5ELb0ES3_mN6hipcub16HIPCUB_304000_NS21CountingInputIteratorIllEEPS6_NSA_22TransformInputIteratorIb7NonZeroIfEPflEENS0_5tupleIJPlS6_EEENSJ_IJSD_SD_EEES6_SK_JS6_EEE10hipError_tPvRmT3_T4_T5_T6_T7_T9_mT8_P12ihipStream_tbDpT10_ENKUlT_T0_E_clISt17integral_constantIbLb0EES16_EEDaS11_S12_EUlS11_E_NS1_11comp_targetILNS1_3genE9ELNS1_11target_archE1100ELNS1_3gpuE3ELNS1_3repE0EEENS1_30default_config_static_selectorELNS0_4arch9wavefront6targetE1EEEvT1_.num_named_barrier, 0
	.set _ZN7rocprim17ROCPRIM_400000_NS6detail17trampoline_kernelINS0_14default_configENS1_25partition_config_selectorILNS1_17partition_subalgoE5ElNS0_10empty_typeEbEEZZNS1_14partition_implILS5_5ELb0ES3_mN6hipcub16HIPCUB_304000_NS21CountingInputIteratorIllEEPS6_NSA_22TransformInputIteratorIb7NonZeroIfEPflEENS0_5tupleIJPlS6_EEENSJ_IJSD_SD_EEES6_SK_JS6_EEE10hipError_tPvRmT3_T4_T5_T6_T7_T9_mT8_P12ihipStream_tbDpT10_ENKUlT_T0_E_clISt17integral_constantIbLb0EES16_EEDaS11_S12_EUlS11_E_NS1_11comp_targetILNS1_3genE9ELNS1_11target_archE1100ELNS1_3gpuE3ELNS1_3repE0EEENS1_30default_config_static_selectorELNS0_4arch9wavefront6targetE1EEEvT1_.private_seg_size, 0
	.set _ZN7rocprim17ROCPRIM_400000_NS6detail17trampoline_kernelINS0_14default_configENS1_25partition_config_selectorILNS1_17partition_subalgoE5ElNS0_10empty_typeEbEEZZNS1_14partition_implILS5_5ELb0ES3_mN6hipcub16HIPCUB_304000_NS21CountingInputIteratorIllEEPS6_NSA_22TransformInputIteratorIb7NonZeroIfEPflEENS0_5tupleIJPlS6_EEENSJ_IJSD_SD_EEES6_SK_JS6_EEE10hipError_tPvRmT3_T4_T5_T6_T7_T9_mT8_P12ihipStream_tbDpT10_ENKUlT_T0_E_clISt17integral_constantIbLb0EES16_EEDaS11_S12_EUlS11_E_NS1_11comp_targetILNS1_3genE9ELNS1_11target_archE1100ELNS1_3gpuE3ELNS1_3repE0EEENS1_30default_config_static_selectorELNS0_4arch9wavefront6targetE1EEEvT1_.uses_vcc, 0
	.set _ZN7rocprim17ROCPRIM_400000_NS6detail17trampoline_kernelINS0_14default_configENS1_25partition_config_selectorILNS1_17partition_subalgoE5ElNS0_10empty_typeEbEEZZNS1_14partition_implILS5_5ELb0ES3_mN6hipcub16HIPCUB_304000_NS21CountingInputIteratorIllEEPS6_NSA_22TransformInputIteratorIb7NonZeroIfEPflEENS0_5tupleIJPlS6_EEENSJ_IJSD_SD_EEES6_SK_JS6_EEE10hipError_tPvRmT3_T4_T5_T6_T7_T9_mT8_P12ihipStream_tbDpT10_ENKUlT_T0_E_clISt17integral_constantIbLb0EES16_EEDaS11_S12_EUlS11_E_NS1_11comp_targetILNS1_3genE9ELNS1_11target_archE1100ELNS1_3gpuE3ELNS1_3repE0EEENS1_30default_config_static_selectorELNS0_4arch9wavefront6targetE1EEEvT1_.uses_flat_scratch, 0
	.set _ZN7rocprim17ROCPRIM_400000_NS6detail17trampoline_kernelINS0_14default_configENS1_25partition_config_selectorILNS1_17partition_subalgoE5ElNS0_10empty_typeEbEEZZNS1_14partition_implILS5_5ELb0ES3_mN6hipcub16HIPCUB_304000_NS21CountingInputIteratorIllEEPS6_NSA_22TransformInputIteratorIb7NonZeroIfEPflEENS0_5tupleIJPlS6_EEENSJ_IJSD_SD_EEES6_SK_JS6_EEE10hipError_tPvRmT3_T4_T5_T6_T7_T9_mT8_P12ihipStream_tbDpT10_ENKUlT_T0_E_clISt17integral_constantIbLb0EES16_EEDaS11_S12_EUlS11_E_NS1_11comp_targetILNS1_3genE9ELNS1_11target_archE1100ELNS1_3gpuE3ELNS1_3repE0EEENS1_30default_config_static_selectorELNS0_4arch9wavefront6targetE1EEEvT1_.has_dyn_sized_stack, 0
	.set _ZN7rocprim17ROCPRIM_400000_NS6detail17trampoline_kernelINS0_14default_configENS1_25partition_config_selectorILNS1_17partition_subalgoE5ElNS0_10empty_typeEbEEZZNS1_14partition_implILS5_5ELb0ES3_mN6hipcub16HIPCUB_304000_NS21CountingInputIteratorIllEEPS6_NSA_22TransformInputIteratorIb7NonZeroIfEPflEENS0_5tupleIJPlS6_EEENSJ_IJSD_SD_EEES6_SK_JS6_EEE10hipError_tPvRmT3_T4_T5_T6_T7_T9_mT8_P12ihipStream_tbDpT10_ENKUlT_T0_E_clISt17integral_constantIbLb0EES16_EEDaS11_S12_EUlS11_E_NS1_11comp_targetILNS1_3genE9ELNS1_11target_archE1100ELNS1_3gpuE3ELNS1_3repE0EEENS1_30default_config_static_selectorELNS0_4arch9wavefront6targetE1EEEvT1_.has_recursion, 0
	.set _ZN7rocprim17ROCPRIM_400000_NS6detail17trampoline_kernelINS0_14default_configENS1_25partition_config_selectorILNS1_17partition_subalgoE5ElNS0_10empty_typeEbEEZZNS1_14partition_implILS5_5ELb0ES3_mN6hipcub16HIPCUB_304000_NS21CountingInputIteratorIllEEPS6_NSA_22TransformInputIteratorIb7NonZeroIfEPflEENS0_5tupleIJPlS6_EEENSJ_IJSD_SD_EEES6_SK_JS6_EEE10hipError_tPvRmT3_T4_T5_T6_T7_T9_mT8_P12ihipStream_tbDpT10_ENKUlT_T0_E_clISt17integral_constantIbLb0EES16_EEDaS11_S12_EUlS11_E_NS1_11comp_targetILNS1_3genE9ELNS1_11target_archE1100ELNS1_3gpuE3ELNS1_3repE0EEENS1_30default_config_static_selectorELNS0_4arch9wavefront6targetE1EEEvT1_.has_indirect_call, 0
	.section	.AMDGPU.csdata,"",@progbits
; Kernel info:
; codeLenInByte = 0
; TotalNumSgprs: 6
; NumVgprs: 0
; NumAgprs: 0
; TotalNumVgprs: 0
; ScratchSize: 0
; MemoryBound: 0
; FloatMode: 240
; IeeeMode: 1
; LDSByteSize: 0 bytes/workgroup (compile time only)
; SGPRBlocks: 0
; VGPRBlocks: 0
; NumSGPRsForWavesPerEU: 6
; NumVGPRsForWavesPerEU: 1
; AccumOffset: 4
; Occupancy: 8
; WaveLimiterHint : 0
; COMPUTE_PGM_RSRC2:SCRATCH_EN: 0
; COMPUTE_PGM_RSRC2:USER_SGPR: 2
; COMPUTE_PGM_RSRC2:TRAP_HANDLER: 0
; COMPUTE_PGM_RSRC2:TGID_X_EN: 1
; COMPUTE_PGM_RSRC2:TGID_Y_EN: 0
; COMPUTE_PGM_RSRC2:TGID_Z_EN: 0
; COMPUTE_PGM_RSRC2:TIDIG_COMP_CNT: 0
; COMPUTE_PGM_RSRC3_GFX90A:ACCUM_OFFSET: 0
; COMPUTE_PGM_RSRC3_GFX90A:TG_SPLIT: 0
	.section	.text._ZN7rocprim17ROCPRIM_400000_NS6detail17trampoline_kernelINS0_14default_configENS1_25partition_config_selectorILNS1_17partition_subalgoE5ElNS0_10empty_typeEbEEZZNS1_14partition_implILS5_5ELb0ES3_mN6hipcub16HIPCUB_304000_NS21CountingInputIteratorIllEEPS6_NSA_22TransformInputIteratorIb7NonZeroIfEPflEENS0_5tupleIJPlS6_EEENSJ_IJSD_SD_EEES6_SK_JS6_EEE10hipError_tPvRmT3_T4_T5_T6_T7_T9_mT8_P12ihipStream_tbDpT10_ENKUlT_T0_E_clISt17integral_constantIbLb0EES16_EEDaS11_S12_EUlS11_E_NS1_11comp_targetILNS1_3genE8ELNS1_11target_archE1030ELNS1_3gpuE2ELNS1_3repE0EEENS1_30default_config_static_selectorELNS0_4arch9wavefront6targetE1EEEvT1_,"axG",@progbits,_ZN7rocprim17ROCPRIM_400000_NS6detail17trampoline_kernelINS0_14default_configENS1_25partition_config_selectorILNS1_17partition_subalgoE5ElNS0_10empty_typeEbEEZZNS1_14partition_implILS5_5ELb0ES3_mN6hipcub16HIPCUB_304000_NS21CountingInputIteratorIllEEPS6_NSA_22TransformInputIteratorIb7NonZeroIfEPflEENS0_5tupleIJPlS6_EEENSJ_IJSD_SD_EEES6_SK_JS6_EEE10hipError_tPvRmT3_T4_T5_T6_T7_T9_mT8_P12ihipStream_tbDpT10_ENKUlT_T0_E_clISt17integral_constantIbLb0EES16_EEDaS11_S12_EUlS11_E_NS1_11comp_targetILNS1_3genE8ELNS1_11target_archE1030ELNS1_3gpuE2ELNS1_3repE0EEENS1_30default_config_static_selectorELNS0_4arch9wavefront6targetE1EEEvT1_,comdat
	.protected	_ZN7rocprim17ROCPRIM_400000_NS6detail17trampoline_kernelINS0_14default_configENS1_25partition_config_selectorILNS1_17partition_subalgoE5ElNS0_10empty_typeEbEEZZNS1_14partition_implILS5_5ELb0ES3_mN6hipcub16HIPCUB_304000_NS21CountingInputIteratorIllEEPS6_NSA_22TransformInputIteratorIb7NonZeroIfEPflEENS0_5tupleIJPlS6_EEENSJ_IJSD_SD_EEES6_SK_JS6_EEE10hipError_tPvRmT3_T4_T5_T6_T7_T9_mT8_P12ihipStream_tbDpT10_ENKUlT_T0_E_clISt17integral_constantIbLb0EES16_EEDaS11_S12_EUlS11_E_NS1_11comp_targetILNS1_3genE8ELNS1_11target_archE1030ELNS1_3gpuE2ELNS1_3repE0EEENS1_30default_config_static_selectorELNS0_4arch9wavefront6targetE1EEEvT1_ ; -- Begin function _ZN7rocprim17ROCPRIM_400000_NS6detail17trampoline_kernelINS0_14default_configENS1_25partition_config_selectorILNS1_17partition_subalgoE5ElNS0_10empty_typeEbEEZZNS1_14partition_implILS5_5ELb0ES3_mN6hipcub16HIPCUB_304000_NS21CountingInputIteratorIllEEPS6_NSA_22TransformInputIteratorIb7NonZeroIfEPflEENS0_5tupleIJPlS6_EEENSJ_IJSD_SD_EEES6_SK_JS6_EEE10hipError_tPvRmT3_T4_T5_T6_T7_T9_mT8_P12ihipStream_tbDpT10_ENKUlT_T0_E_clISt17integral_constantIbLb0EES16_EEDaS11_S12_EUlS11_E_NS1_11comp_targetILNS1_3genE8ELNS1_11target_archE1030ELNS1_3gpuE2ELNS1_3repE0EEENS1_30default_config_static_selectorELNS0_4arch9wavefront6targetE1EEEvT1_
	.globl	_ZN7rocprim17ROCPRIM_400000_NS6detail17trampoline_kernelINS0_14default_configENS1_25partition_config_selectorILNS1_17partition_subalgoE5ElNS0_10empty_typeEbEEZZNS1_14partition_implILS5_5ELb0ES3_mN6hipcub16HIPCUB_304000_NS21CountingInputIteratorIllEEPS6_NSA_22TransformInputIteratorIb7NonZeroIfEPflEENS0_5tupleIJPlS6_EEENSJ_IJSD_SD_EEES6_SK_JS6_EEE10hipError_tPvRmT3_T4_T5_T6_T7_T9_mT8_P12ihipStream_tbDpT10_ENKUlT_T0_E_clISt17integral_constantIbLb0EES16_EEDaS11_S12_EUlS11_E_NS1_11comp_targetILNS1_3genE8ELNS1_11target_archE1030ELNS1_3gpuE2ELNS1_3repE0EEENS1_30default_config_static_selectorELNS0_4arch9wavefront6targetE1EEEvT1_
	.p2align	8
	.type	_ZN7rocprim17ROCPRIM_400000_NS6detail17trampoline_kernelINS0_14default_configENS1_25partition_config_selectorILNS1_17partition_subalgoE5ElNS0_10empty_typeEbEEZZNS1_14partition_implILS5_5ELb0ES3_mN6hipcub16HIPCUB_304000_NS21CountingInputIteratorIllEEPS6_NSA_22TransformInputIteratorIb7NonZeroIfEPflEENS0_5tupleIJPlS6_EEENSJ_IJSD_SD_EEES6_SK_JS6_EEE10hipError_tPvRmT3_T4_T5_T6_T7_T9_mT8_P12ihipStream_tbDpT10_ENKUlT_T0_E_clISt17integral_constantIbLb0EES16_EEDaS11_S12_EUlS11_E_NS1_11comp_targetILNS1_3genE8ELNS1_11target_archE1030ELNS1_3gpuE2ELNS1_3repE0EEENS1_30default_config_static_selectorELNS0_4arch9wavefront6targetE1EEEvT1_,@function
_ZN7rocprim17ROCPRIM_400000_NS6detail17trampoline_kernelINS0_14default_configENS1_25partition_config_selectorILNS1_17partition_subalgoE5ElNS0_10empty_typeEbEEZZNS1_14partition_implILS5_5ELb0ES3_mN6hipcub16HIPCUB_304000_NS21CountingInputIteratorIllEEPS6_NSA_22TransformInputIteratorIb7NonZeroIfEPflEENS0_5tupleIJPlS6_EEENSJ_IJSD_SD_EEES6_SK_JS6_EEE10hipError_tPvRmT3_T4_T5_T6_T7_T9_mT8_P12ihipStream_tbDpT10_ENKUlT_T0_E_clISt17integral_constantIbLb0EES16_EEDaS11_S12_EUlS11_E_NS1_11comp_targetILNS1_3genE8ELNS1_11target_archE1030ELNS1_3gpuE2ELNS1_3repE0EEENS1_30default_config_static_selectorELNS0_4arch9wavefront6targetE1EEEvT1_: ; @_ZN7rocprim17ROCPRIM_400000_NS6detail17trampoline_kernelINS0_14default_configENS1_25partition_config_selectorILNS1_17partition_subalgoE5ElNS0_10empty_typeEbEEZZNS1_14partition_implILS5_5ELb0ES3_mN6hipcub16HIPCUB_304000_NS21CountingInputIteratorIllEEPS6_NSA_22TransformInputIteratorIb7NonZeroIfEPflEENS0_5tupleIJPlS6_EEENSJ_IJSD_SD_EEES6_SK_JS6_EEE10hipError_tPvRmT3_T4_T5_T6_T7_T9_mT8_P12ihipStream_tbDpT10_ENKUlT_T0_E_clISt17integral_constantIbLb0EES16_EEDaS11_S12_EUlS11_E_NS1_11comp_targetILNS1_3genE8ELNS1_11target_archE1030ELNS1_3gpuE2ELNS1_3repE0EEENS1_30default_config_static_selectorELNS0_4arch9wavefront6targetE1EEEvT1_
; %bb.0:
	.section	.rodata,"a",@progbits
	.p2align	6, 0x0
	.amdhsa_kernel _ZN7rocprim17ROCPRIM_400000_NS6detail17trampoline_kernelINS0_14default_configENS1_25partition_config_selectorILNS1_17partition_subalgoE5ElNS0_10empty_typeEbEEZZNS1_14partition_implILS5_5ELb0ES3_mN6hipcub16HIPCUB_304000_NS21CountingInputIteratorIllEEPS6_NSA_22TransformInputIteratorIb7NonZeroIfEPflEENS0_5tupleIJPlS6_EEENSJ_IJSD_SD_EEES6_SK_JS6_EEE10hipError_tPvRmT3_T4_T5_T6_T7_T9_mT8_P12ihipStream_tbDpT10_ENKUlT_T0_E_clISt17integral_constantIbLb0EES16_EEDaS11_S12_EUlS11_E_NS1_11comp_targetILNS1_3genE8ELNS1_11target_archE1030ELNS1_3gpuE2ELNS1_3repE0EEENS1_30default_config_static_selectorELNS0_4arch9wavefront6targetE1EEEvT1_
		.amdhsa_group_segment_fixed_size 0
		.amdhsa_private_segment_fixed_size 0
		.amdhsa_kernarg_size 120
		.amdhsa_user_sgpr_count 2
		.amdhsa_user_sgpr_dispatch_ptr 0
		.amdhsa_user_sgpr_queue_ptr 0
		.amdhsa_user_sgpr_kernarg_segment_ptr 1
		.amdhsa_user_sgpr_dispatch_id 0
		.amdhsa_user_sgpr_kernarg_preload_length 0
		.amdhsa_user_sgpr_kernarg_preload_offset 0
		.amdhsa_user_sgpr_private_segment_size 0
		.amdhsa_uses_dynamic_stack 0
		.amdhsa_enable_private_segment 0
		.amdhsa_system_sgpr_workgroup_id_x 1
		.amdhsa_system_sgpr_workgroup_id_y 0
		.amdhsa_system_sgpr_workgroup_id_z 0
		.amdhsa_system_sgpr_workgroup_info 0
		.amdhsa_system_vgpr_workitem_id 0
		.amdhsa_next_free_vgpr 1
		.amdhsa_next_free_sgpr 0
		.amdhsa_accum_offset 4
		.amdhsa_reserve_vcc 0
		.amdhsa_float_round_mode_32 0
		.amdhsa_float_round_mode_16_64 0
		.amdhsa_float_denorm_mode_32 3
		.amdhsa_float_denorm_mode_16_64 3
		.amdhsa_dx10_clamp 1
		.amdhsa_ieee_mode 1
		.amdhsa_fp16_overflow 0
		.amdhsa_tg_split 0
		.amdhsa_exception_fp_ieee_invalid_op 0
		.amdhsa_exception_fp_denorm_src 0
		.amdhsa_exception_fp_ieee_div_zero 0
		.amdhsa_exception_fp_ieee_overflow 0
		.amdhsa_exception_fp_ieee_underflow 0
		.amdhsa_exception_fp_ieee_inexact 0
		.amdhsa_exception_int_div_zero 0
	.end_amdhsa_kernel
	.section	.text._ZN7rocprim17ROCPRIM_400000_NS6detail17trampoline_kernelINS0_14default_configENS1_25partition_config_selectorILNS1_17partition_subalgoE5ElNS0_10empty_typeEbEEZZNS1_14partition_implILS5_5ELb0ES3_mN6hipcub16HIPCUB_304000_NS21CountingInputIteratorIllEEPS6_NSA_22TransformInputIteratorIb7NonZeroIfEPflEENS0_5tupleIJPlS6_EEENSJ_IJSD_SD_EEES6_SK_JS6_EEE10hipError_tPvRmT3_T4_T5_T6_T7_T9_mT8_P12ihipStream_tbDpT10_ENKUlT_T0_E_clISt17integral_constantIbLb0EES16_EEDaS11_S12_EUlS11_E_NS1_11comp_targetILNS1_3genE8ELNS1_11target_archE1030ELNS1_3gpuE2ELNS1_3repE0EEENS1_30default_config_static_selectorELNS0_4arch9wavefront6targetE1EEEvT1_,"axG",@progbits,_ZN7rocprim17ROCPRIM_400000_NS6detail17trampoline_kernelINS0_14default_configENS1_25partition_config_selectorILNS1_17partition_subalgoE5ElNS0_10empty_typeEbEEZZNS1_14partition_implILS5_5ELb0ES3_mN6hipcub16HIPCUB_304000_NS21CountingInputIteratorIllEEPS6_NSA_22TransformInputIteratorIb7NonZeroIfEPflEENS0_5tupleIJPlS6_EEENSJ_IJSD_SD_EEES6_SK_JS6_EEE10hipError_tPvRmT3_T4_T5_T6_T7_T9_mT8_P12ihipStream_tbDpT10_ENKUlT_T0_E_clISt17integral_constantIbLb0EES16_EEDaS11_S12_EUlS11_E_NS1_11comp_targetILNS1_3genE8ELNS1_11target_archE1030ELNS1_3gpuE2ELNS1_3repE0EEENS1_30default_config_static_selectorELNS0_4arch9wavefront6targetE1EEEvT1_,comdat
.Lfunc_end260:
	.size	_ZN7rocprim17ROCPRIM_400000_NS6detail17trampoline_kernelINS0_14default_configENS1_25partition_config_selectorILNS1_17partition_subalgoE5ElNS0_10empty_typeEbEEZZNS1_14partition_implILS5_5ELb0ES3_mN6hipcub16HIPCUB_304000_NS21CountingInputIteratorIllEEPS6_NSA_22TransformInputIteratorIb7NonZeroIfEPflEENS0_5tupleIJPlS6_EEENSJ_IJSD_SD_EEES6_SK_JS6_EEE10hipError_tPvRmT3_T4_T5_T6_T7_T9_mT8_P12ihipStream_tbDpT10_ENKUlT_T0_E_clISt17integral_constantIbLb0EES16_EEDaS11_S12_EUlS11_E_NS1_11comp_targetILNS1_3genE8ELNS1_11target_archE1030ELNS1_3gpuE2ELNS1_3repE0EEENS1_30default_config_static_selectorELNS0_4arch9wavefront6targetE1EEEvT1_, .Lfunc_end260-_ZN7rocprim17ROCPRIM_400000_NS6detail17trampoline_kernelINS0_14default_configENS1_25partition_config_selectorILNS1_17partition_subalgoE5ElNS0_10empty_typeEbEEZZNS1_14partition_implILS5_5ELb0ES3_mN6hipcub16HIPCUB_304000_NS21CountingInputIteratorIllEEPS6_NSA_22TransformInputIteratorIb7NonZeroIfEPflEENS0_5tupleIJPlS6_EEENSJ_IJSD_SD_EEES6_SK_JS6_EEE10hipError_tPvRmT3_T4_T5_T6_T7_T9_mT8_P12ihipStream_tbDpT10_ENKUlT_T0_E_clISt17integral_constantIbLb0EES16_EEDaS11_S12_EUlS11_E_NS1_11comp_targetILNS1_3genE8ELNS1_11target_archE1030ELNS1_3gpuE2ELNS1_3repE0EEENS1_30default_config_static_selectorELNS0_4arch9wavefront6targetE1EEEvT1_
                                        ; -- End function
	.set _ZN7rocprim17ROCPRIM_400000_NS6detail17trampoline_kernelINS0_14default_configENS1_25partition_config_selectorILNS1_17partition_subalgoE5ElNS0_10empty_typeEbEEZZNS1_14partition_implILS5_5ELb0ES3_mN6hipcub16HIPCUB_304000_NS21CountingInputIteratorIllEEPS6_NSA_22TransformInputIteratorIb7NonZeroIfEPflEENS0_5tupleIJPlS6_EEENSJ_IJSD_SD_EEES6_SK_JS6_EEE10hipError_tPvRmT3_T4_T5_T6_T7_T9_mT8_P12ihipStream_tbDpT10_ENKUlT_T0_E_clISt17integral_constantIbLb0EES16_EEDaS11_S12_EUlS11_E_NS1_11comp_targetILNS1_3genE8ELNS1_11target_archE1030ELNS1_3gpuE2ELNS1_3repE0EEENS1_30default_config_static_selectorELNS0_4arch9wavefront6targetE1EEEvT1_.num_vgpr, 0
	.set _ZN7rocprim17ROCPRIM_400000_NS6detail17trampoline_kernelINS0_14default_configENS1_25partition_config_selectorILNS1_17partition_subalgoE5ElNS0_10empty_typeEbEEZZNS1_14partition_implILS5_5ELb0ES3_mN6hipcub16HIPCUB_304000_NS21CountingInputIteratorIllEEPS6_NSA_22TransformInputIteratorIb7NonZeroIfEPflEENS0_5tupleIJPlS6_EEENSJ_IJSD_SD_EEES6_SK_JS6_EEE10hipError_tPvRmT3_T4_T5_T6_T7_T9_mT8_P12ihipStream_tbDpT10_ENKUlT_T0_E_clISt17integral_constantIbLb0EES16_EEDaS11_S12_EUlS11_E_NS1_11comp_targetILNS1_3genE8ELNS1_11target_archE1030ELNS1_3gpuE2ELNS1_3repE0EEENS1_30default_config_static_selectorELNS0_4arch9wavefront6targetE1EEEvT1_.num_agpr, 0
	.set _ZN7rocprim17ROCPRIM_400000_NS6detail17trampoline_kernelINS0_14default_configENS1_25partition_config_selectorILNS1_17partition_subalgoE5ElNS0_10empty_typeEbEEZZNS1_14partition_implILS5_5ELb0ES3_mN6hipcub16HIPCUB_304000_NS21CountingInputIteratorIllEEPS6_NSA_22TransformInputIteratorIb7NonZeroIfEPflEENS0_5tupleIJPlS6_EEENSJ_IJSD_SD_EEES6_SK_JS6_EEE10hipError_tPvRmT3_T4_T5_T6_T7_T9_mT8_P12ihipStream_tbDpT10_ENKUlT_T0_E_clISt17integral_constantIbLb0EES16_EEDaS11_S12_EUlS11_E_NS1_11comp_targetILNS1_3genE8ELNS1_11target_archE1030ELNS1_3gpuE2ELNS1_3repE0EEENS1_30default_config_static_selectorELNS0_4arch9wavefront6targetE1EEEvT1_.numbered_sgpr, 0
	.set _ZN7rocprim17ROCPRIM_400000_NS6detail17trampoline_kernelINS0_14default_configENS1_25partition_config_selectorILNS1_17partition_subalgoE5ElNS0_10empty_typeEbEEZZNS1_14partition_implILS5_5ELb0ES3_mN6hipcub16HIPCUB_304000_NS21CountingInputIteratorIllEEPS6_NSA_22TransformInputIteratorIb7NonZeroIfEPflEENS0_5tupleIJPlS6_EEENSJ_IJSD_SD_EEES6_SK_JS6_EEE10hipError_tPvRmT3_T4_T5_T6_T7_T9_mT8_P12ihipStream_tbDpT10_ENKUlT_T0_E_clISt17integral_constantIbLb0EES16_EEDaS11_S12_EUlS11_E_NS1_11comp_targetILNS1_3genE8ELNS1_11target_archE1030ELNS1_3gpuE2ELNS1_3repE0EEENS1_30default_config_static_selectorELNS0_4arch9wavefront6targetE1EEEvT1_.num_named_barrier, 0
	.set _ZN7rocprim17ROCPRIM_400000_NS6detail17trampoline_kernelINS0_14default_configENS1_25partition_config_selectorILNS1_17partition_subalgoE5ElNS0_10empty_typeEbEEZZNS1_14partition_implILS5_5ELb0ES3_mN6hipcub16HIPCUB_304000_NS21CountingInputIteratorIllEEPS6_NSA_22TransformInputIteratorIb7NonZeroIfEPflEENS0_5tupleIJPlS6_EEENSJ_IJSD_SD_EEES6_SK_JS6_EEE10hipError_tPvRmT3_T4_T5_T6_T7_T9_mT8_P12ihipStream_tbDpT10_ENKUlT_T0_E_clISt17integral_constantIbLb0EES16_EEDaS11_S12_EUlS11_E_NS1_11comp_targetILNS1_3genE8ELNS1_11target_archE1030ELNS1_3gpuE2ELNS1_3repE0EEENS1_30default_config_static_selectorELNS0_4arch9wavefront6targetE1EEEvT1_.private_seg_size, 0
	.set _ZN7rocprim17ROCPRIM_400000_NS6detail17trampoline_kernelINS0_14default_configENS1_25partition_config_selectorILNS1_17partition_subalgoE5ElNS0_10empty_typeEbEEZZNS1_14partition_implILS5_5ELb0ES3_mN6hipcub16HIPCUB_304000_NS21CountingInputIteratorIllEEPS6_NSA_22TransformInputIteratorIb7NonZeroIfEPflEENS0_5tupleIJPlS6_EEENSJ_IJSD_SD_EEES6_SK_JS6_EEE10hipError_tPvRmT3_T4_T5_T6_T7_T9_mT8_P12ihipStream_tbDpT10_ENKUlT_T0_E_clISt17integral_constantIbLb0EES16_EEDaS11_S12_EUlS11_E_NS1_11comp_targetILNS1_3genE8ELNS1_11target_archE1030ELNS1_3gpuE2ELNS1_3repE0EEENS1_30default_config_static_selectorELNS0_4arch9wavefront6targetE1EEEvT1_.uses_vcc, 0
	.set _ZN7rocprim17ROCPRIM_400000_NS6detail17trampoline_kernelINS0_14default_configENS1_25partition_config_selectorILNS1_17partition_subalgoE5ElNS0_10empty_typeEbEEZZNS1_14partition_implILS5_5ELb0ES3_mN6hipcub16HIPCUB_304000_NS21CountingInputIteratorIllEEPS6_NSA_22TransformInputIteratorIb7NonZeroIfEPflEENS0_5tupleIJPlS6_EEENSJ_IJSD_SD_EEES6_SK_JS6_EEE10hipError_tPvRmT3_T4_T5_T6_T7_T9_mT8_P12ihipStream_tbDpT10_ENKUlT_T0_E_clISt17integral_constantIbLb0EES16_EEDaS11_S12_EUlS11_E_NS1_11comp_targetILNS1_3genE8ELNS1_11target_archE1030ELNS1_3gpuE2ELNS1_3repE0EEENS1_30default_config_static_selectorELNS0_4arch9wavefront6targetE1EEEvT1_.uses_flat_scratch, 0
	.set _ZN7rocprim17ROCPRIM_400000_NS6detail17trampoline_kernelINS0_14default_configENS1_25partition_config_selectorILNS1_17partition_subalgoE5ElNS0_10empty_typeEbEEZZNS1_14partition_implILS5_5ELb0ES3_mN6hipcub16HIPCUB_304000_NS21CountingInputIteratorIllEEPS6_NSA_22TransformInputIteratorIb7NonZeroIfEPflEENS0_5tupleIJPlS6_EEENSJ_IJSD_SD_EEES6_SK_JS6_EEE10hipError_tPvRmT3_T4_T5_T6_T7_T9_mT8_P12ihipStream_tbDpT10_ENKUlT_T0_E_clISt17integral_constantIbLb0EES16_EEDaS11_S12_EUlS11_E_NS1_11comp_targetILNS1_3genE8ELNS1_11target_archE1030ELNS1_3gpuE2ELNS1_3repE0EEENS1_30default_config_static_selectorELNS0_4arch9wavefront6targetE1EEEvT1_.has_dyn_sized_stack, 0
	.set _ZN7rocprim17ROCPRIM_400000_NS6detail17trampoline_kernelINS0_14default_configENS1_25partition_config_selectorILNS1_17partition_subalgoE5ElNS0_10empty_typeEbEEZZNS1_14partition_implILS5_5ELb0ES3_mN6hipcub16HIPCUB_304000_NS21CountingInputIteratorIllEEPS6_NSA_22TransformInputIteratorIb7NonZeroIfEPflEENS0_5tupleIJPlS6_EEENSJ_IJSD_SD_EEES6_SK_JS6_EEE10hipError_tPvRmT3_T4_T5_T6_T7_T9_mT8_P12ihipStream_tbDpT10_ENKUlT_T0_E_clISt17integral_constantIbLb0EES16_EEDaS11_S12_EUlS11_E_NS1_11comp_targetILNS1_3genE8ELNS1_11target_archE1030ELNS1_3gpuE2ELNS1_3repE0EEENS1_30default_config_static_selectorELNS0_4arch9wavefront6targetE1EEEvT1_.has_recursion, 0
	.set _ZN7rocprim17ROCPRIM_400000_NS6detail17trampoline_kernelINS0_14default_configENS1_25partition_config_selectorILNS1_17partition_subalgoE5ElNS0_10empty_typeEbEEZZNS1_14partition_implILS5_5ELb0ES3_mN6hipcub16HIPCUB_304000_NS21CountingInputIteratorIllEEPS6_NSA_22TransformInputIteratorIb7NonZeroIfEPflEENS0_5tupleIJPlS6_EEENSJ_IJSD_SD_EEES6_SK_JS6_EEE10hipError_tPvRmT3_T4_T5_T6_T7_T9_mT8_P12ihipStream_tbDpT10_ENKUlT_T0_E_clISt17integral_constantIbLb0EES16_EEDaS11_S12_EUlS11_E_NS1_11comp_targetILNS1_3genE8ELNS1_11target_archE1030ELNS1_3gpuE2ELNS1_3repE0EEENS1_30default_config_static_selectorELNS0_4arch9wavefront6targetE1EEEvT1_.has_indirect_call, 0
	.section	.AMDGPU.csdata,"",@progbits
; Kernel info:
; codeLenInByte = 0
; TotalNumSgprs: 6
; NumVgprs: 0
; NumAgprs: 0
; TotalNumVgprs: 0
; ScratchSize: 0
; MemoryBound: 0
; FloatMode: 240
; IeeeMode: 1
; LDSByteSize: 0 bytes/workgroup (compile time only)
; SGPRBlocks: 0
; VGPRBlocks: 0
; NumSGPRsForWavesPerEU: 6
; NumVGPRsForWavesPerEU: 1
; AccumOffset: 4
; Occupancy: 8
; WaveLimiterHint : 0
; COMPUTE_PGM_RSRC2:SCRATCH_EN: 0
; COMPUTE_PGM_RSRC2:USER_SGPR: 2
; COMPUTE_PGM_RSRC2:TRAP_HANDLER: 0
; COMPUTE_PGM_RSRC2:TGID_X_EN: 1
; COMPUTE_PGM_RSRC2:TGID_Y_EN: 0
; COMPUTE_PGM_RSRC2:TGID_Z_EN: 0
; COMPUTE_PGM_RSRC2:TIDIG_COMP_CNT: 0
; COMPUTE_PGM_RSRC3_GFX90A:ACCUM_OFFSET: 0
; COMPUTE_PGM_RSRC3_GFX90A:TG_SPLIT: 0
	.section	.text._ZN7rocprim17ROCPRIM_400000_NS6detail17trampoline_kernelINS0_14default_configENS1_25partition_config_selectorILNS1_17partition_subalgoE5ElNS0_10empty_typeEbEEZZNS1_14partition_implILS5_5ELb0ES3_mN6hipcub16HIPCUB_304000_NS21CountingInputIteratorIllEEPS6_NSA_22TransformInputIteratorIb7NonZeroIfEPflEENS0_5tupleIJPlS6_EEENSJ_IJSD_SD_EEES6_SK_JS6_EEE10hipError_tPvRmT3_T4_T5_T6_T7_T9_mT8_P12ihipStream_tbDpT10_ENKUlT_T0_E_clISt17integral_constantIbLb1EES16_EEDaS11_S12_EUlS11_E_NS1_11comp_targetILNS1_3genE0ELNS1_11target_archE4294967295ELNS1_3gpuE0ELNS1_3repE0EEENS1_30default_config_static_selectorELNS0_4arch9wavefront6targetE1EEEvT1_,"axG",@progbits,_ZN7rocprim17ROCPRIM_400000_NS6detail17trampoline_kernelINS0_14default_configENS1_25partition_config_selectorILNS1_17partition_subalgoE5ElNS0_10empty_typeEbEEZZNS1_14partition_implILS5_5ELb0ES3_mN6hipcub16HIPCUB_304000_NS21CountingInputIteratorIllEEPS6_NSA_22TransformInputIteratorIb7NonZeroIfEPflEENS0_5tupleIJPlS6_EEENSJ_IJSD_SD_EEES6_SK_JS6_EEE10hipError_tPvRmT3_T4_T5_T6_T7_T9_mT8_P12ihipStream_tbDpT10_ENKUlT_T0_E_clISt17integral_constantIbLb1EES16_EEDaS11_S12_EUlS11_E_NS1_11comp_targetILNS1_3genE0ELNS1_11target_archE4294967295ELNS1_3gpuE0ELNS1_3repE0EEENS1_30default_config_static_selectorELNS0_4arch9wavefront6targetE1EEEvT1_,comdat
	.protected	_ZN7rocprim17ROCPRIM_400000_NS6detail17trampoline_kernelINS0_14default_configENS1_25partition_config_selectorILNS1_17partition_subalgoE5ElNS0_10empty_typeEbEEZZNS1_14partition_implILS5_5ELb0ES3_mN6hipcub16HIPCUB_304000_NS21CountingInputIteratorIllEEPS6_NSA_22TransformInputIteratorIb7NonZeroIfEPflEENS0_5tupleIJPlS6_EEENSJ_IJSD_SD_EEES6_SK_JS6_EEE10hipError_tPvRmT3_T4_T5_T6_T7_T9_mT8_P12ihipStream_tbDpT10_ENKUlT_T0_E_clISt17integral_constantIbLb1EES16_EEDaS11_S12_EUlS11_E_NS1_11comp_targetILNS1_3genE0ELNS1_11target_archE4294967295ELNS1_3gpuE0ELNS1_3repE0EEENS1_30default_config_static_selectorELNS0_4arch9wavefront6targetE1EEEvT1_ ; -- Begin function _ZN7rocprim17ROCPRIM_400000_NS6detail17trampoline_kernelINS0_14default_configENS1_25partition_config_selectorILNS1_17partition_subalgoE5ElNS0_10empty_typeEbEEZZNS1_14partition_implILS5_5ELb0ES3_mN6hipcub16HIPCUB_304000_NS21CountingInputIteratorIllEEPS6_NSA_22TransformInputIteratorIb7NonZeroIfEPflEENS0_5tupleIJPlS6_EEENSJ_IJSD_SD_EEES6_SK_JS6_EEE10hipError_tPvRmT3_T4_T5_T6_T7_T9_mT8_P12ihipStream_tbDpT10_ENKUlT_T0_E_clISt17integral_constantIbLb1EES16_EEDaS11_S12_EUlS11_E_NS1_11comp_targetILNS1_3genE0ELNS1_11target_archE4294967295ELNS1_3gpuE0ELNS1_3repE0EEENS1_30default_config_static_selectorELNS0_4arch9wavefront6targetE1EEEvT1_
	.globl	_ZN7rocprim17ROCPRIM_400000_NS6detail17trampoline_kernelINS0_14default_configENS1_25partition_config_selectorILNS1_17partition_subalgoE5ElNS0_10empty_typeEbEEZZNS1_14partition_implILS5_5ELb0ES3_mN6hipcub16HIPCUB_304000_NS21CountingInputIteratorIllEEPS6_NSA_22TransformInputIteratorIb7NonZeroIfEPflEENS0_5tupleIJPlS6_EEENSJ_IJSD_SD_EEES6_SK_JS6_EEE10hipError_tPvRmT3_T4_T5_T6_T7_T9_mT8_P12ihipStream_tbDpT10_ENKUlT_T0_E_clISt17integral_constantIbLb1EES16_EEDaS11_S12_EUlS11_E_NS1_11comp_targetILNS1_3genE0ELNS1_11target_archE4294967295ELNS1_3gpuE0ELNS1_3repE0EEENS1_30default_config_static_selectorELNS0_4arch9wavefront6targetE1EEEvT1_
	.p2align	8
	.type	_ZN7rocprim17ROCPRIM_400000_NS6detail17trampoline_kernelINS0_14default_configENS1_25partition_config_selectorILNS1_17partition_subalgoE5ElNS0_10empty_typeEbEEZZNS1_14partition_implILS5_5ELb0ES3_mN6hipcub16HIPCUB_304000_NS21CountingInputIteratorIllEEPS6_NSA_22TransformInputIteratorIb7NonZeroIfEPflEENS0_5tupleIJPlS6_EEENSJ_IJSD_SD_EEES6_SK_JS6_EEE10hipError_tPvRmT3_T4_T5_T6_T7_T9_mT8_P12ihipStream_tbDpT10_ENKUlT_T0_E_clISt17integral_constantIbLb1EES16_EEDaS11_S12_EUlS11_E_NS1_11comp_targetILNS1_3genE0ELNS1_11target_archE4294967295ELNS1_3gpuE0ELNS1_3repE0EEENS1_30default_config_static_selectorELNS0_4arch9wavefront6targetE1EEEvT1_,@function
_ZN7rocprim17ROCPRIM_400000_NS6detail17trampoline_kernelINS0_14default_configENS1_25partition_config_selectorILNS1_17partition_subalgoE5ElNS0_10empty_typeEbEEZZNS1_14partition_implILS5_5ELb0ES3_mN6hipcub16HIPCUB_304000_NS21CountingInputIteratorIllEEPS6_NSA_22TransformInputIteratorIb7NonZeroIfEPflEENS0_5tupleIJPlS6_EEENSJ_IJSD_SD_EEES6_SK_JS6_EEE10hipError_tPvRmT3_T4_T5_T6_T7_T9_mT8_P12ihipStream_tbDpT10_ENKUlT_T0_E_clISt17integral_constantIbLb1EES16_EEDaS11_S12_EUlS11_E_NS1_11comp_targetILNS1_3genE0ELNS1_11target_archE4294967295ELNS1_3gpuE0ELNS1_3repE0EEENS1_30default_config_static_selectorELNS0_4arch9wavefront6targetE1EEEvT1_: ; @_ZN7rocprim17ROCPRIM_400000_NS6detail17trampoline_kernelINS0_14default_configENS1_25partition_config_selectorILNS1_17partition_subalgoE5ElNS0_10empty_typeEbEEZZNS1_14partition_implILS5_5ELb0ES3_mN6hipcub16HIPCUB_304000_NS21CountingInputIteratorIllEEPS6_NSA_22TransformInputIteratorIb7NonZeroIfEPflEENS0_5tupleIJPlS6_EEENSJ_IJSD_SD_EEES6_SK_JS6_EEE10hipError_tPvRmT3_T4_T5_T6_T7_T9_mT8_P12ihipStream_tbDpT10_ENKUlT_T0_E_clISt17integral_constantIbLb1EES16_EEDaS11_S12_EUlS11_E_NS1_11comp_targetILNS1_3genE0ELNS1_11target_archE4294967295ELNS1_3gpuE0ELNS1_3repE0EEENS1_30default_config_static_selectorELNS0_4arch9wavefront6targetE1EEEvT1_
; %bb.0:
	s_endpgm
	.section	.rodata,"a",@progbits
	.p2align	6, 0x0
	.amdhsa_kernel _ZN7rocprim17ROCPRIM_400000_NS6detail17trampoline_kernelINS0_14default_configENS1_25partition_config_selectorILNS1_17partition_subalgoE5ElNS0_10empty_typeEbEEZZNS1_14partition_implILS5_5ELb0ES3_mN6hipcub16HIPCUB_304000_NS21CountingInputIteratorIllEEPS6_NSA_22TransformInputIteratorIb7NonZeroIfEPflEENS0_5tupleIJPlS6_EEENSJ_IJSD_SD_EEES6_SK_JS6_EEE10hipError_tPvRmT3_T4_T5_T6_T7_T9_mT8_P12ihipStream_tbDpT10_ENKUlT_T0_E_clISt17integral_constantIbLb1EES16_EEDaS11_S12_EUlS11_E_NS1_11comp_targetILNS1_3genE0ELNS1_11target_archE4294967295ELNS1_3gpuE0ELNS1_3repE0EEENS1_30default_config_static_selectorELNS0_4arch9wavefront6targetE1EEEvT1_
		.amdhsa_group_segment_fixed_size 0
		.amdhsa_private_segment_fixed_size 0
		.amdhsa_kernarg_size 136
		.amdhsa_user_sgpr_count 2
		.amdhsa_user_sgpr_dispatch_ptr 0
		.amdhsa_user_sgpr_queue_ptr 0
		.amdhsa_user_sgpr_kernarg_segment_ptr 1
		.amdhsa_user_sgpr_dispatch_id 0
		.amdhsa_user_sgpr_kernarg_preload_length 0
		.amdhsa_user_sgpr_kernarg_preload_offset 0
		.amdhsa_user_sgpr_private_segment_size 0
		.amdhsa_uses_dynamic_stack 0
		.amdhsa_enable_private_segment 0
		.amdhsa_system_sgpr_workgroup_id_x 1
		.amdhsa_system_sgpr_workgroup_id_y 0
		.amdhsa_system_sgpr_workgroup_id_z 0
		.amdhsa_system_sgpr_workgroup_info 0
		.amdhsa_system_vgpr_workitem_id 0
		.amdhsa_next_free_vgpr 1
		.amdhsa_next_free_sgpr 0
		.amdhsa_accum_offset 4
		.amdhsa_reserve_vcc 0
		.amdhsa_float_round_mode_32 0
		.amdhsa_float_round_mode_16_64 0
		.amdhsa_float_denorm_mode_32 3
		.amdhsa_float_denorm_mode_16_64 3
		.amdhsa_dx10_clamp 1
		.amdhsa_ieee_mode 1
		.amdhsa_fp16_overflow 0
		.amdhsa_tg_split 0
		.amdhsa_exception_fp_ieee_invalid_op 0
		.amdhsa_exception_fp_denorm_src 0
		.amdhsa_exception_fp_ieee_div_zero 0
		.amdhsa_exception_fp_ieee_overflow 0
		.amdhsa_exception_fp_ieee_underflow 0
		.amdhsa_exception_fp_ieee_inexact 0
		.amdhsa_exception_int_div_zero 0
	.end_amdhsa_kernel
	.section	.text._ZN7rocprim17ROCPRIM_400000_NS6detail17trampoline_kernelINS0_14default_configENS1_25partition_config_selectorILNS1_17partition_subalgoE5ElNS0_10empty_typeEbEEZZNS1_14partition_implILS5_5ELb0ES3_mN6hipcub16HIPCUB_304000_NS21CountingInputIteratorIllEEPS6_NSA_22TransformInputIteratorIb7NonZeroIfEPflEENS0_5tupleIJPlS6_EEENSJ_IJSD_SD_EEES6_SK_JS6_EEE10hipError_tPvRmT3_T4_T5_T6_T7_T9_mT8_P12ihipStream_tbDpT10_ENKUlT_T0_E_clISt17integral_constantIbLb1EES16_EEDaS11_S12_EUlS11_E_NS1_11comp_targetILNS1_3genE0ELNS1_11target_archE4294967295ELNS1_3gpuE0ELNS1_3repE0EEENS1_30default_config_static_selectorELNS0_4arch9wavefront6targetE1EEEvT1_,"axG",@progbits,_ZN7rocprim17ROCPRIM_400000_NS6detail17trampoline_kernelINS0_14default_configENS1_25partition_config_selectorILNS1_17partition_subalgoE5ElNS0_10empty_typeEbEEZZNS1_14partition_implILS5_5ELb0ES3_mN6hipcub16HIPCUB_304000_NS21CountingInputIteratorIllEEPS6_NSA_22TransformInputIteratorIb7NonZeroIfEPflEENS0_5tupleIJPlS6_EEENSJ_IJSD_SD_EEES6_SK_JS6_EEE10hipError_tPvRmT3_T4_T5_T6_T7_T9_mT8_P12ihipStream_tbDpT10_ENKUlT_T0_E_clISt17integral_constantIbLb1EES16_EEDaS11_S12_EUlS11_E_NS1_11comp_targetILNS1_3genE0ELNS1_11target_archE4294967295ELNS1_3gpuE0ELNS1_3repE0EEENS1_30default_config_static_selectorELNS0_4arch9wavefront6targetE1EEEvT1_,comdat
.Lfunc_end261:
	.size	_ZN7rocprim17ROCPRIM_400000_NS6detail17trampoline_kernelINS0_14default_configENS1_25partition_config_selectorILNS1_17partition_subalgoE5ElNS0_10empty_typeEbEEZZNS1_14partition_implILS5_5ELb0ES3_mN6hipcub16HIPCUB_304000_NS21CountingInputIteratorIllEEPS6_NSA_22TransformInputIteratorIb7NonZeroIfEPflEENS0_5tupleIJPlS6_EEENSJ_IJSD_SD_EEES6_SK_JS6_EEE10hipError_tPvRmT3_T4_T5_T6_T7_T9_mT8_P12ihipStream_tbDpT10_ENKUlT_T0_E_clISt17integral_constantIbLb1EES16_EEDaS11_S12_EUlS11_E_NS1_11comp_targetILNS1_3genE0ELNS1_11target_archE4294967295ELNS1_3gpuE0ELNS1_3repE0EEENS1_30default_config_static_selectorELNS0_4arch9wavefront6targetE1EEEvT1_, .Lfunc_end261-_ZN7rocprim17ROCPRIM_400000_NS6detail17trampoline_kernelINS0_14default_configENS1_25partition_config_selectorILNS1_17partition_subalgoE5ElNS0_10empty_typeEbEEZZNS1_14partition_implILS5_5ELb0ES3_mN6hipcub16HIPCUB_304000_NS21CountingInputIteratorIllEEPS6_NSA_22TransformInputIteratorIb7NonZeroIfEPflEENS0_5tupleIJPlS6_EEENSJ_IJSD_SD_EEES6_SK_JS6_EEE10hipError_tPvRmT3_T4_T5_T6_T7_T9_mT8_P12ihipStream_tbDpT10_ENKUlT_T0_E_clISt17integral_constantIbLb1EES16_EEDaS11_S12_EUlS11_E_NS1_11comp_targetILNS1_3genE0ELNS1_11target_archE4294967295ELNS1_3gpuE0ELNS1_3repE0EEENS1_30default_config_static_selectorELNS0_4arch9wavefront6targetE1EEEvT1_
                                        ; -- End function
	.set _ZN7rocprim17ROCPRIM_400000_NS6detail17trampoline_kernelINS0_14default_configENS1_25partition_config_selectorILNS1_17partition_subalgoE5ElNS0_10empty_typeEbEEZZNS1_14partition_implILS5_5ELb0ES3_mN6hipcub16HIPCUB_304000_NS21CountingInputIteratorIllEEPS6_NSA_22TransformInputIteratorIb7NonZeroIfEPflEENS0_5tupleIJPlS6_EEENSJ_IJSD_SD_EEES6_SK_JS6_EEE10hipError_tPvRmT3_T4_T5_T6_T7_T9_mT8_P12ihipStream_tbDpT10_ENKUlT_T0_E_clISt17integral_constantIbLb1EES16_EEDaS11_S12_EUlS11_E_NS1_11comp_targetILNS1_3genE0ELNS1_11target_archE4294967295ELNS1_3gpuE0ELNS1_3repE0EEENS1_30default_config_static_selectorELNS0_4arch9wavefront6targetE1EEEvT1_.num_vgpr, 0
	.set _ZN7rocprim17ROCPRIM_400000_NS6detail17trampoline_kernelINS0_14default_configENS1_25partition_config_selectorILNS1_17partition_subalgoE5ElNS0_10empty_typeEbEEZZNS1_14partition_implILS5_5ELb0ES3_mN6hipcub16HIPCUB_304000_NS21CountingInputIteratorIllEEPS6_NSA_22TransformInputIteratorIb7NonZeroIfEPflEENS0_5tupleIJPlS6_EEENSJ_IJSD_SD_EEES6_SK_JS6_EEE10hipError_tPvRmT3_T4_T5_T6_T7_T9_mT8_P12ihipStream_tbDpT10_ENKUlT_T0_E_clISt17integral_constantIbLb1EES16_EEDaS11_S12_EUlS11_E_NS1_11comp_targetILNS1_3genE0ELNS1_11target_archE4294967295ELNS1_3gpuE0ELNS1_3repE0EEENS1_30default_config_static_selectorELNS0_4arch9wavefront6targetE1EEEvT1_.num_agpr, 0
	.set _ZN7rocprim17ROCPRIM_400000_NS6detail17trampoline_kernelINS0_14default_configENS1_25partition_config_selectorILNS1_17partition_subalgoE5ElNS0_10empty_typeEbEEZZNS1_14partition_implILS5_5ELb0ES3_mN6hipcub16HIPCUB_304000_NS21CountingInputIteratorIllEEPS6_NSA_22TransformInputIteratorIb7NonZeroIfEPflEENS0_5tupleIJPlS6_EEENSJ_IJSD_SD_EEES6_SK_JS6_EEE10hipError_tPvRmT3_T4_T5_T6_T7_T9_mT8_P12ihipStream_tbDpT10_ENKUlT_T0_E_clISt17integral_constantIbLb1EES16_EEDaS11_S12_EUlS11_E_NS1_11comp_targetILNS1_3genE0ELNS1_11target_archE4294967295ELNS1_3gpuE0ELNS1_3repE0EEENS1_30default_config_static_selectorELNS0_4arch9wavefront6targetE1EEEvT1_.numbered_sgpr, 0
	.set _ZN7rocprim17ROCPRIM_400000_NS6detail17trampoline_kernelINS0_14default_configENS1_25partition_config_selectorILNS1_17partition_subalgoE5ElNS0_10empty_typeEbEEZZNS1_14partition_implILS5_5ELb0ES3_mN6hipcub16HIPCUB_304000_NS21CountingInputIteratorIllEEPS6_NSA_22TransformInputIteratorIb7NonZeroIfEPflEENS0_5tupleIJPlS6_EEENSJ_IJSD_SD_EEES6_SK_JS6_EEE10hipError_tPvRmT3_T4_T5_T6_T7_T9_mT8_P12ihipStream_tbDpT10_ENKUlT_T0_E_clISt17integral_constantIbLb1EES16_EEDaS11_S12_EUlS11_E_NS1_11comp_targetILNS1_3genE0ELNS1_11target_archE4294967295ELNS1_3gpuE0ELNS1_3repE0EEENS1_30default_config_static_selectorELNS0_4arch9wavefront6targetE1EEEvT1_.num_named_barrier, 0
	.set _ZN7rocprim17ROCPRIM_400000_NS6detail17trampoline_kernelINS0_14default_configENS1_25partition_config_selectorILNS1_17partition_subalgoE5ElNS0_10empty_typeEbEEZZNS1_14partition_implILS5_5ELb0ES3_mN6hipcub16HIPCUB_304000_NS21CountingInputIteratorIllEEPS6_NSA_22TransformInputIteratorIb7NonZeroIfEPflEENS0_5tupleIJPlS6_EEENSJ_IJSD_SD_EEES6_SK_JS6_EEE10hipError_tPvRmT3_T4_T5_T6_T7_T9_mT8_P12ihipStream_tbDpT10_ENKUlT_T0_E_clISt17integral_constantIbLb1EES16_EEDaS11_S12_EUlS11_E_NS1_11comp_targetILNS1_3genE0ELNS1_11target_archE4294967295ELNS1_3gpuE0ELNS1_3repE0EEENS1_30default_config_static_selectorELNS0_4arch9wavefront6targetE1EEEvT1_.private_seg_size, 0
	.set _ZN7rocprim17ROCPRIM_400000_NS6detail17trampoline_kernelINS0_14default_configENS1_25partition_config_selectorILNS1_17partition_subalgoE5ElNS0_10empty_typeEbEEZZNS1_14partition_implILS5_5ELb0ES3_mN6hipcub16HIPCUB_304000_NS21CountingInputIteratorIllEEPS6_NSA_22TransformInputIteratorIb7NonZeroIfEPflEENS0_5tupleIJPlS6_EEENSJ_IJSD_SD_EEES6_SK_JS6_EEE10hipError_tPvRmT3_T4_T5_T6_T7_T9_mT8_P12ihipStream_tbDpT10_ENKUlT_T0_E_clISt17integral_constantIbLb1EES16_EEDaS11_S12_EUlS11_E_NS1_11comp_targetILNS1_3genE0ELNS1_11target_archE4294967295ELNS1_3gpuE0ELNS1_3repE0EEENS1_30default_config_static_selectorELNS0_4arch9wavefront6targetE1EEEvT1_.uses_vcc, 0
	.set _ZN7rocprim17ROCPRIM_400000_NS6detail17trampoline_kernelINS0_14default_configENS1_25partition_config_selectorILNS1_17partition_subalgoE5ElNS0_10empty_typeEbEEZZNS1_14partition_implILS5_5ELb0ES3_mN6hipcub16HIPCUB_304000_NS21CountingInputIteratorIllEEPS6_NSA_22TransformInputIteratorIb7NonZeroIfEPflEENS0_5tupleIJPlS6_EEENSJ_IJSD_SD_EEES6_SK_JS6_EEE10hipError_tPvRmT3_T4_T5_T6_T7_T9_mT8_P12ihipStream_tbDpT10_ENKUlT_T0_E_clISt17integral_constantIbLb1EES16_EEDaS11_S12_EUlS11_E_NS1_11comp_targetILNS1_3genE0ELNS1_11target_archE4294967295ELNS1_3gpuE0ELNS1_3repE0EEENS1_30default_config_static_selectorELNS0_4arch9wavefront6targetE1EEEvT1_.uses_flat_scratch, 0
	.set _ZN7rocprim17ROCPRIM_400000_NS6detail17trampoline_kernelINS0_14default_configENS1_25partition_config_selectorILNS1_17partition_subalgoE5ElNS0_10empty_typeEbEEZZNS1_14partition_implILS5_5ELb0ES3_mN6hipcub16HIPCUB_304000_NS21CountingInputIteratorIllEEPS6_NSA_22TransformInputIteratorIb7NonZeroIfEPflEENS0_5tupleIJPlS6_EEENSJ_IJSD_SD_EEES6_SK_JS6_EEE10hipError_tPvRmT3_T4_T5_T6_T7_T9_mT8_P12ihipStream_tbDpT10_ENKUlT_T0_E_clISt17integral_constantIbLb1EES16_EEDaS11_S12_EUlS11_E_NS1_11comp_targetILNS1_3genE0ELNS1_11target_archE4294967295ELNS1_3gpuE0ELNS1_3repE0EEENS1_30default_config_static_selectorELNS0_4arch9wavefront6targetE1EEEvT1_.has_dyn_sized_stack, 0
	.set _ZN7rocprim17ROCPRIM_400000_NS6detail17trampoline_kernelINS0_14default_configENS1_25partition_config_selectorILNS1_17partition_subalgoE5ElNS0_10empty_typeEbEEZZNS1_14partition_implILS5_5ELb0ES3_mN6hipcub16HIPCUB_304000_NS21CountingInputIteratorIllEEPS6_NSA_22TransformInputIteratorIb7NonZeroIfEPflEENS0_5tupleIJPlS6_EEENSJ_IJSD_SD_EEES6_SK_JS6_EEE10hipError_tPvRmT3_T4_T5_T6_T7_T9_mT8_P12ihipStream_tbDpT10_ENKUlT_T0_E_clISt17integral_constantIbLb1EES16_EEDaS11_S12_EUlS11_E_NS1_11comp_targetILNS1_3genE0ELNS1_11target_archE4294967295ELNS1_3gpuE0ELNS1_3repE0EEENS1_30default_config_static_selectorELNS0_4arch9wavefront6targetE1EEEvT1_.has_recursion, 0
	.set _ZN7rocprim17ROCPRIM_400000_NS6detail17trampoline_kernelINS0_14default_configENS1_25partition_config_selectorILNS1_17partition_subalgoE5ElNS0_10empty_typeEbEEZZNS1_14partition_implILS5_5ELb0ES3_mN6hipcub16HIPCUB_304000_NS21CountingInputIteratorIllEEPS6_NSA_22TransformInputIteratorIb7NonZeroIfEPflEENS0_5tupleIJPlS6_EEENSJ_IJSD_SD_EEES6_SK_JS6_EEE10hipError_tPvRmT3_T4_T5_T6_T7_T9_mT8_P12ihipStream_tbDpT10_ENKUlT_T0_E_clISt17integral_constantIbLb1EES16_EEDaS11_S12_EUlS11_E_NS1_11comp_targetILNS1_3genE0ELNS1_11target_archE4294967295ELNS1_3gpuE0ELNS1_3repE0EEENS1_30default_config_static_selectorELNS0_4arch9wavefront6targetE1EEEvT1_.has_indirect_call, 0
	.section	.AMDGPU.csdata,"",@progbits
; Kernel info:
; codeLenInByte = 4
; TotalNumSgprs: 6
; NumVgprs: 0
; NumAgprs: 0
; TotalNumVgprs: 0
; ScratchSize: 0
; MemoryBound: 0
; FloatMode: 240
; IeeeMode: 1
; LDSByteSize: 0 bytes/workgroup (compile time only)
; SGPRBlocks: 0
; VGPRBlocks: 0
; NumSGPRsForWavesPerEU: 6
; NumVGPRsForWavesPerEU: 1
; AccumOffset: 4
; Occupancy: 8
; WaveLimiterHint : 0
; COMPUTE_PGM_RSRC2:SCRATCH_EN: 0
; COMPUTE_PGM_RSRC2:USER_SGPR: 2
; COMPUTE_PGM_RSRC2:TRAP_HANDLER: 0
; COMPUTE_PGM_RSRC2:TGID_X_EN: 1
; COMPUTE_PGM_RSRC2:TGID_Y_EN: 0
; COMPUTE_PGM_RSRC2:TGID_Z_EN: 0
; COMPUTE_PGM_RSRC2:TIDIG_COMP_CNT: 0
; COMPUTE_PGM_RSRC3_GFX90A:ACCUM_OFFSET: 0
; COMPUTE_PGM_RSRC3_GFX90A:TG_SPLIT: 0
	.section	.text._ZN7rocprim17ROCPRIM_400000_NS6detail17trampoline_kernelINS0_14default_configENS1_25partition_config_selectorILNS1_17partition_subalgoE5ElNS0_10empty_typeEbEEZZNS1_14partition_implILS5_5ELb0ES3_mN6hipcub16HIPCUB_304000_NS21CountingInputIteratorIllEEPS6_NSA_22TransformInputIteratorIb7NonZeroIfEPflEENS0_5tupleIJPlS6_EEENSJ_IJSD_SD_EEES6_SK_JS6_EEE10hipError_tPvRmT3_T4_T5_T6_T7_T9_mT8_P12ihipStream_tbDpT10_ENKUlT_T0_E_clISt17integral_constantIbLb1EES16_EEDaS11_S12_EUlS11_E_NS1_11comp_targetILNS1_3genE5ELNS1_11target_archE942ELNS1_3gpuE9ELNS1_3repE0EEENS1_30default_config_static_selectorELNS0_4arch9wavefront6targetE1EEEvT1_,"axG",@progbits,_ZN7rocprim17ROCPRIM_400000_NS6detail17trampoline_kernelINS0_14default_configENS1_25partition_config_selectorILNS1_17partition_subalgoE5ElNS0_10empty_typeEbEEZZNS1_14partition_implILS5_5ELb0ES3_mN6hipcub16HIPCUB_304000_NS21CountingInputIteratorIllEEPS6_NSA_22TransformInputIteratorIb7NonZeroIfEPflEENS0_5tupleIJPlS6_EEENSJ_IJSD_SD_EEES6_SK_JS6_EEE10hipError_tPvRmT3_T4_T5_T6_T7_T9_mT8_P12ihipStream_tbDpT10_ENKUlT_T0_E_clISt17integral_constantIbLb1EES16_EEDaS11_S12_EUlS11_E_NS1_11comp_targetILNS1_3genE5ELNS1_11target_archE942ELNS1_3gpuE9ELNS1_3repE0EEENS1_30default_config_static_selectorELNS0_4arch9wavefront6targetE1EEEvT1_,comdat
	.protected	_ZN7rocprim17ROCPRIM_400000_NS6detail17trampoline_kernelINS0_14default_configENS1_25partition_config_selectorILNS1_17partition_subalgoE5ElNS0_10empty_typeEbEEZZNS1_14partition_implILS5_5ELb0ES3_mN6hipcub16HIPCUB_304000_NS21CountingInputIteratorIllEEPS6_NSA_22TransformInputIteratorIb7NonZeroIfEPflEENS0_5tupleIJPlS6_EEENSJ_IJSD_SD_EEES6_SK_JS6_EEE10hipError_tPvRmT3_T4_T5_T6_T7_T9_mT8_P12ihipStream_tbDpT10_ENKUlT_T0_E_clISt17integral_constantIbLb1EES16_EEDaS11_S12_EUlS11_E_NS1_11comp_targetILNS1_3genE5ELNS1_11target_archE942ELNS1_3gpuE9ELNS1_3repE0EEENS1_30default_config_static_selectorELNS0_4arch9wavefront6targetE1EEEvT1_ ; -- Begin function _ZN7rocprim17ROCPRIM_400000_NS6detail17trampoline_kernelINS0_14default_configENS1_25partition_config_selectorILNS1_17partition_subalgoE5ElNS0_10empty_typeEbEEZZNS1_14partition_implILS5_5ELb0ES3_mN6hipcub16HIPCUB_304000_NS21CountingInputIteratorIllEEPS6_NSA_22TransformInputIteratorIb7NonZeroIfEPflEENS0_5tupleIJPlS6_EEENSJ_IJSD_SD_EEES6_SK_JS6_EEE10hipError_tPvRmT3_T4_T5_T6_T7_T9_mT8_P12ihipStream_tbDpT10_ENKUlT_T0_E_clISt17integral_constantIbLb1EES16_EEDaS11_S12_EUlS11_E_NS1_11comp_targetILNS1_3genE5ELNS1_11target_archE942ELNS1_3gpuE9ELNS1_3repE0EEENS1_30default_config_static_selectorELNS0_4arch9wavefront6targetE1EEEvT1_
	.globl	_ZN7rocprim17ROCPRIM_400000_NS6detail17trampoline_kernelINS0_14default_configENS1_25partition_config_selectorILNS1_17partition_subalgoE5ElNS0_10empty_typeEbEEZZNS1_14partition_implILS5_5ELb0ES3_mN6hipcub16HIPCUB_304000_NS21CountingInputIteratorIllEEPS6_NSA_22TransformInputIteratorIb7NonZeroIfEPflEENS0_5tupleIJPlS6_EEENSJ_IJSD_SD_EEES6_SK_JS6_EEE10hipError_tPvRmT3_T4_T5_T6_T7_T9_mT8_P12ihipStream_tbDpT10_ENKUlT_T0_E_clISt17integral_constantIbLb1EES16_EEDaS11_S12_EUlS11_E_NS1_11comp_targetILNS1_3genE5ELNS1_11target_archE942ELNS1_3gpuE9ELNS1_3repE0EEENS1_30default_config_static_selectorELNS0_4arch9wavefront6targetE1EEEvT1_
	.p2align	8
	.type	_ZN7rocprim17ROCPRIM_400000_NS6detail17trampoline_kernelINS0_14default_configENS1_25partition_config_selectorILNS1_17partition_subalgoE5ElNS0_10empty_typeEbEEZZNS1_14partition_implILS5_5ELb0ES3_mN6hipcub16HIPCUB_304000_NS21CountingInputIteratorIllEEPS6_NSA_22TransformInputIteratorIb7NonZeroIfEPflEENS0_5tupleIJPlS6_EEENSJ_IJSD_SD_EEES6_SK_JS6_EEE10hipError_tPvRmT3_T4_T5_T6_T7_T9_mT8_P12ihipStream_tbDpT10_ENKUlT_T0_E_clISt17integral_constantIbLb1EES16_EEDaS11_S12_EUlS11_E_NS1_11comp_targetILNS1_3genE5ELNS1_11target_archE942ELNS1_3gpuE9ELNS1_3repE0EEENS1_30default_config_static_selectorELNS0_4arch9wavefront6targetE1EEEvT1_,@function
_ZN7rocprim17ROCPRIM_400000_NS6detail17trampoline_kernelINS0_14default_configENS1_25partition_config_selectorILNS1_17partition_subalgoE5ElNS0_10empty_typeEbEEZZNS1_14partition_implILS5_5ELb0ES3_mN6hipcub16HIPCUB_304000_NS21CountingInputIteratorIllEEPS6_NSA_22TransformInputIteratorIb7NonZeroIfEPflEENS0_5tupleIJPlS6_EEENSJ_IJSD_SD_EEES6_SK_JS6_EEE10hipError_tPvRmT3_T4_T5_T6_T7_T9_mT8_P12ihipStream_tbDpT10_ENKUlT_T0_E_clISt17integral_constantIbLb1EES16_EEDaS11_S12_EUlS11_E_NS1_11comp_targetILNS1_3genE5ELNS1_11target_archE942ELNS1_3gpuE9ELNS1_3repE0EEENS1_30default_config_static_selectorELNS0_4arch9wavefront6targetE1EEEvT1_: ; @_ZN7rocprim17ROCPRIM_400000_NS6detail17trampoline_kernelINS0_14default_configENS1_25partition_config_selectorILNS1_17partition_subalgoE5ElNS0_10empty_typeEbEEZZNS1_14partition_implILS5_5ELb0ES3_mN6hipcub16HIPCUB_304000_NS21CountingInputIteratorIllEEPS6_NSA_22TransformInputIteratorIb7NonZeroIfEPflEENS0_5tupleIJPlS6_EEENSJ_IJSD_SD_EEES6_SK_JS6_EEE10hipError_tPvRmT3_T4_T5_T6_T7_T9_mT8_P12ihipStream_tbDpT10_ENKUlT_T0_E_clISt17integral_constantIbLb1EES16_EEDaS11_S12_EUlS11_E_NS1_11comp_targetILNS1_3genE5ELNS1_11target_archE942ELNS1_3gpuE9ELNS1_3repE0EEENS1_30default_config_static_selectorELNS0_4arch9wavefront6targetE1EEEvT1_
; %bb.0:
	.section	.rodata,"a",@progbits
	.p2align	6, 0x0
	.amdhsa_kernel _ZN7rocprim17ROCPRIM_400000_NS6detail17trampoline_kernelINS0_14default_configENS1_25partition_config_selectorILNS1_17partition_subalgoE5ElNS0_10empty_typeEbEEZZNS1_14partition_implILS5_5ELb0ES3_mN6hipcub16HIPCUB_304000_NS21CountingInputIteratorIllEEPS6_NSA_22TransformInputIteratorIb7NonZeroIfEPflEENS0_5tupleIJPlS6_EEENSJ_IJSD_SD_EEES6_SK_JS6_EEE10hipError_tPvRmT3_T4_T5_T6_T7_T9_mT8_P12ihipStream_tbDpT10_ENKUlT_T0_E_clISt17integral_constantIbLb1EES16_EEDaS11_S12_EUlS11_E_NS1_11comp_targetILNS1_3genE5ELNS1_11target_archE942ELNS1_3gpuE9ELNS1_3repE0EEENS1_30default_config_static_selectorELNS0_4arch9wavefront6targetE1EEEvT1_
		.amdhsa_group_segment_fixed_size 0
		.amdhsa_private_segment_fixed_size 0
		.amdhsa_kernarg_size 136
		.amdhsa_user_sgpr_count 2
		.amdhsa_user_sgpr_dispatch_ptr 0
		.amdhsa_user_sgpr_queue_ptr 0
		.amdhsa_user_sgpr_kernarg_segment_ptr 1
		.amdhsa_user_sgpr_dispatch_id 0
		.amdhsa_user_sgpr_kernarg_preload_length 0
		.amdhsa_user_sgpr_kernarg_preload_offset 0
		.amdhsa_user_sgpr_private_segment_size 0
		.amdhsa_uses_dynamic_stack 0
		.amdhsa_enable_private_segment 0
		.amdhsa_system_sgpr_workgroup_id_x 1
		.amdhsa_system_sgpr_workgroup_id_y 0
		.amdhsa_system_sgpr_workgroup_id_z 0
		.amdhsa_system_sgpr_workgroup_info 0
		.amdhsa_system_vgpr_workitem_id 0
		.amdhsa_next_free_vgpr 1
		.amdhsa_next_free_sgpr 0
		.amdhsa_accum_offset 4
		.amdhsa_reserve_vcc 0
		.amdhsa_float_round_mode_32 0
		.amdhsa_float_round_mode_16_64 0
		.amdhsa_float_denorm_mode_32 3
		.amdhsa_float_denorm_mode_16_64 3
		.amdhsa_dx10_clamp 1
		.amdhsa_ieee_mode 1
		.amdhsa_fp16_overflow 0
		.amdhsa_tg_split 0
		.amdhsa_exception_fp_ieee_invalid_op 0
		.amdhsa_exception_fp_denorm_src 0
		.amdhsa_exception_fp_ieee_div_zero 0
		.amdhsa_exception_fp_ieee_overflow 0
		.amdhsa_exception_fp_ieee_underflow 0
		.amdhsa_exception_fp_ieee_inexact 0
		.amdhsa_exception_int_div_zero 0
	.end_amdhsa_kernel
	.section	.text._ZN7rocprim17ROCPRIM_400000_NS6detail17trampoline_kernelINS0_14default_configENS1_25partition_config_selectorILNS1_17partition_subalgoE5ElNS0_10empty_typeEbEEZZNS1_14partition_implILS5_5ELb0ES3_mN6hipcub16HIPCUB_304000_NS21CountingInputIteratorIllEEPS6_NSA_22TransformInputIteratorIb7NonZeroIfEPflEENS0_5tupleIJPlS6_EEENSJ_IJSD_SD_EEES6_SK_JS6_EEE10hipError_tPvRmT3_T4_T5_T6_T7_T9_mT8_P12ihipStream_tbDpT10_ENKUlT_T0_E_clISt17integral_constantIbLb1EES16_EEDaS11_S12_EUlS11_E_NS1_11comp_targetILNS1_3genE5ELNS1_11target_archE942ELNS1_3gpuE9ELNS1_3repE0EEENS1_30default_config_static_selectorELNS0_4arch9wavefront6targetE1EEEvT1_,"axG",@progbits,_ZN7rocprim17ROCPRIM_400000_NS6detail17trampoline_kernelINS0_14default_configENS1_25partition_config_selectorILNS1_17partition_subalgoE5ElNS0_10empty_typeEbEEZZNS1_14partition_implILS5_5ELb0ES3_mN6hipcub16HIPCUB_304000_NS21CountingInputIteratorIllEEPS6_NSA_22TransformInputIteratorIb7NonZeroIfEPflEENS0_5tupleIJPlS6_EEENSJ_IJSD_SD_EEES6_SK_JS6_EEE10hipError_tPvRmT3_T4_T5_T6_T7_T9_mT8_P12ihipStream_tbDpT10_ENKUlT_T0_E_clISt17integral_constantIbLb1EES16_EEDaS11_S12_EUlS11_E_NS1_11comp_targetILNS1_3genE5ELNS1_11target_archE942ELNS1_3gpuE9ELNS1_3repE0EEENS1_30default_config_static_selectorELNS0_4arch9wavefront6targetE1EEEvT1_,comdat
.Lfunc_end262:
	.size	_ZN7rocprim17ROCPRIM_400000_NS6detail17trampoline_kernelINS0_14default_configENS1_25partition_config_selectorILNS1_17partition_subalgoE5ElNS0_10empty_typeEbEEZZNS1_14partition_implILS5_5ELb0ES3_mN6hipcub16HIPCUB_304000_NS21CountingInputIteratorIllEEPS6_NSA_22TransformInputIteratorIb7NonZeroIfEPflEENS0_5tupleIJPlS6_EEENSJ_IJSD_SD_EEES6_SK_JS6_EEE10hipError_tPvRmT3_T4_T5_T6_T7_T9_mT8_P12ihipStream_tbDpT10_ENKUlT_T0_E_clISt17integral_constantIbLb1EES16_EEDaS11_S12_EUlS11_E_NS1_11comp_targetILNS1_3genE5ELNS1_11target_archE942ELNS1_3gpuE9ELNS1_3repE0EEENS1_30default_config_static_selectorELNS0_4arch9wavefront6targetE1EEEvT1_, .Lfunc_end262-_ZN7rocprim17ROCPRIM_400000_NS6detail17trampoline_kernelINS0_14default_configENS1_25partition_config_selectorILNS1_17partition_subalgoE5ElNS0_10empty_typeEbEEZZNS1_14partition_implILS5_5ELb0ES3_mN6hipcub16HIPCUB_304000_NS21CountingInputIteratorIllEEPS6_NSA_22TransformInputIteratorIb7NonZeroIfEPflEENS0_5tupleIJPlS6_EEENSJ_IJSD_SD_EEES6_SK_JS6_EEE10hipError_tPvRmT3_T4_T5_T6_T7_T9_mT8_P12ihipStream_tbDpT10_ENKUlT_T0_E_clISt17integral_constantIbLb1EES16_EEDaS11_S12_EUlS11_E_NS1_11comp_targetILNS1_3genE5ELNS1_11target_archE942ELNS1_3gpuE9ELNS1_3repE0EEENS1_30default_config_static_selectorELNS0_4arch9wavefront6targetE1EEEvT1_
                                        ; -- End function
	.set _ZN7rocprim17ROCPRIM_400000_NS6detail17trampoline_kernelINS0_14default_configENS1_25partition_config_selectorILNS1_17partition_subalgoE5ElNS0_10empty_typeEbEEZZNS1_14partition_implILS5_5ELb0ES3_mN6hipcub16HIPCUB_304000_NS21CountingInputIteratorIllEEPS6_NSA_22TransformInputIteratorIb7NonZeroIfEPflEENS0_5tupleIJPlS6_EEENSJ_IJSD_SD_EEES6_SK_JS6_EEE10hipError_tPvRmT3_T4_T5_T6_T7_T9_mT8_P12ihipStream_tbDpT10_ENKUlT_T0_E_clISt17integral_constantIbLb1EES16_EEDaS11_S12_EUlS11_E_NS1_11comp_targetILNS1_3genE5ELNS1_11target_archE942ELNS1_3gpuE9ELNS1_3repE0EEENS1_30default_config_static_selectorELNS0_4arch9wavefront6targetE1EEEvT1_.num_vgpr, 0
	.set _ZN7rocprim17ROCPRIM_400000_NS6detail17trampoline_kernelINS0_14default_configENS1_25partition_config_selectorILNS1_17partition_subalgoE5ElNS0_10empty_typeEbEEZZNS1_14partition_implILS5_5ELb0ES3_mN6hipcub16HIPCUB_304000_NS21CountingInputIteratorIllEEPS6_NSA_22TransformInputIteratorIb7NonZeroIfEPflEENS0_5tupleIJPlS6_EEENSJ_IJSD_SD_EEES6_SK_JS6_EEE10hipError_tPvRmT3_T4_T5_T6_T7_T9_mT8_P12ihipStream_tbDpT10_ENKUlT_T0_E_clISt17integral_constantIbLb1EES16_EEDaS11_S12_EUlS11_E_NS1_11comp_targetILNS1_3genE5ELNS1_11target_archE942ELNS1_3gpuE9ELNS1_3repE0EEENS1_30default_config_static_selectorELNS0_4arch9wavefront6targetE1EEEvT1_.num_agpr, 0
	.set _ZN7rocprim17ROCPRIM_400000_NS6detail17trampoline_kernelINS0_14default_configENS1_25partition_config_selectorILNS1_17partition_subalgoE5ElNS0_10empty_typeEbEEZZNS1_14partition_implILS5_5ELb0ES3_mN6hipcub16HIPCUB_304000_NS21CountingInputIteratorIllEEPS6_NSA_22TransformInputIteratorIb7NonZeroIfEPflEENS0_5tupleIJPlS6_EEENSJ_IJSD_SD_EEES6_SK_JS6_EEE10hipError_tPvRmT3_T4_T5_T6_T7_T9_mT8_P12ihipStream_tbDpT10_ENKUlT_T0_E_clISt17integral_constantIbLb1EES16_EEDaS11_S12_EUlS11_E_NS1_11comp_targetILNS1_3genE5ELNS1_11target_archE942ELNS1_3gpuE9ELNS1_3repE0EEENS1_30default_config_static_selectorELNS0_4arch9wavefront6targetE1EEEvT1_.numbered_sgpr, 0
	.set _ZN7rocprim17ROCPRIM_400000_NS6detail17trampoline_kernelINS0_14default_configENS1_25partition_config_selectorILNS1_17partition_subalgoE5ElNS0_10empty_typeEbEEZZNS1_14partition_implILS5_5ELb0ES3_mN6hipcub16HIPCUB_304000_NS21CountingInputIteratorIllEEPS6_NSA_22TransformInputIteratorIb7NonZeroIfEPflEENS0_5tupleIJPlS6_EEENSJ_IJSD_SD_EEES6_SK_JS6_EEE10hipError_tPvRmT3_T4_T5_T6_T7_T9_mT8_P12ihipStream_tbDpT10_ENKUlT_T0_E_clISt17integral_constantIbLb1EES16_EEDaS11_S12_EUlS11_E_NS1_11comp_targetILNS1_3genE5ELNS1_11target_archE942ELNS1_3gpuE9ELNS1_3repE0EEENS1_30default_config_static_selectorELNS0_4arch9wavefront6targetE1EEEvT1_.num_named_barrier, 0
	.set _ZN7rocprim17ROCPRIM_400000_NS6detail17trampoline_kernelINS0_14default_configENS1_25partition_config_selectorILNS1_17partition_subalgoE5ElNS0_10empty_typeEbEEZZNS1_14partition_implILS5_5ELb0ES3_mN6hipcub16HIPCUB_304000_NS21CountingInputIteratorIllEEPS6_NSA_22TransformInputIteratorIb7NonZeroIfEPflEENS0_5tupleIJPlS6_EEENSJ_IJSD_SD_EEES6_SK_JS6_EEE10hipError_tPvRmT3_T4_T5_T6_T7_T9_mT8_P12ihipStream_tbDpT10_ENKUlT_T0_E_clISt17integral_constantIbLb1EES16_EEDaS11_S12_EUlS11_E_NS1_11comp_targetILNS1_3genE5ELNS1_11target_archE942ELNS1_3gpuE9ELNS1_3repE0EEENS1_30default_config_static_selectorELNS0_4arch9wavefront6targetE1EEEvT1_.private_seg_size, 0
	.set _ZN7rocprim17ROCPRIM_400000_NS6detail17trampoline_kernelINS0_14default_configENS1_25partition_config_selectorILNS1_17partition_subalgoE5ElNS0_10empty_typeEbEEZZNS1_14partition_implILS5_5ELb0ES3_mN6hipcub16HIPCUB_304000_NS21CountingInputIteratorIllEEPS6_NSA_22TransformInputIteratorIb7NonZeroIfEPflEENS0_5tupleIJPlS6_EEENSJ_IJSD_SD_EEES6_SK_JS6_EEE10hipError_tPvRmT3_T4_T5_T6_T7_T9_mT8_P12ihipStream_tbDpT10_ENKUlT_T0_E_clISt17integral_constantIbLb1EES16_EEDaS11_S12_EUlS11_E_NS1_11comp_targetILNS1_3genE5ELNS1_11target_archE942ELNS1_3gpuE9ELNS1_3repE0EEENS1_30default_config_static_selectorELNS0_4arch9wavefront6targetE1EEEvT1_.uses_vcc, 0
	.set _ZN7rocprim17ROCPRIM_400000_NS6detail17trampoline_kernelINS0_14default_configENS1_25partition_config_selectorILNS1_17partition_subalgoE5ElNS0_10empty_typeEbEEZZNS1_14partition_implILS5_5ELb0ES3_mN6hipcub16HIPCUB_304000_NS21CountingInputIteratorIllEEPS6_NSA_22TransformInputIteratorIb7NonZeroIfEPflEENS0_5tupleIJPlS6_EEENSJ_IJSD_SD_EEES6_SK_JS6_EEE10hipError_tPvRmT3_T4_T5_T6_T7_T9_mT8_P12ihipStream_tbDpT10_ENKUlT_T0_E_clISt17integral_constantIbLb1EES16_EEDaS11_S12_EUlS11_E_NS1_11comp_targetILNS1_3genE5ELNS1_11target_archE942ELNS1_3gpuE9ELNS1_3repE0EEENS1_30default_config_static_selectorELNS0_4arch9wavefront6targetE1EEEvT1_.uses_flat_scratch, 0
	.set _ZN7rocprim17ROCPRIM_400000_NS6detail17trampoline_kernelINS0_14default_configENS1_25partition_config_selectorILNS1_17partition_subalgoE5ElNS0_10empty_typeEbEEZZNS1_14partition_implILS5_5ELb0ES3_mN6hipcub16HIPCUB_304000_NS21CountingInputIteratorIllEEPS6_NSA_22TransformInputIteratorIb7NonZeroIfEPflEENS0_5tupleIJPlS6_EEENSJ_IJSD_SD_EEES6_SK_JS6_EEE10hipError_tPvRmT3_T4_T5_T6_T7_T9_mT8_P12ihipStream_tbDpT10_ENKUlT_T0_E_clISt17integral_constantIbLb1EES16_EEDaS11_S12_EUlS11_E_NS1_11comp_targetILNS1_3genE5ELNS1_11target_archE942ELNS1_3gpuE9ELNS1_3repE0EEENS1_30default_config_static_selectorELNS0_4arch9wavefront6targetE1EEEvT1_.has_dyn_sized_stack, 0
	.set _ZN7rocprim17ROCPRIM_400000_NS6detail17trampoline_kernelINS0_14default_configENS1_25partition_config_selectorILNS1_17partition_subalgoE5ElNS0_10empty_typeEbEEZZNS1_14partition_implILS5_5ELb0ES3_mN6hipcub16HIPCUB_304000_NS21CountingInputIteratorIllEEPS6_NSA_22TransformInputIteratorIb7NonZeroIfEPflEENS0_5tupleIJPlS6_EEENSJ_IJSD_SD_EEES6_SK_JS6_EEE10hipError_tPvRmT3_T4_T5_T6_T7_T9_mT8_P12ihipStream_tbDpT10_ENKUlT_T0_E_clISt17integral_constantIbLb1EES16_EEDaS11_S12_EUlS11_E_NS1_11comp_targetILNS1_3genE5ELNS1_11target_archE942ELNS1_3gpuE9ELNS1_3repE0EEENS1_30default_config_static_selectorELNS0_4arch9wavefront6targetE1EEEvT1_.has_recursion, 0
	.set _ZN7rocprim17ROCPRIM_400000_NS6detail17trampoline_kernelINS0_14default_configENS1_25partition_config_selectorILNS1_17partition_subalgoE5ElNS0_10empty_typeEbEEZZNS1_14partition_implILS5_5ELb0ES3_mN6hipcub16HIPCUB_304000_NS21CountingInputIteratorIllEEPS6_NSA_22TransformInputIteratorIb7NonZeroIfEPflEENS0_5tupleIJPlS6_EEENSJ_IJSD_SD_EEES6_SK_JS6_EEE10hipError_tPvRmT3_T4_T5_T6_T7_T9_mT8_P12ihipStream_tbDpT10_ENKUlT_T0_E_clISt17integral_constantIbLb1EES16_EEDaS11_S12_EUlS11_E_NS1_11comp_targetILNS1_3genE5ELNS1_11target_archE942ELNS1_3gpuE9ELNS1_3repE0EEENS1_30default_config_static_selectorELNS0_4arch9wavefront6targetE1EEEvT1_.has_indirect_call, 0
	.section	.AMDGPU.csdata,"",@progbits
; Kernel info:
; codeLenInByte = 0
; TotalNumSgprs: 6
; NumVgprs: 0
; NumAgprs: 0
; TotalNumVgprs: 0
; ScratchSize: 0
; MemoryBound: 0
; FloatMode: 240
; IeeeMode: 1
; LDSByteSize: 0 bytes/workgroup (compile time only)
; SGPRBlocks: 0
; VGPRBlocks: 0
; NumSGPRsForWavesPerEU: 6
; NumVGPRsForWavesPerEU: 1
; AccumOffset: 4
; Occupancy: 8
; WaveLimiterHint : 0
; COMPUTE_PGM_RSRC2:SCRATCH_EN: 0
; COMPUTE_PGM_RSRC2:USER_SGPR: 2
; COMPUTE_PGM_RSRC2:TRAP_HANDLER: 0
; COMPUTE_PGM_RSRC2:TGID_X_EN: 1
; COMPUTE_PGM_RSRC2:TGID_Y_EN: 0
; COMPUTE_PGM_RSRC2:TGID_Z_EN: 0
; COMPUTE_PGM_RSRC2:TIDIG_COMP_CNT: 0
; COMPUTE_PGM_RSRC3_GFX90A:ACCUM_OFFSET: 0
; COMPUTE_PGM_RSRC3_GFX90A:TG_SPLIT: 0
	.section	.text._ZN7rocprim17ROCPRIM_400000_NS6detail17trampoline_kernelINS0_14default_configENS1_25partition_config_selectorILNS1_17partition_subalgoE5ElNS0_10empty_typeEbEEZZNS1_14partition_implILS5_5ELb0ES3_mN6hipcub16HIPCUB_304000_NS21CountingInputIteratorIllEEPS6_NSA_22TransformInputIteratorIb7NonZeroIfEPflEENS0_5tupleIJPlS6_EEENSJ_IJSD_SD_EEES6_SK_JS6_EEE10hipError_tPvRmT3_T4_T5_T6_T7_T9_mT8_P12ihipStream_tbDpT10_ENKUlT_T0_E_clISt17integral_constantIbLb1EES16_EEDaS11_S12_EUlS11_E_NS1_11comp_targetILNS1_3genE4ELNS1_11target_archE910ELNS1_3gpuE8ELNS1_3repE0EEENS1_30default_config_static_selectorELNS0_4arch9wavefront6targetE1EEEvT1_,"axG",@progbits,_ZN7rocprim17ROCPRIM_400000_NS6detail17trampoline_kernelINS0_14default_configENS1_25partition_config_selectorILNS1_17partition_subalgoE5ElNS0_10empty_typeEbEEZZNS1_14partition_implILS5_5ELb0ES3_mN6hipcub16HIPCUB_304000_NS21CountingInputIteratorIllEEPS6_NSA_22TransformInputIteratorIb7NonZeroIfEPflEENS0_5tupleIJPlS6_EEENSJ_IJSD_SD_EEES6_SK_JS6_EEE10hipError_tPvRmT3_T4_T5_T6_T7_T9_mT8_P12ihipStream_tbDpT10_ENKUlT_T0_E_clISt17integral_constantIbLb1EES16_EEDaS11_S12_EUlS11_E_NS1_11comp_targetILNS1_3genE4ELNS1_11target_archE910ELNS1_3gpuE8ELNS1_3repE0EEENS1_30default_config_static_selectorELNS0_4arch9wavefront6targetE1EEEvT1_,comdat
	.protected	_ZN7rocprim17ROCPRIM_400000_NS6detail17trampoline_kernelINS0_14default_configENS1_25partition_config_selectorILNS1_17partition_subalgoE5ElNS0_10empty_typeEbEEZZNS1_14partition_implILS5_5ELb0ES3_mN6hipcub16HIPCUB_304000_NS21CountingInputIteratorIllEEPS6_NSA_22TransformInputIteratorIb7NonZeroIfEPflEENS0_5tupleIJPlS6_EEENSJ_IJSD_SD_EEES6_SK_JS6_EEE10hipError_tPvRmT3_T4_T5_T6_T7_T9_mT8_P12ihipStream_tbDpT10_ENKUlT_T0_E_clISt17integral_constantIbLb1EES16_EEDaS11_S12_EUlS11_E_NS1_11comp_targetILNS1_3genE4ELNS1_11target_archE910ELNS1_3gpuE8ELNS1_3repE0EEENS1_30default_config_static_selectorELNS0_4arch9wavefront6targetE1EEEvT1_ ; -- Begin function _ZN7rocprim17ROCPRIM_400000_NS6detail17trampoline_kernelINS0_14default_configENS1_25partition_config_selectorILNS1_17partition_subalgoE5ElNS0_10empty_typeEbEEZZNS1_14partition_implILS5_5ELb0ES3_mN6hipcub16HIPCUB_304000_NS21CountingInputIteratorIllEEPS6_NSA_22TransformInputIteratorIb7NonZeroIfEPflEENS0_5tupleIJPlS6_EEENSJ_IJSD_SD_EEES6_SK_JS6_EEE10hipError_tPvRmT3_T4_T5_T6_T7_T9_mT8_P12ihipStream_tbDpT10_ENKUlT_T0_E_clISt17integral_constantIbLb1EES16_EEDaS11_S12_EUlS11_E_NS1_11comp_targetILNS1_3genE4ELNS1_11target_archE910ELNS1_3gpuE8ELNS1_3repE0EEENS1_30default_config_static_selectorELNS0_4arch9wavefront6targetE1EEEvT1_
	.globl	_ZN7rocprim17ROCPRIM_400000_NS6detail17trampoline_kernelINS0_14default_configENS1_25partition_config_selectorILNS1_17partition_subalgoE5ElNS0_10empty_typeEbEEZZNS1_14partition_implILS5_5ELb0ES3_mN6hipcub16HIPCUB_304000_NS21CountingInputIteratorIllEEPS6_NSA_22TransformInputIteratorIb7NonZeroIfEPflEENS0_5tupleIJPlS6_EEENSJ_IJSD_SD_EEES6_SK_JS6_EEE10hipError_tPvRmT3_T4_T5_T6_T7_T9_mT8_P12ihipStream_tbDpT10_ENKUlT_T0_E_clISt17integral_constantIbLb1EES16_EEDaS11_S12_EUlS11_E_NS1_11comp_targetILNS1_3genE4ELNS1_11target_archE910ELNS1_3gpuE8ELNS1_3repE0EEENS1_30default_config_static_selectorELNS0_4arch9wavefront6targetE1EEEvT1_
	.p2align	8
	.type	_ZN7rocprim17ROCPRIM_400000_NS6detail17trampoline_kernelINS0_14default_configENS1_25partition_config_selectorILNS1_17partition_subalgoE5ElNS0_10empty_typeEbEEZZNS1_14partition_implILS5_5ELb0ES3_mN6hipcub16HIPCUB_304000_NS21CountingInputIteratorIllEEPS6_NSA_22TransformInputIteratorIb7NonZeroIfEPflEENS0_5tupleIJPlS6_EEENSJ_IJSD_SD_EEES6_SK_JS6_EEE10hipError_tPvRmT3_T4_T5_T6_T7_T9_mT8_P12ihipStream_tbDpT10_ENKUlT_T0_E_clISt17integral_constantIbLb1EES16_EEDaS11_S12_EUlS11_E_NS1_11comp_targetILNS1_3genE4ELNS1_11target_archE910ELNS1_3gpuE8ELNS1_3repE0EEENS1_30default_config_static_selectorELNS0_4arch9wavefront6targetE1EEEvT1_,@function
_ZN7rocprim17ROCPRIM_400000_NS6detail17trampoline_kernelINS0_14default_configENS1_25partition_config_selectorILNS1_17partition_subalgoE5ElNS0_10empty_typeEbEEZZNS1_14partition_implILS5_5ELb0ES3_mN6hipcub16HIPCUB_304000_NS21CountingInputIteratorIllEEPS6_NSA_22TransformInputIteratorIb7NonZeroIfEPflEENS0_5tupleIJPlS6_EEENSJ_IJSD_SD_EEES6_SK_JS6_EEE10hipError_tPvRmT3_T4_T5_T6_T7_T9_mT8_P12ihipStream_tbDpT10_ENKUlT_T0_E_clISt17integral_constantIbLb1EES16_EEDaS11_S12_EUlS11_E_NS1_11comp_targetILNS1_3genE4ELNS1_11target_archE910ELNS1_3gpuE8ELNS1_3repE0EEENS1_30default_config_static_selectorELNS0_4arch9wavefront6targetE1EEEvT1_: ; @_ZN7rocprim17ROCPRIM_400000_NS6detail17trampoline_kernelINS0_14default_configENS1_25partition_config_selectorILNS1_17partition_subalgoE5ElNS0_10empty_typeEbEEZZNS1_14partition_implILS5_5ELb0ES3_mN6hipcub16HIPCUB_304000_NS21CountingInputIteratorIllEEPS6_NSA_22TransformInputIteratorIb7NonZeroIfEPflEENS0_5tupleIJPlS6_EEENSJ_IJSD_SD_EEES6_SK_JS6_EEE10hipError_tPvRmT3_T4_T5_T6_T7_T9_mT8_P12ihipStream_tbDpT10_ENKUlT_T0_E_clISt17integral_constantIbLb1EES16_EEDaS11_S12_EUlS11_E_NS1_11comp_targetILNS1_3genE4ELNS1_11target_archE910ELNS1_3gpuE8ELNS1_3repE0EEENS1_30default_config_static_selectorELNS0_4arch9wavefront6targetE1EEEvT1_
; %bb.0:
	.section	.rodata,"a",@progbits
	.p2align	6, 0x0
	.amdhsa_kernel _ZN7rocprim17ROCPRIM_400000_NS6detail17trampoline_kernelINS0_14default_configENS1_25partition_config_selectorILNS1_17partition_subalgoE5ElNS0_10empty_typeEbEEZZNS1_14partition_implILS5_5ELb0ES3_mN6hipcub16HIPCUB_304000_NS21CountingInputIteratorIllEEPS6_NSA_22TransformInputIteratorIb7NonZeroIfEPflEENS0_5tupleIJPlS6_EEENSJ_IJSD_SD_EEES6_SK_JS6_EEE10hipError_tPvRmT3_T4_T5_T6_T7_T9_mT8_P12ihipStream_tbDpT10_ENKUlT_T0_E_clISt17integral_constantIbLb1EES16_EEDaS11_S12_EUlS11_E_NS1_11comp_targetILNS1_3genE4ELNS1_11target_archE910ELNS1_3gpuE8ELNS1_3repE0EEENS1_30default_config_static_selectorELNS0_4arch9wavefront6targetE1EEEvT1_
		.amdhsa_group_segment_fixed_size 0
		.amdhsa_private_segment_fixed_size 0
		.amdhsa_kernarg_size 136
		.amdhsa_user_sgpr_count 2
		.amdhsa_user_sgpr_dispatch_ptr 0
		.amdhsa_user_sgpr_queue_ptr 0
		.amdhsa_user_sgpr_kernarg_segment_ptr 1
		.amdhsa_user_sgpr_dispatch_id 0
		.amdhsa_user_sgpr_kernarg_preload_length 0
		.amdhsa_user_sgpr_kernarg_preload_offset 0
		.amdhsa_user_sgpr_private_segment_size 0
		.amdhsa_uses_dynamic_stack 0
		.amdhsa_enable_private_segment 0
		.amdhsa_system_sgpr_workgroup_id_x 1
		.amdhsa_system_sgpr_workgroup_id_y 0
		.amdhsa_system_sgpr_workgroup_id_z 0
		.amdhsa_system_sgpr_workgroup_info 0
		.amdhsa_system_vgpr_workitem_id 0
		.amdhsa_next_free_vgpr 1
		.amdhsa_next_free_sgpr 0
		.amdhsa_accum_offset 4
		.amdhsa_reserve_vcc 0
		.amdhsa_float_round_mode_32 0
		.amdhsa_float_round_mode_16_64 0
		.amdhsa_float_denorm_mode_32 3
		.amdhsa_float_denorm_mode_16_64 3
		.amdhsa_dx10_clamp 1
		.amdhsa_ieee_mode 1
		.amdhsa_fp16_overflow 0
		.amdhsa_tg_split 0
		.amdhsa_exception_fp_ieee_invalid_op 0
		.amdhsa_exception_fp_denorm_src 0
		.amdhsa_exception_fp_ieee_div_zero 0
		.amdhsa_exception_fp_ieee_overflow 0
		.amdhsa_exception_fp_ieee_underflow 0
		.amdhsa_exception_fp_ieee_inexact 0
		.amdhsa_exception_int_div_zero 0
	.end_amdhsa_kernel
	.section	.text._ZN7rocprim17ROCPRIM_400000_NS6detail17trampoline_kernelINS0_14default_configENS1_25partition_config_selectorILNS1_17partition_subalgoE5ElNS0_10empty_typeEbEEZZNS1_14partition_implILS5_5ELb0ES3_mN6hipcub16HIPCUB_304000_NS21CountingInputIteratorIllEEPS6_NSA_22TransformInputIteratorIb7NonZeroIfEPflEENS0_5tupleIJPlS6_EEENSJ_IJSD_SD_EEES6_SK_JS6_EEE10hipError_tPvRmT3_T4_T5_T6_T7_T9_mT8_P12ihipStream_tbDpT10_ENKUlT_T0_E_clISt17integral_constantIbLb1EES16_EEDaS11_S12_EUlS11_E_NS1_11comp_targetILNS1_3genE4ELNS1_11target_archE910ELNS1_3gpuE8ELNS1_3repE0EEENS1_30default_config_static_selectorELNS0_4arch9wavefront6targetE1EEEvT1_,"axG",@progbits,_ZN7rocprim17ROCPRIM_400000_NS6detail17trampoline_kernelINS0_14default_configENS1_25partition_config_selectorILNS1_17partition_subalgoE5ElNS0_10empty_typeEbEEZZNS1_14partition_implILS5_5ELb0ES3_mN6hipcub16HIPCUB_304000_NS21CountingInputIteratorIllEEPS6_NSA_22TransformInputIteratorIb7NonZeroIfEPflEENS0_5tupleIJPlS6_EEENSJ_IJSD_SD_EEES6_SK_JS6_EEE10hipError_tPvRmT3_T4_T5_T6_T7_T9_mT8_P12ihipStream_tbDpT10_ENKUlT_T0_E_clISt17integral_constantIbLb1EES16_EEDaS11_S12_EUlS11_E_NS1_11comp_targetILNS1_3genE4ELNS1_11target_archE910ELNS1_3gpuE8ELNS1_3repE0EEENS1_30default_config_static_selectorELNS0_4arch9wavefront6targetE1EEEvT1_,comdat
.Lfunc_end263:
	.size	_ZN7rocprim17ROCPRIM_400000_NS6detail17trampoline_kernelINS0_14default_configENS1_25partition_config_selectorILNS1_17partition_subalgoE5ElNS0_10empty_typeEbEEZZNS1_14partition_implILS5_5ELb0ES3_mN6hipcub16HIPCUB_304000_NS21CountingInputIteratorIllEEPS6_NSA_22TransformInputIteratorIb7NonZeroIfEPflEENS0_5tupleIJPlS6_EEENSJ_IJSD_SD_EEES6_SK_JS6_EEE10hipError_tPvRmT3_T4_T5_T6_T7_T9_mT8_P12ihipStream_tbDpT10_ENKUlT_T0_E_clISt17integral_constantIbLb1EES16_EEDaS11_S12_EUlS11_E_NS1_11comp_targetILNS1_3genE4ELNS1_11target_archE910ELNS1_3gpuE8ELNS1_3repE0EEENS1_30default_config_static_selectorELNS0_4arch9wavefront6targetE1EEEvT1_, .Lfunc_end263-_ZN7rocprim17ROCPRIM_400000_NS6detail17trampoline_kernelINS0_14default_configENS1_25partition_config_selectorILNS1_17partition_subalgoE5ElNS0_10empty_typeEbEEZZNS1_14partition_implILS5_5ELb0ES3_mN6hipcub16HIPCUB_304000_NS21CountingInputIteratorIllEEPS6_NSA_22TransformInputIteratorIb7NonZeroIfEPflEENS0_5tupleIJPlS6_EEENSJ_IJSD_SD_EEES6_SK_JS6_EEE10hipError_tPvRmT3_T4_T5_T6_T7_T9_mT8_P12ihipStream_tbDpT10_ENKUlT_T0_E_clISt17integral_constantIbLb1EES16_EEDaS11_S12_EUlS11_E_NS1_11comp_targetILNS1_3genE4ELNS1_11target_archE910ELNS1_3gpuE8ELNS1_3repE0EEENS1_30default_config_static_selectorELNS0_4arch9wavefront6targetE1EEEvT1_
                                        ; -- End function
	.set _ZN7rocprim17ROCPRIM_400000_NS6detail17trampoline_kernelINS0_14default_configENS1_25partition_config_selectorILNS1_17partition_subalgoE5ElNS0_10empty_typeEbEEZZNS1_14partition_implILS5_5ELb0ES3_mN6hipcub16HIPCUB_304000_NS21CountingInputIteratorIllEEPS6_NSA_22TransformInputIteratorIb7NonZeroIfEPflEENS0_5tupleIJPlS6_EEENSJ_IJSD_SD_EEES6_SK_JS6_EEE10hipError_tPvRmT3_T4_T5_T6_T7_T9_mT8_P12ihipStream_tbDpT10_ENKUlT_T0_E_clISt17integral_constantIbLb1EES16_EEDaS11_S12_EUlS11_E_NS1_11comp_targetILNS1_3genE4ELNS1_11target_archE910ELNS1_3gpuE8ELNS1_3repE0EEENS1_30default_config_static_selectorELNS0_4arch9wavefront6targetE1EEEvT1_.num_vgpr, 0
	.set _ZN7rocprim17ROCPRIM_400000_NS6detail17trampoline_kernelINS0_14default_configENS1_25partition_config_selectorILNS1_17partition_subalgoE5ElNS0_10empty_typeEbEEZZNS1_14partition_implILS5_5ELb0ES3_mN6hipcub16HIPCUB_304000_NS21CountingInputIteratorIllEEPS6_NSA_22TransformInputIteratorIb7NonZeroIfEPflEENS0_5tupleIJPlS6_EEENSJ_IJSD_SD_EEES6_SK_JS6_EEE10hipError_tPvRmT3_T4_T5_T6_T7_T9_mT8_P12ihipStream_tbDpT10_ENKUlT_T0_E_clISt17integral_constantIbLb1EES16_EEDaS11_S12_EUlS11_E_NS1_11comp_targetILNS1_3genE4ELNS1_11target_archE910ELNS1_3gpuE8ELNS1_3repE0EEENS1_30default_config_static_selectorELNS0_4arch9wavefront6targetE1EEEvT1_.num_agpr, 0
	.set _ZN7rocprim17ROCPRIM_400000_NS6detail17trampoline_kernelINS0_14default_configENS1_25partition_config_selectorILNS1_17partition_subalgoE5ElNS0_10empty_typeEbEEZZNS1_14partition_implILS5_5ELb0ES3_mN6hipcub16HIPCUB_304000_NS21CountingInputIteratorIllEEPS6_NSA_22TransformInputIteratorIb7NonZeroIfEPflEENS0_5tupleIJPlS6_EEENSJ_IJSD_SD_EEES6_SK_JS6_EEE10hipError_tPvRmT3_T4_T5_T6_T7_T9_mT8_P12ihipStream_tbDpT10_ENKUlT_T0_E_clISt17integral_constantIbLb1EES16_EEDaS11_S12_EUlS11_E_NS1_11comp_targetILNS1_3genE4ELNS1_11target_archE910ELNS1_3gpuE8ELNS1_3repE0EEENS1_30default_config_static_selectorELNS0_4arch9wavefront6targetE1EEEvT1_.numbered_sgpr, 0
	.set _ZN7rocprim17ROCPRIM_400000_NS6detail17trampoline_kernelINS0_14default_configENS1_25partition_config_selectorILNS1_17partition_subalgoE5ElNS0_10empty_typeEbEEZZNS1_14partition_implILS5_5ELb0ES3_mN6hipcub16HIPCUB_304000_NS21CountingInputIteratorIllEEPS6_NSA_22TransformInputIteratorIb7NonZeroIfEPflEENS0_5tupleIJPlS6_EEENSJ_IJSD_SD_EEES6_SK_JS6_EEE10hipError_tPvRmT3_T4_T5_T6_T7_T9_mT8_P12ihipStream_tbDpT10_ENKUlT_T0_E_clISt17integral_constantIbLb1EES16_EEDaS11_S12_EUlS11_E_NS1_11comp_targetILNS1_3genE4ELNS1_11target_archE910ELNS1_3gpuE8ELNS1_3repE0EEENS1_30default_config_static_selectorELNS0_4arch9wavefront6targetE1EEEvT1_.num_named_barrier, 0
	.set _ZN7rocprim17ROCPRIM_400000_NS6detail17trampoline_kernelINS0_14default_configENS1_25partition_config_selectorILNS1_17partition_subalgoE5ElNS0_10empty_typeEbEEZZNS1_14partition_implILS5_5ELb0ES3_mN6hipcub16HIPCUB_304000_NS21CountingInputIteratorIllEEPS6_NSA_22TransformInputIteratorIb7NonZeroIfEPflEENS0_5tupleIJPlS6_EEENSJ_IJSD_SD_EEES6_SK_JS6_EEE10hipError_tPvRmT3_T4_T5_T6_T7_T9_mT8_P12ihipStream_tbDpT10_ENKUlT_T0_E_clISt17integral_constantIbLb1EES16_EEDaS11_S12_EUlS11_E_NS1_11comp_targetILNS1_3genE4ELNS1_11target_archE910ELNS1_3gpuE8ELNS1_3repE0EEENS1_30default_config_static_selectorELNS0_4arch9wavefront6targetE1EEEvT1_.private_seg_size, 0
	.set _ZN7rocprim17ROCPRIM_400000_NS6detail17trampoline_kernelINS0_14default_configENS1_25partition_config_selectorILNS1_17partition_subalgoE5ElNS0_10empty_typeEbEEZZNS1_14partition_implILS5_5ELb0ES3_mN6hipcub16HIPCUB_304000_NS21CountingInputIteratorIllEEPS6_NSA_22TransformInputIteratorIb7NonZeroIfEPflEENS0_5tupleIJPlS6_EEENSJ_IJSD_SD_EEES6_SK_JS6_EEE10hipError_tPvRmT3_T4_T5_T6_T7_T9_mT8_P12ihipStream_tbDpT10_ENKUlT_T0_E_clISt17integral_constantIbLb1EES16_EEDaS11_S12_EUlS11_E_NS1_11comp_targetILNS1_3genE4ELNS1_11target_archE910ELNS1_3gpuE8ELNS1_3repE0EEENS1_30default_config_static_selectorELNS0_4arch9wavefront6targetE1EEEvT1_.uses_vcc, 0
	.set _ZN7rocprim17ROCPRIM_400000_NS6detail17trampoline_kernelINS0_14default_configENS1_25partition_config_selectorILNS1_17partition_subalgoE5ElNS0_10empty_typeEbEEZZNS1_14partition_implILS5_5ELb0ES3_mN6hipcub16HIPCUB_304000_NS21CountingInputIteratorIllEEPS6_NSA_22TransformInputIteratorIb7NonZeroIfEPflEENS0_5tupleIJPlS6_EEENSJ_IJSD_SD_EEES6_SK_JS6_EEE10hipError_tPvRmT3_T4_T5_T6_T7_T9_mT8_P12ihipStream_tbDpT10_ENKUlT_T0_E_clISt17integral_constantIbLb1EES16_EEDaS11_S12_EUlS11_E_NS1_11comp_targetILNS1_3genE4ELNS1_11target_archE910ELNS1_3gpuE8ELNS1_3repE0EEENS1_30default_config_static_selectorELNS0_4arch9wavefront6targetE1EEEvT1_.uses_flat_scratch, 0
	.set _ZN7rocprim17ROCPRIM_400000_NS6detail17trampoline_kernelINS0_14default_configENS1_25partition_config_selectorILNS1_17partition_subalgoE5ElNS0_10empty_typeEbEEZZNS1_14partition_implILS5_5ELb0ES3_mN6hipcub16HIPCUB_304000_NS21CountingInputIteratorIllEEPS6_NSA_22TransformInputIteratorIb7NonZeroIfEPflEENS0_5tupleIJPlS6_EEENSJ_IJSD_SD_EEES6_SK_JS6_EEE10hipError_tPvRmT3_T4_T5_T6_T7_T9_mT8_P12ihipStream_tbDpT10_ENKUlT_T0_E_clISt17integral_constantIbLb1EES16_EEDaS11_S12_EUlS11_E_NS1_11comp_targetILNS1_3genE4ELNS1_11target_archE910ELNS1_3gpuE8ELNS1_3repE0EEENS1_30default_config_static_selectorELNS0_4arch9wavefront6targetE1EEEvT1_.has_dyn_sized_stack, 0
	.set _ZN7rocprim17ROCPRIM_400000_NS6detail17trampoline_kernelINS0_14default_configENS1_25partition_config_selectorILNS1_17partition_subalgoE5ElNS0_10empty_typeEbEEZZNS1_14partition_implILS5_5ELb0ES3_mN6hipcub16HIPCUB_304000_NS21CountingInputIteratorIllEEPS6_NSA_22TransformInputIteratorIb7NonZeroIfEPflEENS0_5tupleIJPlS6_EEENSJ_IJSD_SD_EEES6_SK_JS6_EEE10hipError_tPvRmT3_T4_T5_T6_T7_T9_mT8_P12ihipStream_tbDpT10_ENKUlT_T0_E_clISt17integral_constantIbLb1EES16_EEDaS11_S12_EUlS11_E_NS1_11comp_targetILNS1_3genE4ELNS1_11target_archE910ELNS1_3gpuE8ELNS1_3repE0EEENS1_30default_config_static_selectorELNS0_4arch9wavefront6targetE1EEEvT1_.has_recursion, 0
	.set _ZN7rocprim17ROCPRIM_400000_NS6detail17trampoline_kernelINS0_14default_configENS1_25partition_config_selectorILNS1_17partition_subalgoE5ElNS0_10empty_typeEbEEZZNS1_14partition_implILS5_5ELb0ES3_mN6hipcub16HIPCUB_304000_NS21CountingInputIteratorIllEEPS6_NSA_22TransformInputIteratorIb7NonZeroIfEPflEENS0_5tupleIJPlS6_EEENSJ_IJSD_SD_EEES6_SK_JS6_EEE10hipError_tPvRmT3_T4_T5_T6_T7_T9_mT8_P12ihipStream_tbDpT10_ENKUlT_T0_E_clISt17integral_constantIbLb1EES16_EEDaS11_S12_EUlS11_E_NS1_11comp_targetILNS1_3genE4ELNS1_11target_archE910ELNS1_3gpuE8ELNS1_3repE0EEENS1_30default_config_static_selectorELNS0_4arch9wavefront6targetE1EEEvT1_.has_indirect_call, 0
	.section	.AMDGPU.csdata,"",@progbits
; Kernel info:
; codeLenInByte = 0
; TotalNumSgprs: 6
; NumVgprs: 0
; NumAgprs: 0
; TotalNumVgprs: 0
; ScratchSize: 0
; MemoryBound: 0
; FloatMode: 240
; IeeeMode: 1
; LDSByteSize: 0 bytes/workgroup (compile time only)
; SGPRBlocks: 0
; VGPRBlocks: 0
; NumSGPRsForWavesPerEU: 6
; NumVGPRsForWavesPerEU: 1
; AccumOffset: 4
; Occupancy: 8
; WaveLimiterHint : 0
; COMPUTE_PGM_RSRC2:SCRATCH_EN: 0
; COMPUTE_PGM_RSRC2:USER_SGPR: 2
; COMPUTE_PGM_RSRC2:TRAP_HANDLER: 0
; COMPUTE_PGM_RSRC2:TGID_X_EN: 1
; COMPUTE_PGM_RSRC2:TGID_Y_EN: 0
; COMPUTE_PGM_RSRC2:TGID_Z_EN: 0
; COMPUTE_PGM_RSRC2:TIDIG_COMP_CNT: 0
; COMPUTE_PGM_RSRC3_GFX90A:ACCUM_OFFSET: 0
; COMPUTE_PGM_RSRC3_GFX90A:TG_SPLIT: 0
	.section	.text._ZN7rocprim17ROCPRIM_400000_NS6detail17trampoline_kernelINS0_14default_configENS1_25partition_config_selectorILNS1_17partition_subalgoE5ElNS0_10empty_typeEbEEZZNS1_14partition_implILS5_5ELb0ES3_mN6hipcub16HIPCUB_304000_NS21CountingInputIteratorIllEEPS6_NSA_22TransformInputIteratorIb7NonZeroIfEPflEENS0_5tupleIJPlS6_EEENSJ_IJSD_SD_EEES6_SK_JS6_EEE10hipError_tPvRmT3_T4_T5_T6_T7_T9_mT8_P12ihipStream_tbDpT10_ENKUlT_T0_E_clISt17integral_constantIbLb1EES16_EEDaS11_S12_EUlS11_E_NS1_11comp_targetILNS1_3genE3ELNS1_11target_archE908ELNS1_3gpuE7ELNS1_3repE0EEENS1_30default_config_static_selectorELNS0_4arch9wavefront6targetE1EEEvT1_,"axG",@progbits,_ZN7rocprim17ROCPRIM_400000_NS6detail17trampoline_kernelINS0_14default_configENS1_25partition_config_selectorILNS1_17partition_subalgoE5ElNS0_10empty_typeEbEEZZNS1_14partition_implILS5_5ELb0ES3_mN6hipcub16HIPCUB_304000_NS21CountingInputIteratorIllEEPS6_NSA_22TransformInputIteratorIb7NonZeroIfEPflEENS0_5tupleIJPlS6_EEENSJ_IJSD_SD_EEES6_SK_JS6_EEE10hipError_tPvRmT3_T4_T5_T6_T7_T9_mT8_P12ihipStream_tbDpT10_ENKUlT_T0_E_clISt17integral_constantIbLb1EES16_EEDaS11_S12_EUlS11_E_NS1_11comp_targetILNS1_3genE3ELNS1_11target_archE908ELNS1_3gpuE7ELNS1_3repE0EEENS1_30default_config_static_selectorELNS0_4arch9wavefront6targetE1EEEvT1_,comdat
	.protected	_ZN7rocprim17ROCPRIM_400000_NS6detail17trampoline_kernelINS0_14default_configENS1_25partition_config_selectorILNS1_17partition_subalgoE5ElNS0_10empty_typeEbEEZZNS1_14partition_implILS5_5ELb0ES3_mN6hipcub16HIPCUB_304000_NS21CountingInputIteratorIllEEPS6_NSA_22TransformInputIteratorIb7NonZeroIfEPflEENS0_5tupleIJPlS6_EEENSJ_IJSD_SD_EEES6_SK_JS6_EEE10hipError_tPvRmT3_T4_T5_T6_T7_T9_mT8_P12ihipStream_tbDpT10_ENKUlT_T0_E_clISt17integral_constantIbLb1EES16_EEDaS11_S12_EUlS11_E_NS1_11comp_targetILNS1_3genE3ELNS1_11target_archE908ELNS1_3gpuE7ELNS1_3repE0EEENS1_30default_config_static_selectorELNS0_4arch9wavefront6targetE1EEEvT1_ ; -- Begin function _ZN7rocprim17ROCPRIM_400000_NS6detail17trampoline_kernelINS0_14default_configENS1_25partition_config_selectorILNS1_17partition_subalgoE5ElNS0_10empty_typeEbEEZZNS1_14partition_implILS5_5ELb0ES3_mN6hipcub16HIPCUB_304000_NS21CountingInputIteratorIllEEPS6_NSA_22TransformInputIteratorIb7NonZeroIfEPflEENS0_5tupleIJPlS6_EEENSJ_IJSD_SD_EEES6_SK_JS6_EEE10hipError_tPvRmT3_T4_T5_T6_T7_T9_mT8_P12ihipStream_tbDpT10_ENKUlT_T0_E_clISt17integral_constantIbLb1EES16_EEDaS11_S12_EUlS11_E_NS1_11comp_targetILNS1_3genE3ELNS1_11target_archE908ELNS1_3gpuE7ELNS1_3repE0EEENS1_30default_config_static_selectorELNS0_4arch9wavefront6targetE1EEEvT1_
	.globl	_ZN7rocprim17ROCPRIM_400000_NS6detail17trampoline_kernelINS0_14default_configENS1_25partition_config_selectorILNS1_17partition_subalgoE5ElNS0_10empty_typeEbEEZZNS1_14partition_implILS5_5ELb0ES3_mN6hipcub16HIPCUB_304000_NS21CountingInputIteratorIllEEPS6_NSA_22TransformInputIteratorIb7NonZeroIfEPflEENS0_5tupleIJPlS6_EEENSJ_IJSD_SD_EEES6_SK_JS6_EEE10hipError_tPvRmT3_T4_T5_T6_T7_T9_mT8_P12ihipStream_tbDpT10_ENKUlT_T0_E_clISt17integral_constantIbLb1EES16_EEDaS11_S12_EUlS11_E_NS1_11comp_targetILNS1_3genE3ELNS1_11target_archE908ELNS1_3gpuE7ELNS1_3repE0EEENS1_30default_config_static_selectorELNS0_4arch9wavefront6targetE1EEEvT1_
	.p2align	8
	.type	_ZN7rocprim17ROCPRIM_400000_NS6detail17trampoline_kernelINS0_14default_configENS1_25partition_config_selectorILNS1_17partition_subalgoE5ElNS0_10empty_typeEbEEZZNS1_14partition_implILS5_5ELb0ES3_mN6hipcub16HIPCUB_304000_NS21CountingInputIteratorIllEEPS6_NSA_22TransformInputIteratorIb7NonZeroIfEPflEENS0_5tupleIJPlS6_EEENSJ_IJSD_SD_EEES6_SK_JS6_EEE10hipError_tPvRmT3_T4_T5_T6_T7_T9_mT8_P12ihipStream_tbDpT10_ENKUlT_T0_E_clISt17integral_constantIbLb1EES16_EEDaS11_S12_EUlS11_E_NS1_11comp_targetILNS1_3genE3ELNS1_11target_archE908ELNS1_3gpuE7ELNS1_3repE0EEENS1_30default_config_static_selectorELNS0_4arch9wavefront6targetE1EEEvT1_,@function
_ZN7rocprim17ROCPRIM_400000_NS6detail17trampoline_kernelINS0_14default_configENS1_25partition_config_selectorILNS1_17partition_subalgoE5ElNS0_10empty_typeEbEEZZNS1_14partition_implILS5_5ELb0ES3_mN6hipcub16HIPCUB_304000_NS21CountingInputIteratorIllEEPS6_NSA_22TransformInputIteratorIb7NonZeroIfEPflEENS0_5tupleIJPlS6_EEENSJ_IJSD_SD_EEES6_SK_JS6_EEE10hipError_tPvRmT3_T4_T5_T6_T7_T9_mT8_P12ihipStream_tbDpT10_ENKUlT_T0_E_clISt17integral_constantIbLb1EES16_EEDaS11_S12_EUlS11_E_NS1_11comp_targetILNS1_3genE3ELNS1_11target_archE908ELNS1_3gpuE7ELNS1_3repE0EEENS1_30default_config_static_selectorELNS0_4arch9wavefront6targetE1EEEvT1_: ; @_ZN7rocprim17ROCPRIM_400000_NS6detail17trampoline_kernelINS0_14default_configENS1_25partition_config_selectorILNS1_17partition_subalgoE5ElNS0_10empty_typeEbEEZZNS1_14partition_implILS5_5ELb0ES3_mN6hipcub16HIPCUB_304000_NS21CountingInputIteratorIllEEPS6_NSA_22TransformInputIteratorIb7NonZeroIfEPflEENS0_5tupleIJPlS6_EEENSJ_IJSD_SD_EEES6_SK_JS6_EEE10hipError_tPvRmT3_T4_T5_T6_T7_T9_mT8_P12ihipStream_tbDpT10_ENKUlT_T0_E_clISt17integral_constantIbLb1EES16_EEDaS11_S12_EUlS11_E_NS1_11comp_targetILNS1_3genE3ELNS1_11target_archE908ELNS1_3gpuE7ELNS1_3repE0EEENS1_30default_config_static_selectorELNS0_4arch9wavefront6targetE1EEEvT1_
; %bb.0:
	.section	.rodata,"a",@progbits
	.p2align	6, 0x0
	.amdhsa_kernel _ZN7rocprim17ROCPRIM_400000_NS6detail17trampoline_kernelINS0_14default_configENS1_25partition_config_selectorILNS1_17partition_subalgoE5ElNS0_10empty_typeEbEEZZNS1_14partition_implILS5_5ELb0ES3_mN6hipcub16HIPCUB_304000_NS21CountingInputIteratorIllEEPS6_NSA_22TransformInputIteratorIb7NonZeroIfEPflEENS0_5tupleIJPlS6_EEENSJ_IJSD_SD_EEES6_SK_JS6_EEE10hipError_tPvRmT3_T4_T5_T6_T7_T9_mT8_P12ihipStream_tbDpT10_ENKUlT_T0_E_clISt17integral_constantIbLb1EES16_EEDaS11_S12_EUlS11_E_NS1_11comp_targetILNS1_3genE3ELNS1_11target_archE908ELNS1_3gpuE7ELNS1_3repE0EEENS1_30default_config_static_selectorELNS0_4arch9wavefront6targetE1EEEvT1_
		.amdhsa_group_segment_fixed_size 0
		.amdhsa_private_segment_fixed_size 0
		.amdhsa_kernarg_size 136
		.amdhsa_user_sgpr_count 2
		.amdhsa_user_sgpr_dispatch_ptr 0
		.amdhsa_user_sgpr_queue_ptr 0
		.amdhsa_user_sgpr_kernarg_segment_ptr 1
		.amdhsa_user_sgpr_dispatch_id 0
		.amdhsa_user_sgpr_kernarg_preload_length 0
		.amdhsa_user_sgpr_kernarg_preload_offset 0
		.amdhsa_user_sgpr_private_segment_size 0
		.amdhsa_uses_dynamic_stack 0
		.amdhsa_enable_private_segment 0
		.amdhsa_system_sgpr_workgroup_id_x 1
		.amdhsa_system_sgpr_workgroup_id_y 0
		.amdhsa_system_sgpr_workgroup_id_z 0
		.amdhsa_system_sgpr_workgroup_info 0
		.amdhsa_system_vgpr_workitem_id 0
		.amdhsa_next_free_vgpr 1
		.amdhsa_next_free_sgpr 0
		.amdhsa_accum_offset 4
		.amdhsa_reserve_vcc 0
		.amdhsa_float_round_mode_32 0
		.amdhsa_float_round_mode_16_64 0
		.amdhsa_float_denorm_mode_32 3
		.amdhsa_float_denorm_mode_16_64 3
		.amdhsa_dx10_clamp 1
		.amdhsa_ieee_mode 1
		.amdhsa_fp16_overflow 0
		.amdhsa_tg_split 0
		.amdhsa_exception_fp_ieee_invalid_op 0
		.amdhsa_exception_fp_denorm_src 0
		.amdhsa_exception_fp_ieee_div_zero 0
		.amdhsa_exception_fp_ieee_overflow 0
		.amdhsa_exception_fp_ieee_underflow 0
		.amdhsa_exception_fp_ieee_inexact 0
		.amdhsa_exception_int_div_zero 0
	.end_amdhsa_kernel
	.section	.text._ZN7rocprim17ROCPRIM_400000_NS6detail17trampoline_kernelINS0_14default_configENS1_25partition_config_selectorILNS1_17partition_subalgoE5ElNS0_10empty_typeEbEEZZNS1_14partition_implILS5_5ELb0ES3_mN6hipcub16HIPCUB_304000_NS21CountingInputIteratorIllEEPS6_NSA_22TransformInputIteratorIb7NonZeroIfEPflEENS0_5tupleIJPlS6_EEENSJ_IJSD_SD_EEES6_SK_JS6_EEE10hipError_tPvRmT3_T4_T5_T6_T7_T9_mT8_P12ihipStream_tbDpT10_ENKUlT_T0_E_clISt17integral_constantIbLb1EES16_EEDaS11_S12_EUlS11_E_NS1_11comp_targetILNS1_3genE3ELNS1_11target_archE908ELNS1_3gpuE7ELNS1_3repE0EEENS1_30default_config_static_selectorELNS0_4arch9wavefront6targetE1EEEvT1_,"axG",@progbits,_ZN7rocprim17ROCPRIM_400000_NS6detail17trampoline_kernelINS0_14default_configENS1_25partition_config_selectorILNS1_17partition_subalgoE5ElNS0_10empty_typeEbEEZZNS1_14partition_implILS5_5ELb0ES3_mN6hipcub16HIPCUB_304000_NS21CountingInputIteratorIllEEPS6_NSA_22TransformInputIteratorIb7NonZeroIfEPflEENS0_5tupleIJPlS6_EEENSJ_IJSD_SD_EEES6_SK_JS6_EEE10hipError_tPvRmT3_T4_T5_T6_T7_T9_mT8_P12ihipStream_tbDpT10_ENKUlT_T0_E_clISt17integral_constantIbLb1EES16_EEDaS11_S12_EUlS11_E_NS1_11comp_targetILNS1_3genE3ELNS1_11target_archE908ELNS1_3gpuE7ELNS1_3repE0EEENS1_30default_config_static_selectorELNS0_4arch9wavefront6targetE1EEEvT1_,comdat
.Lfunc_end264:
	.size	_ZN7rocprim17ROCPRIM_400000_NS6detail17trampoline_kernelINS0_14default_configENS1_25partition_config_selectorILNS1_17partition_subalgoE5ElNS0_10empty_typeEbEEZZNS1_14partition_implILS5_5ELb0ES3_mN6hipcub16HIPCUB_304000_NS21CountingInputIteratorIllEEPS6_NSA_22TransformInputIteratorIb7NonZeroIfEPflEENS0_5tupleIJPlS6_EEENSJ_IJSD_SD_EEES6_SK_JS6_EEE10hipError_tPvRmT3_T4_T5_T6_T7_T9_mT8_P12ihipStream_tbDpT10_ENKUlT_T0_E_clISt17integral_constantIbLb1EES16_EEDaS11_S12_EUlS11_E_NS1_11comp_targetILNS1_3genE3ELNS1_11target_archE908ELNS1_3gpuE7ELNS1_3repE0EEENS1_30default_config_static_selectorELNS0_4arch9wavefront6targetE1EEEvT1_, .Lfunc_end264-_ZN7rocprim17ROCPRIM_400000_NS6detail17trampoline_kernelINS0_14default_configENS1_25partition_config_selectorILNS1_17partition_subalgoE5ElNS0_10empty_typeEbEEZZNS1_14partition_implILS5_5ELb0ES3_mN6hipcub16HIPCUB_304000_NS21CountingInputIteratorIllEEPS6_NSA_22TransformInputIteratorIb7NonZeroIfEPflEENS0_5tupleIJPlS6_EEENSJ_IJSD_SD_EEES6_SK_JS6_EEE10hipError_tPvRmT3_T4_T5_T6_T7_T9_mT8_P12ihipStream_tbDpT10_ENKUlT_T0_E_clISt17integral_constantIbLb1EES16_EEDaS11_S12_EUlS11_E_NS1_11comp_targetILNS1_3genE3ELNS1_11target_archE908ELNS1_3gpuE7ELNS1_3repE0EEENS1_30default_config_static_selectorELNS0_4arch9wavefront6targetE1EEEvT1_
                                        ; -- End function
	.set _ZN7rocprim17ROCPRIM_400000_NS6detail17trampoline_kernelINS0_14default_configENS1_25partition_config_selectorILNS1_17partition_subalgoE5ElNS0_10empty_typeEbEEZZNS1_14partition_implILS5_5ELb0ES3_mN6hipcub16HIPCUB_304000_NS21CountingInputIteratorIllEEPS6_NSA_22TransformInputIteratorIb7NonZeroIfEPflEENS0_5tupleIJPlS6_EEENSJ_IJSD_SD_EEES6_SK_JS6_EEE10hipError_tPvRmT3_T4_T5_T6_T7_T9_mT8_P12ihipStream_tbDpT10_ENKUlT_T0_E_clISt17integral_constantIbLb1EES16_EEDaS11_S12_EUlS11_E_NS1_11comp_targetILNS1_3genE3ELNS1_11target_archE908ELNS1_3gpuE7ELNS1_3repE0EEENS1_30default_config_static_selectorELNS0_4arch9wavefront6targetE1EEEvT1_.num_vgpr, 0
	.set _ZN7rocprim17ROCPRIM_400000_NS6detail17trampoline_kernelINS0_14default_configENS1_25partition_config_selectorILNS1_17partition_subalgoE5ElNS0_10empty_typeEbEEZZNS1_14partition_implILS5_5ELb0ES3_mN6hipcub16HIPCUB_304000_NS21CountingInputIteratorIllEEPS6_NSA_22TransformInputIteratorIb7NonZeroIfEPflEENS0_5tupleIJPlS6_EEENSJ_IJSD_SD_EEES6_SK_JS6_EEE10hipError_tPvRmT3_T4_T5_T6_T7_T9_mT8_P12ihipStream_tbDpT10_ENKUlT_T0_E_clISt17integral_constantIbLb1EES16_EEDaS11_S12_EUlS11_E_NS1_11comp_targetILNS1_3genE3ELNS1_11target_archE908ELNS1_3gpuE7ELNS1_3repE0EEENS1_30default_config_static_selectorELNS0_4arch9wavefront6targetE1EEEvT1_.num_agpr, 0
	.set _ZN7rocprim17ROCPRIM_400000_NS6detail17trampoline_kernelINS0_14default_configENS1_25partition_config_selectorILNS1_17partition_subalgoE5ElNS0_10empty_typeEbEEZZNS1_14partition_implILS5_5ELb0ES3_mN6hipcub16HIPCUB_304000_NS21CountingInputIteratorIllEEPS6_NSA_22TransformInputIteratorIb7NonZeroIfEPflEENS0_5tupleIJPlS6_EEENSJ_IJSD_SD_EEES6_SK_JS6_EEE10hipError_tPvRmT3_T4_T5_T6_T7_T9_mT8_P12ihipStream_tbDpT10_ENKUlT_T0_E_clISt17integral_constantIbLb1EES16_EEDaS11_S12_EUlS11_E_NS1_11comp_targetILNS1_3genE3ELNS1_11target_archE908ELNS1_3gpuE7ELNS1_3repE0EEENS1_30default_config_static_selectorELNS0_4arch9wavefront6targetE1EEEvT1_.numbered_sgpr, 0
	.set _ZN7rocprim17ROCPRIM_400000_NS6detail17trampoline_kernelINS0_14default_configENS1_25partition_config_selectorILNS1_17partition_subalgoE5ElNS0_10empty_typeEbEEZZNS1_14partition_implILS5_5ELb0ES3_mN6hipcub16HIPCUB_304000_NS21CountingInputIteratorIllEEPS6_NSA_22TransformInputIteratorIb7NonZeroIfEPflEENS0_5tupleIJPlS6_EEENSJ_IJSD_SD_EEES6_SK_JS6_EEE10hipError_tPvRmT3_T4_T5_T6_T7_T9_mT8_P12ihipStream_tbDpT10_ENKUlT_T0_E_clISt17integral_constantIbLb1EES16_EEDaS11_S12_EUlS11_E_NS1_11comp_targetILNS1_3genE3ELNS1_11target_archE908ELNS1_3gpuE7ELNS1_3repE0EEENS1_30default_config_static_selectorELNS0_4arch9wavefront6targetE1EEEvT1_.num_named_barrier, 0
	.set _ZN7rocprim17ROCPRIM_400000_NS6detail17trampoline_kernelINS0_14default_configENS1_25partition_config_selectorILNS1_17partition_subalgoE5ElNS0_10empty_typeEbEEZZNS1_14partition_implILS5_5ELb0ES3_mN6hipcub16HIPCUB_304000_NS21CountingInputIteratorIllEEPS6_NSA_22TransformInputIteratorIb7NonZeroIfEPflEENS0_5tupleIJPlS6_EEENSJ_IJSD_SD_EEES6_SK_JS6_EEE10hipError_tPvRmT3_T4_T5_T6_T7_T9_mT8_P12ihipStream_tbDpT10_ENKUlT_T0_E_clISt17integral_constantIbLb1EES16_EEDaS11_S12_EUlS11_E_NS1_11comp_targetILNS1_3genE3ELNS1_11target_archE908ELNS1_3gpuE7ELNS1_3repE0EEENS1_30default_config_static_selectorELNS0_4arch9wavefront6targetE1EEEvT1_.private_seg_size, 0
	.set _ZN7rocprim17ROCPRIM_400000_NS6detail17trampoline_kernelINS0_14default_configENS1_25partition_config_selectorILNS1_17partition_subalgoE5ElNS0_10empty_typeEbEEZZNS1_14partition_implILS5_5ELb0ES3_mN6hipcub16HIPCUB_304000_NS21CountingInputIteratorIllEEPS6_NSA_22TransformInputIteratorIb7NonZeroIfEPflEENS0_5tupleIJPlS6_EEENSJ_IJSD_SD_EEES6_SK_JS6_EEE10hipError_tPvRmT3_T4_T5_T6_T7_T9_mT8_P12ihipStream_tbDpT10_ENKUlT_T0_E_clISt17integral_constantIbLb1EES16_EEDaS11_S12_EUlS11_E_NS1_11comp_targetILNS1_3genE3ELNS1_11target_archE908ELNS1_3gpuE7ELNS1_3repE0EEENS1_30default_config_static_selectorELNS0_4arch9wavefront6targetE1EEEvT1_.uses_vcc, 0
	.set _ZN7rocprim17ROCPRIM_400000_NS6detail17trampoline_kernelINS0_14default_configENS1_25partition_config_selectorILNS1_17partition_subalgoE5ElNS0_10empty_typeEbEEZZNS1_14partition_implILS5_5ELb0ES3_mN6hipcub16HIPCUB_304000_NS21CountingInputIteratorIllEEPS6_NSA_22TransformInputIteratorIb7NonZeroIfEPflEENS0_5tupleIJPlS6_EEENSJ_IJSD_SD_EEES6_SK_JS6_EEE10hipError_tPvRmT3_T4_T5_T6_T7_T9_mT8_P12ihipStream_tbDpT10_ENKUlT_T0_E_clISt17integral_constantIbLb1EES16_EEDaS11_S12_EUlS11_E_NS1_11comp_targetILNS1_3genE3ELNS1_11target_archE908ELNS1_3gpuE7ELNS1_3repE0EEENS1_30default_config_static_selectorELNS0_4arch9wavefront6targetE1EEEvT1_.uses_flat_scratch, 0
	.set _ZN7rocprim17ROCPRIM_400000_NS6detail17trampoline_kernelINS0_14default_configENS1_25partition_config_selectorILNS1_17partition_subalgoE5ElNS0_10empty_typeEbEEZZNS1_14partition_implILS5_5ELb0ES3_mN6hipcub16HIPCUB_304000_NS21CountingInputIteratorIllEEPS6_NSA_22TransformInputIteratorIb7NonZeroIfEPflEENS0_5tupleIJPlS6_EEENSJ_IJSD_SD_EEES6_SK_JS6_EEE10hipError_tPvRmT3_T4_T5_T6_T7_T9_mT8_P12ihipStream_tbDpT10_ENKUlT_T0_E_clISt17integral_constantIbLb1EES16_EEDaS11_S12_EUlS11_E_NS1_11comp_targetILNS1_3genE3ELNS1_11target_archE908ELNS1_3gpuE7ELNS1_3repE0EEENS1_30default_config_static_selectorELNS0_4arch9wavefront6targetE1EEEvT1_.has_dyn_sized_stack, 0
	.set _ZN7rocprim17ROCPRIM_400000_NS6detail17trampoline_kernelINS0_14default_configENS1_25partition_config_selectorILNS1_17partition_subalgoE5ElNS0_10empty_typeEbEEZZNS1_14partition_implILS5_5ELb0ES3_mN6hipcub16HIPCUB_304000_NS21CountingInputIteratorIllEEPS6_NSA_22TransformInputIteratorIb7NonZeroIfEPflEENS0_5tupleIJPlS6_EEENSJ_IJSD_SD_EEES6_SK_JS6_EEE10hipError_tPvRmT3_T4_T5_T6_T7_T9_mT8_P12ihipStream_tbDpT10_ENKUlT_T0_E_clISt17integral_constantIbLb1EES16_EEDaS11_S12_EUlS11_E_NS1_11comp_targetILNS1_3genE3ELNS1_11target_archE908ELNS1_3gpuE7ELNS1_3repE0EEENS1_30default_config_static_selectorELNS0_4arch9wavefront6targetE1EEEvT1_.has_recursion, 0
	.set _ZN7rocprim17ROCPRIM_400000_NS6detail17trampoline_kernelINS0_14default_configENS1_25partition_config_selectorILNS1_17partition_subalgoE5ElNS0_10empty_typeEbEEZZNS1_14partition_implILS5_5ELb0ES3_mN6hipcub16HIPCUB_304000_NS21CountingInputIteratorIllEEPS6_NSA_22TransformInputIteratorIb7NonZeroIfEPflEENS0_5tupleIJPlS6_EEENSJ_IJSD_SD_EEES6_SK_JS6_EEE10hipError_tPvRmT3_T4_T5_T6_T7_T9_mT8_P12ihipStream_tbDpT10_ENKUlT_T0_E_clISt17integral_constantIbLb1EES16_EEDaS11_S12_EUlS11_E_NS1_11comp_targetILNS1_3genE3ELNS1_11target_archE908ELNS1_3gpuE7ELNS1_3repE0EEENS1_30default_config_static_selectorELNS0_4arch9wavefront6targetE1EEEvT1_.has_indirect_call, 0
	.section	.AMDGPU.csdata,"",@progbits
; Kernel info:
; codeLenInByte = 0
; TotalNumSgprs: 6
; NumVgprs: 0
; NumAgprs: 0
; TotalNumVgprs: 0
; ScratchSize: 0
; MemoryBound: 0
; FloatMode: 240
; IeeeMode: 1
; LDSByteSize: 0 bytes/workgroup (compile time only)
; SGPRBlocks: 0
; VGPRBlocks: 0
; NumSGPRsForWavesPerEU: 6
; NumVGPRsForWavesPerEU: 1
; AccumOffset: 4
; Occupancy: 8
; WaveLimiterHint : 0
; COMPUTE_PGM_RSRC2:SCRATCH_EN: 0
; COMPUTE_PGM_RSRC2:USER_SGPR: 2
; COMPUTE_PGM_RSRC2:TRAP_HANDLER: 0
; COMPUTE_PGM_RSRC2:TGID_X_EN: 1
; COMPUTE_PGM_RSRC2:TGID_Y_EN: 0
; COMPUTE_PGM_RSRC2:TGID_Z_EN: 0
; COMPUTE_PGM_RSRC2:TIDIG_COMP_CNT: 0
; COMPUTE_PGM_RSRC3_GFX90A:ACCUM_OFFSET: 0
; COMPUTE_PGM_RSRC3_GFX90A:TG_SPLIT: 0
	.section	.text._ZN7rocprim17ROCPRIM_400000_NS6detail17trampoline_kernelINS0_14default_configENS1_25partition_config_selectorILNS1_17partition_subalgoE5ElNS0_10empty_typeEbEEZZNS1_14partition_implILS5_5ELb0ES3_mN6hipcub16HIPCUB_304000_NS21CountingInputIteratorIllEEPS6_NSA_22TransformInputIteratorIb7NonZeroIfEPflEENS0_5tupleIJPlS6_EEENSJ_IJSD_SD_EEES6_SK_JS6_EEE10hipError_tPvRmT3_T4_T5_T6_T7_T9_mT8_P12ihipStream_tbDpT10_ENKUlT_T0_E_clISt17integral_constantIbLb1EES16_EEDaS11_S12_EUlS11_E_NS1_11comp_targetILNS1_3genE2ELNS1_11target_archE906ELNS1_3gpuE6ELNS1_3repE0EEENS1_30default_config_static_selectorELNS0_4arch9wavefront6targetE1EEEvT1_,"axG",@progbits,_ZN7rocprim17ROCPRIM_400000_NS6detail17trampoline_kernelINS0_14default_configENS1_25partition_config_selectorILNS1_17partition_subalgoE5ElNS0_10empty_typeEbEEZZNS1_14partition_implILS5_5ELb0ES3_mN6hipcub16HIPCUB_304000_NS21CountingInputIteratorIllEEPS6_NSA_22TransformInputIteratorIb7NonZeroIfEPflEENS0_5tupleIJPlS6_EEENSJ_IJSD_SD_EEES6_SK_JS6_EEE10hipError_tPvRmT3_T4_T5_T6_T7_T9_mT8_P12ihipStream_tbDpT10_ENKUlT_T0_E_clISt17integral_constantIbLb1EES16_EEDaS11_S12_EUlS11_E_NS1_11comp_targetILNS1_3genE2ELNS1_11target_archE906ELNS1_3gpuE6ELNS1_3repE0EEENS1_30default_config_static_selectorELNS0_4arch9wavefront6targetE1EEEvT1_,comdat
	.protected	_ZN7rocprim17ROCPRIM_400000_NS6detail17trampoline_kernelINS0_14default_configENS1_25partition_config_selectorILNS1_17partition_subalgoE5ElNS0_10empty_typeEbEEZZNS1_14partition_implILS5_5ELb0ES3_mN6hipcub16HIPCUB_304000_NS21CountingInputIteratorIllEEPS6_NSA_22TransformInputIteratorIb7NonZeroIfEPflEENS0_5tupleIJPlS6_EEENSJ_IJSD_SD_EEES6_SK_JS6_EEE10hipError_tPvRmT3_T4_T5_T6_T7_T9_mT8_P12ihipStream_tbDpT10_ENKUlT_T0_E_clISt17integral_constantIbLb1EES16_EEDaS11_S12_EUlS11_E_NS1_11comp_targetILNS1_3genE2ELNS1_11target_archE906ELNS1_3gpuE6ELNS1_3repE0EEENS1_30default_config_static_selectorELNS0_4arch9wavefront6targetE1EEEvT1_ ; -- Begin function _ZN7rocprim17ROCPRIM_400000_NS6detail17trampoline_kernelINS0_14default_configENS1_25partition_config_selectorILNS1_17partition_subalgoE5ElNS0_10empty_typeEbEEZZNS1_14partition_implILS5_5ELb0ES3_mN6hipcub16HIPCUB_304000_NS21CountingInputIteratorIllEEPS6_NSA_22TransformInputIteratorIb7NonZeroIfEPflEENS0_5tupleIJPlS6_EEENSJ_IJSD_SD_EEES6_SK_JS6_EEE10hipError_tPvRmT3_T4_T5_T6_T7_T9_mT8_P12ihipStream_tbDpT10_ENKUlT_T0_E_clISt17integral_constantIbLb1EES16_EEDaS11_S12_EUlS11_E_NS1_11comp_targetILNS1_3genE2ELNS1_11target_archE906ELNS1_3gpuE6ELNS1_3repE0EEENS1_30default_config_static_selectorELNS0_4arch9wavefront6targetE1EEEvT1_
	.globl	_ZN7rocprim17ROCPRIM_400000_NS6detail17trampoline_kernelINS0_14default_configENS1_25partition_config_selectorILNS1_17partition_subalgoE5ElNS0_10empty_typeEbEEZZNS1_14partition_implILS5_5ELb0ES3_mN6hipcub16HIPCUB_304000_NS21CountingInputIteratorIllEEPS6_NSA_22TransformInputIteratorIb7NonZeroIfEPflEENS0_5tupleIJPlS6_EEENSJ_IJSD_SD_EEES6_SK_JS6_EEE10hipError_tPvRmT3_T4_T5_T6_T7_T9_mT8_P12ihipStream_tbDpT10_ENKUlT_T0_E_clISt17integral_constantIbLb1EES16_EEDaS11_S12_EUlS11_E_NS1_11comp_targetILNS1_3genE2ELNS1_11target_archE906ELNS1_3gpuE6ELNS1_3repE0EEENS1_30default_config_static_selectorELNS0_4arch9wavefront6targetE1EEEvT1_
	.p2align	8
	.type	_ZN7rocprim17ROCPRIM_400000_NS6detail17trampoline_kernelINS0_14default_configENS1_25partition_config_selectorILNS1_17partition_subalgoE5ElNS0_10empty_typeEbEEZZNS1_14partition_implILS5_5ELb0ES3_mN6hipcub16HIPCUB_304000_NS21CountingInputIteratorIllEEPS6_NSA_22TransformInputIteratorIb7NonZeroIfEPflEENS0_5tupleIJPlS6_EEENSJ_IJSD_SD_EEES6_SK_JS6_EEE10hipError_tPvRmT3_T4_T5_T6_T7_T9_mT8_P12ihipStream_tbDpT10_ENKUlT_T0_E_clISt17integral_constantIbLb1EES16_EEDaS11_S12_EUlS11_E_NS1_11comp_targetILNS1_3genE2ELNS1_11target_archE906ELNS1_3gpuE6ELNS1_3repE0EEENS1_30default_config_static_selectorELNS0_4arch9wavefront6targetE1EEEvT1_,@function
_ZN7rocprim17ROCPRIM_400000_NS6detail17trampoline_kernelINS0_14default_configENS1_25partition_config_selectorILNS1_17partition_subalgoE5ElNS0_10empty_typeEbEEZZNS1_14partition_implILS5_5ELb0ES3_mN6hipcub16HIPCUB_304000_NS21CountingInputIteratorIllEEPS6_NSA_22TransformInputIteratorIb7NonZeroIfEPflEENS0_5tupleIJPlS6_EEENSJ_IJSD_SD_EEES6_SK_JS6_EEE10hipError_tPvRmT3_T4_T5_T6_T7_T9_mT8_P12ihipStream_tbDpT10_ENKUlT_T0_E_clISt17integral_constantIbLb1EES16_EEDaS11_S12_EUlS11_E_NS1_11comp_targetILNS1_3genE2ELNS1_11target_archE906ELNS1_3gpuE6ELNS1_3repE0EEENS1_30default_config_static_selectorELNS0_4arch9wavefront6targetE1EEEvT1_: ; @_ZN7rocprim17ROCPRIM_400000_NS6detail17trampoline_kernelINS0_14default_configENS1_25partition_config_selectorILNS1_17partition_subalgoE5ElNS0_10empty_typeEbEEZZNS1_14partition_implILS5_5ELb0ES3_mN6hipcub16HIPCUB_304000_NS21CountingInputIteratorIllEEPS6_NSA_22TransformInputIteratorIb7NonZeroIfEPflEENS0_5tupleIJPlS6_EEENSJ_IJSD_SD_EEES6_SK_JS6_EEE10hipError_tPvRmT3_T4_T5_T6_T7_T9_mT8_P12ihipStream_tbDpT10_ENKUlT_T0_E_clISt17integral_constantIbLb1EES16_EEDaS11_S12_EUlS11_E_NS1_11comp_targetILNS1_3genE2ELNS1_11target_archE906ELNS1_3gpuE6ELNS1_3repE0EEENS1_30default_config_static_selectorELNS0_4arch9wavefront6targetE1EEEvT1_
; %bb.0:
	.section	.rodata,"a",@progbits
	.p2align	6, 0x0
	.amdhsa_kernel _ZN7rocprim17ROCPRIM_400000_NS6detail17trampoline_kernelINS0_14default_configENS1_25partition_config_selectorILNS1_17partition_subalgoE5ElNS0_10empty_typeEbEEZZNS1_14partition_implILS5_5ELb0ES3_mN6hipcub16HIPCUB_304000_NS21CountingInputIteratorIllEEPS6_NSA_22TransformInputIteratorIb7NonZeroIfEPflEENS0_5tupleIJPlS6_EEENSJ_IJSD_SD_EEES6_SK_JS6_EEE10hipError_tPvRmT3_T4_T5_T6_T7_T9_mT8_P12ihipStream_tbDpT10_ENKUlT_T0_E_clISt17integral_constantIbLb1EES16_EEDaS11_S12_EUlS11_E_NS1_11comp_targetILNS1_3genE2ELNS1_11target_archE906ELNS1_3gpuE6ELNS1_3repE0EEENS1_30default_config_static_selectorELNS0_4arch9wavefront6targetE1EEEvT1_
		.amdhsa_group_segment_fixed_size 0
		.amdhsa_private_segment_fixed_size 0
		.amdhsa_kernarg_size 136
		.amdhsa_user_sgpr_count 2
		.amdhsa_user_sgpr_dispatch_ptr 0
		.amdhsa_user_sgpr_queue_ptr 0
		.amdhsa_user_sgpr_kernarg_segment_ptr 1
		.amdhsa_user_sgpr_dispatch_id 0
		.amdhsa_user_sgpr_kernarg_preload_length 0
		.amdhsa_user_sgpr_kernarg_preload_offset 0
		.amdhsa_user_sgpr_private_segment_size 0
		.amdhsa_uses_dynamic_stack 0
		.amdhsa_enable_private_segment 0
		.amdhsa_system_sgpr_workgroup_id_x 1
		.amdhsa_system_sgpr_workgroup_id_y 0
		.amdhsa_system_sgpr_workgroup_id_z 0
		.amdhsa_system_sgpr_workgroup_info 0
		.amdhsa_system_vgpr_workitem_id 0
		.amdhsa_next_free_vgpr 1
		.amdhsa_next_free_sgpr 0
		.amdhsa_accum_offset 4
		.amdhsa_reserve_vcc 0
		.amdhsa_float_round_mode_32 0
		.amdhsa_float_round_mode_16_64 0
		.amdhsa_float_denorm_mode_32 3
		.amdhsa_float_denorm_mode_16_64 3
		.amdhsa_dx10_clamp 1
		.amdhsa_ieee_mode 1
		.amdhsa_fp16_overflow 0
		.amdhsa_tg_split 0
		.amdhsa_exception_fp_ieee_invalid_op 0
		.amdhsa_exception_fp_denorm_src 0
		.amdhsa_exception_fp_ieee_div_zero 0
		.amdhsa_exception_fp_ieee_overflow 0
		.amdhsa_exception_fp_ieee_underflow 0
		.amdhsa_exception_fp_ieee_inexact 0
		.amdhsa_exception_int_div_zero 0
	.end_amdhsa_kernel
	.section	.text._ZN7rocprim17ROCPRIM_400000_NS6detail17trampoline_kernelINS0_14default_configENS1_25partition_config_selectorILNS1_17partition_subalgoE5ElNS0_10empty_typeEbEEZZNS1_14partition_implILS5_5ELb0ES3_mN6hipcub16HIPCUB_304000_NS21CountingInputIteratorIllEEPS6_NSA_22TransformInputIteratorIb7NonZeroIfEPflEENS0_5tupleIJPlS6_EEENSJ_IJSD_SD_EEES6_SK_JS6_EEE10hipError_tPvRmT3_T4_T5_T6_T7_T9_mT8_P12ihipStream_tbDpT10_ENKUlT_T0_E_clISt17integral_constantIbLb1EES16_EEDaS11_S12_EUlS11_E_NS1_11comp_targetILNS1_3genE2ELNS1_11target_archE906ELNS1_3gpuE6ELNS1_3repE0EEENS1_30default_config_static_selectorELNS0_4arch9wavefront6targetE1EEEvT1_,"axG",@progbits,_ZN7rocprim17ROCPRIM_400000_NS6detail17trampoline_kernelINS0_14default_configENS1_25partition_config_selectorILNS1_17partition_subalgoE5ElNS0_10empty_typeEbEEZZNS1_14partition_implILS5_5ELb0ES3_mN6hipcub16HIPCUB_304000_NS21CountingInputIteratorIllEEPS6_NSA_22TransformInputIteratorIb7NonZeroIfEPflEENS0_5tupleIJPlS6_EEENSJ_IJSD_SD_EEES6_SK_JS6_EEE10hipError_tPvRmT3_T4_T5_T6_T7_T9_mT8_P12ihipStream_tbDpT10_ENKUlT_T0_E_clISt17integral_constantIbLb1EES16_EEDaS11_S12_EUlS11_E_NS1_11comp_targetILNS1_3genE2ELNS1_11target_archE906ELNS1_3gpuE6ELNS1_3repE0EEENS1_30default_config_static_selectorELNS0_4arch9wavefront6targetE1EEEvT1_,comdat
.Lfunc_end265:
	.size	_ZN7rocprim17ROCPRIM_400000_NS6detail17trampoline_kernelINS0_14default_configENS1_25partition_config_selectorILNS1_17partition_subalgoE5ElNS0_10empty_typeEbEEZZNS1_14partition_implILS5_5ELb0ES3_mN6hipcub16HIPCUB_304000_NS21CountingInputIteratorIllEEPS6_NSA_22TransformInputIteratorIb7NonZeroIfEPflEENS0_5tupleIJPlS6_EEENSJ_IJSD_SD_EEES6_SK_JS6_EEE10hipError_tPvRmT3_T4_T5_T6_T7_T9_mT8_P12ihipStream_tbDpT10_ENKUlT_T0_E_clISt17integral_constantIbLb1EES16_EEDaS11_S12_EUlS11_E_NS1_11comp_targetILNS1_3genE2ELNS1_11target_archE906ELNS1_3gpuE6ELNS1_3repE0EEENS1_30default_config_static_selectorELNS0_4arch9wavefront6targetE1EEEvT1_, .Lfunc_end265-_ZN7rocprim17ROCPRIM_400000_NS6detail17trampoline_kernelINS0_14default_configENS1_25partition_config_selectorILNS1_17partition_subalgoE5ElNS0_10empty_typeEbEEZZNS1_14partition_implILS5_5ELb0ES3_mN6hipcub16HIPCUB_304000_NS21CountingInputIteratorIllEEPS6_NSA_22TransformInputIteratorIb7NonZeroIfEPflEENS0_5tupleIJPlS6_EEENSJ_IJSD_SD_EEES6_SK_JS6_EEE10hipError_tPvRmT3_T4_T5_T6_T7_T9_mT8_P12ihipStream_tbDpT10_ENKUlT_T0_E_clISt17integral_constantIbLb1EES16_EEDaS11_S12_EUlS11_E_NS1_11comp_targetILNS1_3genE2ELNS1_11target_archE906ELNS1_3gpuE6ELNS1_3repE0EEENS1_30default_config_static_selectorELNS0_4arch9wavefront6targetE1EEEvT1_
                                        ; -- End function
	.set _ZN7rocprim17ROCPRIM_400000_NS6detail17trampoline_kernelINS0_14default_configENS1_25partition_config_selectorILNS1_17partition_subalgoE5ElNS0_10empty_typeEbEEZZNS1_14partition_implILS5_5ELb0ES3_mN6hipcub16HIPCUB_304000_NS21CountingInputIteratorIllEEPS6_NSA_22TransformInputIteratorIb7NonZeroIfEPflEENS0_5tupleIJPlS6_EEENSJ_IJSD_SD_EEES6_SK_JS6_EEE10hipError_tPvRmT3_T4_T5_T6_T7_T9_mT8_P12ihipStream_tbDpT10_ENKUlT_T0_E_clISt17integral_constantIbLb1EES16_EEDaS11_S12_EUlS11_E_NS1_11comp_targetILNS1_3genE2ELNS1_11target_archE906ELNS1_3gpuE6ELNS1_3repE0EEENS1_30default_config_static_selectorELNS0_4arch9wavefront6targetE1EEEvT1_.num_vgpr, 0
	.set _ZN7rocprim17ROCPRIM_400000_NS6detail17trampoline_kernelINS0_14default_configENS1_25partition_config_selectorILNS1_17partition_subalgoE5ElNS0_10empty_typeEbEEZZNS1_14partition_implILS5_5ELb0ES3_mN6hipcub16HIPCUB_304000_NS21CountingInputIteratorIllEEPS6_NSA_22TransformInputIteratorIb7NonZeroIfEPflEENS0_5tupleIJPlS6_EEENSJ_IJSD_SD_EEES6_SK_JS6_EEE10hipError_tPvRmT3_T4_T5_T6_T7_T9_mT8_P12ihipStream_tbDpT10_ENKUlT_T0_E_clISt17integral_constantIbLb1EES16_EEDaS11_S12_EUlS11_E_NS1_11comp_targetILNS1_3genE2ELNS1_11target_archE906ELNS1_3gpuE6ELNS1_3repE0EEENS1_30default_config_static_selectorELNS0_4arch9wavefront6targetE1EEEvT1_.num_agpr, 0
	.set _ZN7rocprim17ROCPRIM_400000_NS6detail17trampoline_kernelINS0_14default_configENS1_25partition_config_selectorILNS1_17partition_subalgoE5ElNS0_10empty_typeEbEEZZNS1_14partition_implILS5_5ELb0ES3_mN6hipcub16HIPCUB_304000_NS21CountingInputIteratorIllEEPS6_NSA_22TransformInputIteratorIb7NonZeroIfEPflEENS0_5tupleIJPlS6_EEENSJ_IJSD_SD_EEES6_SK_JS6_EEE10hipError_tPvRmT3_T4_T5_T6_T7_T9_mT8_P12ihipStream_tbDpT10_ENKUlT_T0_E_clISt17integral_constantIbLb1EES16_EEDaS11_S12_EUlS11_E_NS1_11comp_targetILNS1_3genE2ELNS1_11target_archE906ELNS1_3gpuE6ELNS1_3repE0EEENS1_30default_config_static_selectorELNS0_4arch9wavefront6targetE1EEEvT1_.numbered_sgpr, 0
	.set _ZN7rocprim17ROCPRIM_400000_NS6detail17trampoline_kernelINS0_14default_configENS1_25partition_config_selectorILNS1_17partition_subalgoE5ElNS0_10empty_typeEbEEZZNS1_14partition_implILS5_5ELb0ES3_mN6hipcub16HIPCUB_304000_NS21CountingInputIteratorIllEEPS6_NSA_22TransformInputIteratorIb7NonZeroIfEPflEENS0_5tupleIJPlS6_EEENSJ_IJSD_SD_EEES6_SK_JS6_EEE10hipError_tPvRmT3_T4_T5_T6_T7_T9_mT8_P12ihipStream_tbDpT10_ENKUlT_T0_E_clISt17integral_constantIbLb1EES16_EEDaS11_S12_EUlS11_E_NS1_11comp_targetILNS1_3genE2ELNS1_11target_archE906ELNS1_3gpuE6ELNS1_3repE0EEENS1_30default_config_static_selectorELNS0_4arch9wavefront6targetE1EEEvT1_.num_named_barrier, 0
	.set _ZN7rocprim17ROCPRIM_400000_NS6detail17trampoline_kernelINS0_14default_configENS1_25partition_config_selectorILNS1_17partition_subalgoE5ElNS0_10empty_typeEbEEZZNS1_14partition_implILS5_5ELb0ES3_mN6hipcub16HIPCUB_304000_NS21CountingInputIteratorIllEEPS6_NSA_22TransformInputIteratorIb7NonZeroIfEPflEENS0_5tupleIJPlS6_EEENSJ_IJSD_SD_EEES6_SK_JS6_EEE10hipError_tPvRmT3_T4_T5_T6_T7_T9_mT8_P12ihipStream_tbDpT10_ENKUlT_T0_E_clISt17integral_constantIbLb1EES16_EEDaS11_S12_EUlS11_E_NS1_11comp_targetILNS1_3genE2ELNS1_11target_archE906ELNS1_3gpuE6ELNS1_3repE0EEENS1_30default_config_static_selectorELNS0_4arch9wavefront6targetE1EEEvT1_.private_seg_size, 0
	.set _ZN7rocprim17ROCPRIM_400000_NS6detail17trampoline_kernelINS0_14default_configENS1_25partition_config_selectorILNS1_17partition_subalgoE5ElNS0_10empty_typeEbEEZZNS1_14partition_implILS5_5ELb0ES3_mN6hipcub16HIPCUB_304000_NS21CountingInputIteratorIllEEPS6_NSA_22TransformInputIteratorIb7NonZeroIfEPflEENS0_5tupleIJPlS6_EEENSJ_IJSD_SD_EEES6_SK_JS6_EEE10hipError_tPvRmT3_T4_T5_T6_T7_T9_mT8_P12ihipStream_tbDpT10_ENKUlT_T0_E_clISt17integral_constantIbLb1EES16_EEDaS11_S12_EUlS11_E_NS1_11comp_targetILNS1_3genE2ELNS1_11target_archE906ELNS1_3gpuE6ELNS1_3repE0EEENS1_30default_config_static_selectorELNS0_4arch9wavefront6targetE1EEEvT1_.uses_vcc, 0
	.set _ZN7rocprim17ROCPRIM_400000_NS6detail17trampoline_kernelINS0_14default_configENS1_25partition_config_selectorILNS1_17partition_subalgoE5ElNS0_10empty_typeEbEEZZNS1_14partition_implILS5_5ELb0ES3_mN6hipcub16HIPCUB_304000_NS21CountingInputIteratorIllEEPS6_NSA_22TransformInputIteratorIb7NonZeroIfEPflEENS0_5tupleIJPlS6_EEENSJ_IJSD_SD_EEES6_SK_JS6_EEE10hipError_tPvRmT3_T4_T5_T6_T7_T9_mT8_P12ihipStream_tbDpT10_ENKUlT_T0_E_clISt17integral_constantIbLb1EES16_EEDaS11_S12_EUlS11_E_NS1_11comp_targetILNS1_3genE2ELNS1_11target_archE906ELNS1_3gpuE6ELNS1_3repE0EEENS1_30default_config_static_selectorELNS0_4arch9wavefront6targetE1EEEvT1_.uses_flat_scratch, 0
	.set _ZN7rocprim17ROCPRIM_400000_NS6detail17trampoline_kernelINS0_14default_configENS1_25partition_config_selectorILNS1_17partition_subalgoE5ElNS0_10empty_typeEbEEZZNS1_14partition_implILS5_5ELb0ES3_mN6hipcub16HIPCUB_304000_NS21CountingInputIteratorIllEEPS6_NSA_22TransformInputIteratorIb7NonZeroIfEPflEENS0_5tupleIJPlS6_EEENSJ_IJSD_SD_EEES6_SK_JS6_EEE10hipError_tPvRmT3_T4_T5_T6_T7_T9_mT8_P12ihipStream_tbDpT10_ENKUlT_T0_E_clISt17integral_constantIbLb1EES16_EEDaS11_S12_EUlS11_E_NS1_11comp_targetILNS1_3genE2ELNS1_11target_archE906ELNS1_3gpuE6ELNS1_3repE0EEENS1_30default_config_static_selectorELNS0_4arch9wavefront6targetE1EEEvT1_.has_dyn_sized_stack, 0
	.set _ZN7rocprim17ROCPRIM_400000_NS6detail17trampoline_kernelINS0_14default_configENS1_25partition_config_selectorILNS1_17partition_subalgoE5ElNS0_10empty_typeEbEEZZNS1_14partition_implILS5_5ELb0ES3_mN6hipcub16HIPCUB_304000_NS21CountingInputIteratorIllEEPS6_NSA_22TransformInputIteratorIb7NonZeroIfEPflEENS0_5tupleIJPlS6_EEENSJ_IJSD_SD_EEES6_SK_JS6_EEE10hipError_tPvRmT3_T4_T5_T6_T7_T9_mT8_P12ihipStream_tbDpT10_ENKUlT_T0_E_clISt17integral_constantIbLb1EES16_EEDaS11_S12_EUlS11_E_NS1_11comp_targetILNS1_3genE2ELNS1_11target_archE906ELNS1_3gpuE6ELNS1_3repE0EEENS1_30default_config_static_selectorELNS0_4arch9wavefront6targetE1EEEvT1_.has_recursion, 0
	.set _ZN7rocprim17ROCPRIM_400000_NS6detail17trampoline_kernelINS0_14default_configENS1_25partition_config_selectorILNS1_17partition_subalgoE5ElNS0_10empty_typeEbEEZZNS1_14partition_implILS5_5ELb0ES3_mN6hipcub16HIPCUB_304000_NS21CountingInputIteratorIllEEPS6_NSA_22TransformInputIteratorIb7NonZeroIfEPflEENS0_5tupleIJPlS6_EEENSJ_IJSD_SD_EEES6_SK_JS6_EEE10hipError_tPvRmT3_T4_T5_T6_T7_T9_mT8_P12ihipStream_tbDpT10_ENKUlT_T0_E_clISt17integral_constantIbLb1EES16_EEDaS11_S12_EUlS11_E_NS1_11comp_targetILNS1_3genE2ELNS1_11target_archE906ELNS1_3gpuE6ELNS1_3repE0EEENS1_30default_config_static_selectorELNS0_4arch9wavefront6targetE1EEEvT1_.has_indirect_call, 0
	.section	.AMDGPU.csdata,"",@progbits
; Kernel info:
; codeLenInByte = 0
; TotalNumSgprs: 6
; NumVgprs: 0
; NumAgprs: 0
; TotalNumVgprs: 0
; ScratchSize: 0
; MemoryBound: 0
; FloatMode: 240
; IeeeMode: 1
; LDSByteSize: 0 bytes/workgroup (compile time only)
; SGPRBlocks: 0
; VGPRBlocks: 0
; NumSGPRsForWavesPerEU: 6
; NumVGPRsForWavesPerEU: 1
; AccumOffset: 4
; Occupancy: 8
; WaveLimiterHint : 0
; COMPUTE_PGM_RSRC2:SCRATCH_EN: 0
; COMPUTE_PGM_RSRC2:USER_SGPR: 2
; COMPUTE_PGM_RSRC2:TRAP_HANDLER: 0
; COMPUTE_PGM_RSRC2:TGID_X_EN: 1
; COMPUTE_PGM_RSRC2:TGID_Y_EN: 0
; COMPUTE_PGM_RSRC2:TGID_Z_EN: 0
; COMPUTE_PGM_RSRC2:TIDIG_COMP_CNT: 0
; COMPUTE_PGM_RSRC3_GFX90A:ACCUM_OFFSET: 0
; COMPUTE_PGM_RSRC3_GFX90A:TG_SPLIT: 0
	.section	.text._ZN7rocprim17ROCPRIM_400000_NS6detail17trampoline_kernelINS0_14default_configENS1_25partition_config_selectorILNS1_17partition_subalgoE5ElNS0_10empty_typeEbEEZZNS1_14partition_implILS5_5ELb0ES3_mN6hipcub16HIPCUB_304000_NS21CountingInputIteratorIllEEPS6_NSA_22TransformInputIteratorIb7NonZeroIfEPflEENS0_5tupleIJPlS6_EEENSJ_IJSD_SD_EEES6_SK_JS6_EEE10hipError_tPvRmT3_T4_T5_T6_T7_T9_mT8_P12ihipStream_tbDpT10_ENKUlT_T0_E_clISt17integral_constantIbLb1EES16_EEDaS11_S12_EUlS11_E_NS1_11comp_targetILNS1_3genE10ELNS1_11target_archE1200ELNS1_3gpuE4ELNS1_3repE0EEENS1_30default_config_static_selectorELNS0_4arch9wavefront6targetE1EEEvT1_,"axG",@progbits,_ZN7rocprim17ROCPRIM_400000_NS6detail17trampoline_kernelINS0_14default_configENS1_25partition_config_selectorILNS1_17partition_subalgoE5ElNS0_10empty_typeEbEEZZNS1_14partition_implILS5_5ELb0ES3_mN6hipcub16HIPCUB_304000_NS21CountingInputIteratorIllEEPS6_NSA_22TransformInputIteratorIb7NonZeroIfEPflEENS0_5tupleIJPlS6_EEENSJ_IJSD_SD_EEES6_SK_JS6_EEE10hipError_tPvRmT3_T4_T5_T6_T7_T9_mT8_P12ihipStream_tbDpT10_ENKUlT_T0_E_clISt17integral_constantIbLb1EES16_EEDaS11_S12_EUlS11_E_NS1_11comp_targetILNS1_3genE10ELNS1_11target_archE1200ELNS1_3gpuE4ELNS1_3repE0EEENS1_30default_config_static_selectorELNS0_4arch9wavefront6targetE1EEEvT1_,comdat
	.protected	_ZN7rocprim17ROCPRIM_400000_NS6detail17trampoline_kernelINS0_14default_configENS1_25partition_config_selectorILNS1_17partition_subalgoE5ElNS0_10empty_typeEbEEZZNS1_14partition_implILS5_5ELb0ES3_mN6hipcub16HIPCUB_304000_NS21CountingInputIteratorIllEEPS6_NSA_22TransformInputIteratorIb7NonZeroIfEPflEENS0_5tupleIJPlS6_EEENSJ_IJSD_SD_EEES6_SK_JS6_EEE10hipError_tPvRmT3_T4_T5_T6_T7_T9_mT8_P12ihipStream_tbDpT10_ENKUlT_T0_E_clISt17integral_constantIbLb1EES16_EEDaS11_S12_EUlS11_E_NS1_11comp_targetILNS1_3genE10ELNS1_11target_archE1200ELNS1_3gpuE4ELNS1_3repE0EEENS1_30default_config_static_selectorELNS0_4arch9wavefront6targetE1EEEvT1_ ; -- Begin function _ZN7rocprim17ROCPRIM_400000_NS6detail17trampoline_kernelINS0_14default_configENS1_25partition_config_selectorILNS1_17partition_subalgoE5ElNS0_10empty_typeEbEEZZNS1_14partition_implILS5_5ELb0ES3_mN6hipcub16HIPCUB_304000_NS21CountingInputIteratorIllEEPS6_NSA_22TransformInputIteratorIb7NonZeroIfEPflEENS0_5tupleIJPlS6_EEENSJ_IJSD_SD_EEES6_SK_JS6_EEE10hipError_tPvRmT3_T4_T5_T6_T7_T9_mT8_P12ihipStream_tbDpT10_ENKUlT_T0_E_clISt17integral_constantIbLb1EES16_EEDaS11_S12_EUlS11_E_NS1_11comp_targetILNS1_3genE10ELNS1_11target_archE1200ELNS1_3gpuE4ELNS1_3repE0EEENS1_30default_config_static_selectorELNS0_4arch9wavefront6targetE1EEEvT1_
	.globl	_ZN7rocprim17ROCPRIM_400000_NS6detail17trampoline_kernelINS0_14default_configENS1_25partition_config_selectorILNS1_17partition_subalgoE5ElNS0_10empty_typeEbEEZZNS1_14partition_implILS5_5ELb0ES3_mN6hipcub16HIPCUB_304000_NS21CountingInputIteratorIllEEPS6_NSA_22TransformInputIteratorIb7NonZeroIfEPflEENS0_5tupleIJPlS6_EEENSJ_IJSD_SD_EEES6_SK_JS6_EEE10hipError_tPvRmT3_T4_T5_T6_T7_T9_mT8_P12ihipStream_tbDpT10_ENKUlT_T0_E_clISt17integral_constantIbLb1EES16_EEDaS11_S12_EUlS11_E_NS1_11comp_targetILNS1_3genE10ELNS1_11target_archE1200ELNS1_3gpuE4ELNS1_3repE0EEENS1_30default_config_static_selectorELNS0_4arch9wavefront6targetE1EEEvT1_
	.p2align	8
	.type	_ZN7rocprim17ROCPRIM_400000_NS6detail17trampoline_kernelINS0_14default_configENS1_25partition_config_selectorILNS1_17partition_subalgoE5ElNS0_10empty_typeEbEEZZNS1_14partition_implILS5_5ELb0ES3_mN6hipcub16HIPCUB_304000_NS21CountingInputIteratorIllEEPS6_NSA_22TransformInputIteratorIb7NonZeroIfEPflEENS0_5tupleIJPlS6_EEENSJ_IJSD_SD_EEES6_SK_JS6_EEE10hipError_tPvRmT3_T4_T5_T6_T7_T9_mT8_P12ihipStream_tbDpT10_ENKUlT_T0_E_clISt17integral_constantIbLb1EES16_EEDaS11_S12_EUlS11_E_NS1_11comp_targetILNS1_3genE10ELNS1_11target_archE1200ELNS1_3gpuE4ELNS1_3repE0EEENS1_30default_config_static_selectorELNS0_4arch9wavefront6targetE1EEEvT1_,@function
_ZN7rocprim17ROCPRIM_400000_NS6detail17trampoline_kernelINS0_14default_configENS1_25partition_config_selectorILNS1_17partition_subalgoE5ElNS0_10empty_typeEbEEZZNS1_14partition_implILS5_5ELb0ES3_mN6hipcub16HIPCUB_304000_NS21CountingInputIteratorIllEEPS6_NSA_22TransformInputIteratorIb7NonZeroIfEPflEENS0_5tupleIJPlS6_EEENSJ_IJSD_SD_EEES6_SK_JS6_EEE10hipError_tPvRmT3_T4_T5_T6_T7_T9_mT8_P12ihipStream_tbDpT10_ENKUlT_T0_E_clISt17integral_constantIbLb1EES16_EEDaS11_S12_EUlS11_E_NS1_11comp_targetILNS1_3genE10ELNS1_11target_archE1200ELNS1_3gpuE4ELNS1_3repE0EEENS1_30default_config_static_selectorELNS0_4arch9wavefront6targetE1EEEvT1_: ; @_ZN7rocprim17ROCPRIM_400000_NS6detail17trampoline_kernelINS0_14default_configENS1_25partition_config_selectorILNS1_17partition_subalgoE5ElNS0_10empty_typeEbEEZZNS1_14partition_implILS5_5ELb0ES3_mN6hipcub16HIPCUB_304000_NS21CountingInputIteratorIllEEPS6_NSA_22TransformInputIteratorIb7NonZeroIfEPflEENS0_5tupleIJPlS6_EEENSJ_IJSD_SD_EEES6_SK_JS6_EEE10hipError_tPvRmT3_T4_T5_T6_T7_T9_mT8_P12ihipStream_tbDpT10_ENKUlT_T0_E_clISt17integral_constantIbLb1EES16_EEDaS11_S12_EUlS11_E_NS1_11comp_targetILNS1_3genE10ELNS1_11target_archE1200ELNS1_3gpuE4ELNS1_3repE0EEENS1_30default_config_static_selectorELNS0_4arch9wavefront6targetE1EEEvT1_
; %bb.0:
	.section	.rodata,"a",@progbits
	.p2align	6, 0x0
	.amdhsa_kernel _ZN7rocprim17ROCPRIM_400000_NS6detail17trampoline_kernelINS0_14default_configENS1_25partition_config_selectorILNS1_17partition_subalgoE5ElNS0_10empty_typeEbEEZZNS1_14partition_implILS5_5ELb0ES3_mN6hipcub16HIPCUB_304000_NS21CountingInputIteratorIllEEPS6_NSA_22TransformInputIteratorIb7NonZeroIfEPflEENS0_5tupleIJPlS6_EEENSJ_IJSD_SD_EEES6_SK_JS6_EEE10hipError_tPvRmT3_T4_T5_T6_T7_T9_mT8_P12ihipStream_tbDpT10_ENKUlT_T0_E_clISt17integral_constantIbLb1EES16_EEDaS11_S12_EUlS11_E_NS1_11comp_targetILNS1_3genE10ELNS1_11target_archE1200ELNS1_3gpuE4ELNS1_3repE0EEENS1_30default_config_static_selectorELNS0_4arch9wavefront6targetE1EEEvT1_
		.amdhsa_group_segment_fixed_size 0
		.amdhsa_private_segment_fixed_size 0
		.amdhsa_kernarg_size 136
		.amdhsa_user_sgpr_count 2
		.amdhsa_user_sgpr_dispatch_ptr 0
		.amdhsa_user_sgpr_queue_ptr 0
		.amdhsa_user_sgpr_kernarg_segment_ptr 1
		.amdhsa_user_sgpr_dispatch_id 0
		.amdhsa_user_sgpr_kernarg_preload_length 0
		.amdhsa_user_sgpr_kernarg_preload_offset 0
		.amdhsa_user_sgpr_private_segment_size 0
		.amdhsa_uses_dynamic_stack 0
		.amdhsa_enable_private_segment 0
		.amdhsa_system_sgpr_workgroup_id_x 1
		.amdhsa_system_sgpr_workgroup_id_y 0
		.amdhsa_system_sgpr_workgroup_id_z 0
		.amdhsa_system_sgpr_workgroup_info 0
		.amdhsa_system_vgpr_workitem_id 0
		.amdhsa_next_free_vgpr 1
		.amdhsa_next_free_sgpr 0
		.amdhsa_accum_offset 4
		.amdhsa_reserve_vcc 0
		.amdhsa_float_round_mode_32 0
		.amdhsa_float_round_mode_16_64 0
		.amdhsa_float_denorm_mode_32 3
		.amdhsa_float_denorm_mode_16_64 3
		.amdhsa_dx10_clamp 1
		.amdhsa_ieee_mode 1
		.amdhsa_fp16_overflow 0
		.amdhsa_tg_split 0
		.amdhsa_exception_fp_ieee_invalid_op 0
		.amdhsa_exception_fp_denorm_src 0
		.amdhsa_exception_fp_ieee_div_zero 0
		.amdhsa_exception_fp_ieee_overflow 0
		.amdhsa_exception_fp_ieee_underflow 0
		.amdhsa_exception_fp_ieee_inexact 0
		.amdhsa_exception_int_div_zero 0
	.end_amdhsa_kernel
	.section	.text._ZN7rocprim17ROCPRIM_400000_NS6detail17trampoline_kernelINS0_14default_configENS1_25partition_config_selectorILNS1_17partition_subalgoE5ElNS0_10empty_typeEbEEZZNS1_14partition_implILS5_5ELb0ES3_mN6hipcub16HIPCUB_304000_NS21CountingInputIteratorIllEEPS6_NSA_22TransformInputIteratorIb7NonZeroIfEPflEENS0_5tupleIJPlS6_EEENSJ_IJSD_SD_EEES6_SK_JS6_EEE10hipError_tPvRmT3_T4_T5_T6_T7_T9_mT8_P12ihipStream_tbDpT10_ENKUlT_T0_E_clISt17integral_constantIbLb1EES16_EEDaS11_S12_EUlS11_E_NS1_11comp_targetILNS1_3genE10ELNS1_11target_archE1200ELNS1_3gpuE4ELNS1_3repE0EEENS1_30default_config_static_selectorELNS0_4arch9wavefront6targetE1EEEvT1_,"axG",@progbits,_ZN7rocprim17ROCPRIM_400000_NS6detail17trampoline_kernelINS0_14default_configENS1_25partition_config_selectorILNS1_17partition_subalgoE5ElNS0_10empty_typeEbEEZZNS1_14partition_implILS5_5ELb0ES3_mN6hipcub16HIPCUB_304000_NS21CountingInputIteratorIllEEPS6_NSA_22TransformInputIteratorIb7NonZeroIfEPflEENS0_5tupleIJPlS6_EEENSJ_IJSD_SD_EEES6_SK_JS6_EEE10hipError_tPvRmT3_T4_T5_T6_T7_T9_mT8_P12ihipStream_tbDpT10_ENKUlT_T0_E_clISt17integral_constantIbLb1EES16_EEDaS11_S12_EUlS11_E_NS1_11comp_targetILNS1_3genE10ELNS1_11target_archE1200ELNS1_3gpuE4ELNS1_3repE0EEENS1_30default_config_static_selectorELNS0_4arch9wavefront6targetE1EEEvT1_,comdat
.Lfunc_end266:
	.size	_ZN7rocprim17ROCPRIM_400000_NS6detail17trampoline_kernelINS0_14default_configENS1_25partition_config_selectorILNS1_17partition_subalgoE5ElNS0_10empty_typeEbEEZZNS1_14partition_implILS5_5ELb0ES3_mN6hipcub16HIPCUB_304000_NS21CountingInputIteratorIllEEPS6_NSA_22TransformInputIteratorIb7NonZeroIfEPflEENS0_5tupleIJPlS6_EEENSJ_IJSD_SD_EEES6_SK_JS6_EEE10hipError_tPvRmT3_T4_T5_T6_T7_T9_mT8_P12ihipStream_tbDpT10_ENKUlT_T0_E_clISt17integral_constantIbLb1EES16_EEDaS11_S12_EUlS11_E_NS1_11comp_targetILNS1_3genE10ELNS1_11target_archE1200ELNS1_3gpuE4ELNS1_3repE0EEENS1_30default_config_static_selectorELNS0_4arch9wavefront6targetE1EEEvT1_, .Lfunc_end266-_ZN7rocprim17ROCPRIM_400000_NS6detail17trampoline_kernelINS0_14default_configENS1_25partition_config_selectorILNS1_17partition_subalgoE5ElNS0_10empty_typeEbEEZZNS1_14partition_implILS5_5ELb0ES3_mN6hipcub16HIPCUB_304000_NS21CountingInputIteratorIllEEPS6_NSA_22TransformInputIteratorIb7NonZeroIfEPflEENS0_5tupleIJPlS6_EEENSJ_IJSD_SD_EEES6_SK_JS6_EEE10hipError_tPvRmT3_T4_T5_T6_T7_T9_mT8_P12ihipStream_tbDpT10_ENKUlT_T0_E_clISt17integral_constantIbLb1EES16_EEDaS11_S12_EUlS11_E_NS1_11comp_targetILNS1_3genE10ELNS1_11target_archE1200ELNS1_3gpuE4ELNS1_3repE0EEENS1_30default_config_static_selectorELNS0_4arch9wavefront6targetE1EEEvT1_
                                        ; -- End function
	.set _ZN7rocprim17ROCPRIM_400000_NS6detail17trampoline_kernelINS0_14default_configENS1_25partition_config_selectorILNS1_17partition_subalgoE5ElNS0_10empty_typeEbEEZZNS1_14partition_implILS5_5ELb0ES3_mN6hipcub16HIPCUB_304000_NS21CountingInputIteratorIllEEPS6_NSA_22TransformInputIteratorIb7NonZeroIfEPflEENS0_5tupleIJPlS6_EEENSJ_IJSD_SD_EEES6_SK_JS6_EEE10hipError_tPvRmT3_T4_T5_T6_T7_T9_mT8_P12ihipStream_tbDpT10_ENKUlT_T0_E_clISt17integral_constantIbLb1EES16_EEDaS11_S12_EUlS11_E_NS1_11comp_targetILNS1_3genE10ELNS1_11target_archE1200ELNS1_3gpuE4ELNS1_3repE0EEENS1_30default_config_static_selectorELNS0_4arch9wavefront6targetE1EEEvT1_.num_vgpr, 0
	.set _ZN7rocprim17ROCPRIM_400000_NS6detail17trampoline_kernelINS0_14default_configENS1_25partition_config_selectorILNS1_17partition_subalgoE5ElNS0_10empty_typeEbEEZZNS1_14partition_implILS5_5ELb0ES3_mN6hipcub16HIPCUB_304000_NS21CountingInputIteratorIllEEPS6_NSA_22TransformInputIteratorIb7NonZeroIfEPflEENS0_5tupleIJPlS6_EEENSJ_IJSD_SD_EEES6_SK_JS6_EEE10hipError_tPvRmT3_T4_T5_T6_T7_T9_mT8_P12ihipStream_tbDpT10_ENKUlT_T0_E_clISt17integral_constantIbLb1EES16_EEDaS11_S12_EUlS11_E_NS1_11comp_targetILNS1_3genE10ELNS1_11target_archE1200ELNS1_3gpuE4ELNS1_3repE0EEENS1_30default_config_static_selectorELNS0_4arch9wavefront6targetE1EEEvT1_.num_agpr, 0
	.set _ZN7rocprim17ROCPRIM_400000_NS6detail17trampoline_kernelINS0_14default_configENS1_25partition_config_selectorILNS1_17partition_subalgoE5ElNS0_10empty_typeEbEEZZNS1_14partition_implILS5_5ELb0ES3_mN6hipcub16HIPCUB_304000_NS21CountingInputIteratorIllEEPS6_NSA_22TransformInputIteratorIb7NonZeroIfEPflEENS0_5tupleIJPlS6_EEENSJ_IJSD_SD_EEES6_SK_JS6_EEE10hipError_tPvRmT3_T4_T5_T6_T7_T9_mT8_P12ihipStream_tbDpT10_ENKUlT_T0_E_clISt17integral_constantIbLb1EES16_EEDaS11_S12_EUlS11_E_NS1_11comp_targetILNS1_3genE10ELNS1_11target_archE1200ELNS1_3gpuE4ELNS1_3repE0EEENS1_30default_config_static_selectorELNS0_4arch9wavefront6targetE1EEEvT1_.numbered_sgpr, 0
	.set _ZN7rocprim17ROCPRIM_400000_NS6detail17trampoline_kernelINS0_14default_configENS1_25partition_config_selectorILNS1_17partition_subalgoE5ElNS0_10empty_typeEbEEZZNS1_14partition_implILS5_5ELb0ES3_mN6hipcub16HIPCUB_304000_NS21CountingInputIteratorIllEEPS6_NSA_22TransformInputIteratorIb7NonZeroIfEPflEENS0_5tupleIJPlS6_EEENSJ_IJSD_SD_EEES6_SK_JS6_EEE10hipError_tPvRmT3_T4_T5_T6_T7_T9_mT8_P12ihipStream_tbDpT10_ENKUlT_T0_E_clISt17integral_constantIbLb1EES16_EEDaS11_S12_EUlS11_E_NS1_11comp_targetILNS1_3genE10ELNS1_11target_archE1200ELNS1_3gpuE4ELNS1_3repE0EEENS1_30default_config_static_selectorELNS0_4arch9wavefront6targetE1EEEvT1_.num_named_barrier, 0
	.set _ZN7rocprim17ROCPRIM_400000_NS6detail17trampoline_kernelINS0_14default_configENS1_25partition_config_selectorILNS1_17partition_subalgoE5ElNS0_10empty_typeEbEEZZNS1_14partition_implILS5_5ELb0ES3_mN6hipcub16HIPCUB_304000_NS21CountingInputIteratorIllEEPS6_NSA_22TransformInputIteratorIb7NonZeroIfEPflEENS0_5tupleIJPlS6_EEENSJ_IJSD_SD_EEES6_SK_JS6_EEE10hipError_tPvRmT3_T4_T5_T6_T7_T9_mT8_P12ihipStream_tbDpT10_ENKUlT_T0_E_clISt17integral_constantIbLb1EES16_EEDaS11_S12_EUlS11_E_NS1_11comp_targetILNS1_3genE10ELNS1_11target_archE1200ELNS1_3gpuE4ELNS1_3repE0EEENS1_30default_config_static_selectorELNS0_4arch9wavefront6targetE1EEEvT1_.private_seg_size, 0
	.set _ZN7rocprim17ROCPRIM_400000_NS6detail17trampoline_kernelINS0_14default_configENS1_25partition_config_selectorILNS1_17partition_subalgoE5ElNS0_10empty_typeEbEEZZNS1_14partition_implILS5_5ELb0ES3_mN6hipcub16HIPCUB_304000_NS21CountingInputIteratorIllEEPS6_NSA_22TransformInputIteratorIb7NonZeroIfEPflEENS0_5tupleIJPlS6_EEENSJ_IJSD_SD_EEES6_SK_JS6_EEE10hipError_tPvRmT3_T4_T5_T6_T7_T9_mT8_P12ihipStream_tbDpT10_ENKUlT_T0_E_clISt17integral_constantIbLb1EES16_EEDaS11_S12_EUlS11_E_NS1_11comp_targetILNS1_3genE10ELNS1_11target_archE1200ELNS1_3gpuE4ELNS1_3repE0EEENS1_30default_config_static_selectorELNS0_4arch9wavefront6targetE1EEEvT1_.uses_vcc, 0
	.set _ZN7rocprim17ROCPRIM_400000_NS6detail17trampoline_kernelINS0_14default_configENS1_25partition_config_selectorILNS1_17partition_subalgoE5ElNS0_10empty_typeEbEEZZNS1_14partition_implILS5_5ELb0ES3_mN6hipcub16HIPCUB_304000_NS21CountingInputIteratorIllEEPS6_NSA_22TransformInputIteratorIb7NonZeroIfEPflEENS0_5tupleIJPlS6_EEENSJ_IJSD_SD_EEES6_SK_JS6_EEE10hipError_tPvRmT3_T4_T5_T6_T7_T9_mT8_P12ihipStream_tbDpT10_ENKUlT_T0_E_clISt17integral_constantIbLb1EES16_EEDaS11_S12_EUlS11_E_NS1_11comp_targetILNS1_3genE10ELNS1_11target_archE1200ELNS1_3gpuE4ELNS1_3repE0EEENS1_30default_config_static_selectorELNS0_4arch9wavefront6targetE1EEEvT1_.uses_flat_scratch, 0
	.set _ZN7rocprim17ROCPRIM_400000_NS6detail17trampoline_kernelINS0_14default_configENS1_25partition_config_selectorILNS1_17partition_subalgoE5ElNS0_10empty_typeEbEEZZNS1_14partition_implILS5_5ELb0ES3_mN6hipcub16HIPCUB_304000_NS21CountingInputIteratorIllEEPS6_NSA_22TransformInputIteratorIb7NonZeroIfEPflEENS0_5tupleIJPlS6_EEENSJ_IJSD_SD_EEES6_SK_JS6_EEE10hipError_tPvRmT3_T4_T5_T6_T7_T9_mT8_P12ihipStream_tbDpT10_ENKUlT_T0_E_clISt17integral_constantIbLb1EES16_EEDaS11_S12_EUlS11_E_NS1_11comp_targetILNS1_3genE10ELNS1_11target_archE1200ELNS1_3gpuE4ELNS1_3repE0EEENS1_30default_config_static_selectorELNS0_4arch9wavefront6targetE1EEEvT1_.has_dyn_sized_stack, 0
	.set _ZN7rocprim17ROCPRIM_400000_NS6detail17trampoline_kernelINS0_14default_configENS1_25partition_config_selectorILNS1_17partition_subalgoE5ElNS0_10empty_typeEbEEZZNS1_14partition_implILS5_5ELb0ES3_mN6hipcub16HIPCUB_304000_NS21CountingInputIteratorIllEEPS6_NSA_22TransformInputIteratorIb7NonZeroIfEPflEENS0_5tupleIJPlS6_EEENSJ_IJSD_SD_EEES6_SK_JS6_EEE10hipError_tPvRmT3_T4_T5_T6_T7_T9_mT8_P12ihipStream_tbDpT10_ENKUlT_T0_E_clISt17integral_constantIbLb1EES16_EEDaS11_S12_EUlS11_E_NS1_11comp_targetILNS1_3genE10ELNS1_11target_archE1200ELNS1_3gpuE4ELNS1_3repE0EEENS1_30default_config_static_selectorELNS0_4arch9wavefront6targetE1EEEvT1_.has_recursion, 0
	.set _ZN7rocprim17ROCPRIM_400000_NS6detail17trampoline_kernelINS0_14default_configENS1_25partition_config_selectorILNS1_17partition_subalgoE5ElNS0_10empty_typeEbEEZZNS1_14partition_implILS5_5ELb0ES3_mN6hipcub16HIPCUB_304000_NS21CountingInputIteratorIllEEPS6_NSA_22TransformInputIteratorIb7NonZeroIfEPflEENS0_5tupleIJPlS6_EEENSJ_IJSD_SD_EEES6_SK_JS6_EEE10hipError_tPvRmT3_T4_T5_T6_T7_T9_mT8_P12ihipStream_tbDpT10_ENKUlT_T0_E_clISt17integral_constantIbLb1EES16_EEDaS11_S12_EUlS11_E_NS1_11comp_targetILNS1_3genE10ELNS1_11target_archE1200ELNS1_3gpuE4ELNS1_3repE0EEENS1_30default_config_static_selectorELNS0_4arch9wavefront6targetE1EEEvT1_.has_indirect_call, 0
	.section	.AMDGPU.csdata,"",@progbits
; Kernel info:
; codeLenInByte = 0
; TotalNumSgprs: 6
; NumVgprs: 0
; NumAgprs: 0
; TotalNumVgprs: 0
; ScratchSize: 0
; MemoryBound: 0
; FloatMode: 240
; IeeeMode: 1
; LDSByteSize: 0 bytes/workgroup (compile time only)
; SGPRBlocks: 0
; VGPRBlocks: 0
; NumSGPRsForWavesPerEU: 6
; NumVGPRsForWavesPerEU: 1
; AccumOffset: 4
; Occupancy: 8
; WaveLimiterHint : 0
; COMPUTE_PGM_RSRC2:SCRATCH_EN: 0
; COMPUTE_PGM_RSRC2:USER_SGPR: 2
; COMPUTE_PGM_RSRC2:TRAP_HANDLER: 0
; COMPUTE_PGM_RSRC2:TGID_X_EN: 1
; COMPUTE_PGM_RSRC2:TGID_Y_EN: 0
; COMPUTE_PGM_RSRC2:TGID_Z_EN: 0
; COMPUTE_PGM_RSRC2:TIDIG_COMP_CNT: 0
; COMPUTE_PGM_RSRC3_GFX90A:ACCUM_OFFSET: 0
; COMPUTE_PGM_RSRC3_GFX90A:TG_SPLIT: 0
	.section	.text._ZN7rocprim17ROCPRIM_400000_NS6detail17trampoline_kernelINS0_14default_configENS1_25partition_config_selectorILNS1_17partition_subalgoE5ElNS0_10empty_typeEbEEZZNS1_14partition_implILS5_5ELb0ES3_mN6hipcub16HIPCUB_304000_NS21CountingInputIteratorIllEEPS6_NSA_22TransformInputIteratorIb7NonZeroIfEPflEENS0_5tupleIJPlS6_EEENSJ_IJSD_SD_EEES6_SK_JS6_EEE10hipError_tPvRmT3_T4_T5_T6_T7_T9_mT8_P12ihipStream_tbDpT10_ENKUlT_T0_E_clISt17integral_constantIbLb1EES16_EEDaS11_S12_EUlS11_E_NS1_11comp_targetILNS1_3genE9ELNS1_11target_archE1100ELNS1_3gpuE3ELNS1_3repE0EEENS1_30default_config_static_selectorELNS0_4arch9wavefront6targetE1EEEvT1_,"axG",@progbits,_ZN7rocprim17ROCPRIM_400000_NS6detail17trampoline_kernelINS0_14default_configENS1_25partition_config_selectorILNS1_17partition_subalgoE5ElNS0_10empty_typeEbEEZZNS1_14partition_implILS5_5ELb0ES3_mN6hipcub16HIPCUB_304000_NS21CountingInputIteratorIllEEPS6_NSA_22TransformInputIteratorIb7NonZeroIfEPflEENS0_5tupleIJPlS6_EEENSJ_IJSD_SD_EEES6_SK_JS6_EEE10hipError_tPvRmT3_T4_T5_T6_T7_T9_mT8_P12ihipStream_tbDpT10_ENKUlT_T0_E_clISt17integral_constantIbLb1EES16_EEDaS11_S12_EUlS11_E_NS1_11comp_targetILNS1_3genE9ELNS1_11target_archE1100ELNS1_3gpuE3ELNS1_3repE0EEENS1_30default_config_static_selectorELNS0_4arch9wavefront6targetE1EEEvT1_,comdat
	.protected	_ZN7rocprim17ROCPRIM_400000_NS6detail17trampoline_kernelINS0_14default_configENS1_25partition_config_selectorILNS1_17partition_subalgoE5ElNS0_10empty_typeEbEEZZNS1_14partition_implILS5_5ELb0ES3_mN6hipcub16HIPCUB_304000_NS21CountingInputIteratorIllEEPS6_NSA_22TransformInputIteratorIb7NonZeroIfEPflEENS0_5tupleIJPlS6_EEENSJ_IJSD_SD_EEES6_SK_JS6_EEE10hipError_tPvRmT3_T4_T5_T6_T7_T9_mT8_P12ihipStream_tbDpT10_ENKUlT_T0_E_clISt17integral_constantIbLb1EES16_EEDaS11_S12_EUlS11_E_NS1_11comp_targetILNS1_3genE9ELNS1_11target_archE1100ELNS1_3gpuE3ELNS1_3repE0EEENS1_30default_config_static_selectorELNS0_4arch9wavefront6targetE1EEEvT1_ ; -- Begin function _ZN7rocprim17ROCPRIM_400000_NS6detail17trampoline_kernelINS0_14default_configENS1_25partition_config_selectorILNS1_17partition_subalgoE5ElNS0_10empty_typeEbEEZZNS1_14partition_implILS5_5ELb0ES3_mN6hipcub16HIPCUB_304000_NS21CountingInputIteratorIllEEPS6_NSA_22TransformInputIteratorIb7NonZeroIfEPflEENS0_5tupleIJPlS6_EEENSJ_IJSD_SD_EEES6_SK_JS6_EEE10hipError_tPvRmT3_T4_T5_T6_T7_T9_mT8_P12ihipStream_tbDpT10_ENKUlT_T0_E_clISt17integral_constantIbLb1EES16_EEDaS11_S12_EUlS11_E_NS1_11comp_targetILNS1_3genE9ELNS1_11target_archE1100ELNS1_3gpuE3ELNS1_3repE0EEENS1_30default_config_static_selectorELNS0_4arch9wavefront6targetE1EEEvT1_
	.globl	_ZN7rocprim17ROCPRIM_400000_NS6detail17trampoline_kernelINS0_14default_configENS1_25partition_config_selectorILNS1_17partition_subalgoE5ElNS0_10empty_typeEbEEZZNS1_14partition_implILS5_5ELb0ES3_mN6hipcub16HIPCUB_304000_NS21CountingInputIteratorIllEEPS6_NSA_22TransformInputIteratorIb7NonZeroIfEPflEENS0_5tupleIJPlS6_EEENSJ_IJSD_SD_EEES6_SK_JS6_EEE10hipError_tPvRmT3_T4_T5_T6_T7_T9_mT8_P12ihipStream_tbDpT10_ENKUlT_T0_E_clISt17integral_constantIbLb1EES16_EEDaS11_S12_EUlS11_E_NS1_11comp_targetILNS1_3genE9ELNS1_11target_archE1100ELNS1_3gpuE3ELNS1_3repE0EEENS1_30default_config_static_selectorELNS0_4arch9wavefront6targetE1EEEvT1_
	.p2align	8
	.type	_ZN7rocprim17ROCPRIM_400000_NS6detail17trampoline_kernelINS0_14default_configENS1_25partition_config_selectorILNS1_17partition_subalgoE5ElNS0_10empty_typeEbEEZZNS1_14partition_implILS5_5ELb0ES3_mN6hipcub16HIPCUB_304000_NS21CountingInputIteratorIllEEPS6_NSA_22TransformInputIteratorIb7NonZeroIfEPflEENS0_5tupleIJPlS6_EEENSJ_IJSD_SD_EEES6_SK_JS6_EEE10hipError_tPvRmT3_T4_T5_T6_T7_T9_mT8_P12ihipStream_tbDpT10_ENKUlT_T0_E_clISt17integral_constantIbLb1EES16_EEDaS11_S12_EUlS11_E_NS1_11comp_targetILNS1_3genE9ELNS1_11target_archE1100ELNS1_3gpuE3ELNS1_3repE0EEENS1_30default_config_static_selectorELNS0_4arch9wavefront6targetE1EEEvT1_,@function
_ZN7rocprim17ROCPRIM_400000_NS6detail17trampoline_kernelINS0_14default_configENS1_25partition_config_selectorILNS1_17partition_subalgoE5ElNS0_10empty_typeEbEEZZNS1_14partition_implILS5_5ELb0ES3_mN6hipcub16HIPCUB_304000_NS21CountingInputIteratorIllEEPS6_NSA_22TransformInputIteratorIb7NonZeroIfEPflEENS0_5tupleIJPlS6_EEENSJ_IJSD_SD_EEES6_SK_JS6_EEE10hipError_tPvRmT3_T4_T5_T6_T7_T9_mT8_P12ihipStream_tbDpT10_ENKUlT_T0_E_clISt17integral_constantIbLb1EES16_EEDaS11_S12_EUlS11_E_NS1_11comp_targetILNS1_3genE9ELNS1_11target_archE1100ELNS1_3gpuE3ELNS1_3repE0EEENS1_30default_config_static_selectorELNS0_4arch9wavefront6targetE1EEEvT1_: ; @_ZN7rocprim17ROCPRIM_400000_NS6detail17trampoline_kernelINS0_14default_configENS1_25partition_config_selectorILNS1_17partition_subalgoE5ElNS0_10empty_typeEbEEZZNS1_14partition_implILS5_5ELb0ES3_mN6hipcub16HIPCUB_304000_NS21CountingInputIteratorIllEEPS6_NSA_22TransformInputIteratorIb7NonZeroIfEPflEENS0_5tupleIJPlS6_EEENSJ_IJSD_SD_EEES6_SK_JS6_EEE10hipError_tPvRmT3_T4_T5_T6_T7_T9_mT8_P12ihipStream_tbDpT10_ENKUlT_T0_E_clISt17integral_constantIbLb1EES16_EEDaS11_S12_EUlS11_E_NS1_11comp_targetILNS1_3genE9ELNS1_11target_archE1100ELNS1_3gpuE3ELNS1_3repE0EEENS1_30default_config_static_selectorELNS0_4arch9wavefront6targetE1EEEvT1_
; %bb.0:
	.section	.rodata,"a",@progbits
	.p2align	6, 0x0
	.amdhsa_kernel _ZN7rocprim17ROCPRIM_400000_NS6detail17trampoline_kernelINS0_14default_configENS1_25partition_config_selectorILNS1_17partition_subalgoE5ElNS0_10empty_typeEbEEZZNS1_14partition_implILS5_5ELb0ES3_mN6hipcub16HIPCUB_304000_NS21CountingInputIteratorIllEEPS6_NSA_22TransformInputIteratorIb7NonZeroIfEPflEENS0_5tupleIJPlS6_EEENSJ_IJSD_SD_EEES6_SK_JS6_EEE10hipError_tPvRmT3_T4_T5_T6_T7_T9_mT8_P12ihipStream_tbDpT10_ENKUlT_T0_E_clISt17integral_constantIbLb1EES16_EEDaS11_S12_EUlS11_E_NS1_11comp_targetILNS1_3genE9ELNS1_11target_archE1100ELNS1_3gpuE3ELNS1_3repE0EEENS1_30default_config_static_selectorELNS0_4arch9wavefront6targetE1EEEvT1_
		.amdhsa_group_segment_fixed_size 0
		.amdhsa_private_segment_fixed_size 0
		.amdhsa_kernarg_size 136
		.amdhsa_user_sgpr_count 2
		.amdhsa_user_sgpr_dispatch_ptr 0
		.amdhsa_user_sgpr_queue_ptr 0
		.amdhsa_user_sgpr_kernarg_segment_ptr 1
		.amdhsa_user_sgpr_dispatch_id 0
		.amdhsa_user_sgpr_kernarg_preload_length 0
		.amdhsa_user_sgpr_kernarg_preload_offset 0
		.amdhsa_user_sgpr_private_segment_size 0
		.amdhsa_uses_dynamic_stack 0
		.amdhsa_enable_private_segment 0
		.amdhsa_system_sgpr_workgroup_id_x 1
		.amdhsa_system_sgpr_workgroup_id_y 0
		.amdhsa_system_sgpr_workgroup_id_z 0
		.amdhsa_system_sgpr_workgroup_info 0
		.amdhsa_system_vgpr_workitem_id 0
		.amdhsa_next_free_vgpr 1
		.amdhsa_next_free_sgpr 0
		.amdhsa_accum_offset 4
		.amdhsa_reserve_vcc 0
		.amdhsa_float_round_mode_32 0
		.amdhsa_float_round_mode_16_64 0
		.amdhsa_float_denorm_mode_32 3
		.amdhsa_float_denorm_mode_16_64 3
		.amdhsa_dx10_clamp 1
		.amdhsa_ieee_mode 1
		.amdhsa_fp16_overflow 0
		.amdhsa_tg_split 0
		.amdhsa_exception_fp_ieee_invalid_op 0
		.amdhsa_exception_fp_denorm_src 0
		.amdhsa_exception_fp_ieee_div_zero 0
		.amdhsa_exception_fp_ieee_overflow 0
		.amdhsa_exception_fp_ieee_underflow 0
		.amdhsa_exception_fp_ieee_inexact 0
		.amdhsa_exception_int_div_zero 0
	.end_amdhsa_kernel
	.section	.text._ZN7rocprim17ROCPRIM_400000_NS6detail17trampoline_kernelINS0_14default_configENS1_25partition_config_selectorILNS1_17partition_subalgoE5ElNS0_10empty_typeEbEEZZNS1_14partition_implILS5_5ELb0ES3_mN6hipcub16HIPCUB_304000_NS21CountingInputIteratorIllEEPS6_NSA_22TransformInputIteratorIb7NonZeroIfEPflEENS0_5tupleIJPlS6_EEENSJ_IJSD_SD_EEES6_SK_JS6_EEE10hipError_tPvRmT3_T4_T5_T6_T7_T9_mT8_P12ihipStream_tbDpT10_ENKUlT_T0_E_clISt17integral_constantIbLb1EES16_EEDaS11_S12_EUlS11_E_NS1_11comp_targetILNS1_3genE9ELNS1_11target_archE1100ELNS1_3gpuE3ELNS1_3repE0EEENS1_30default_config_static_selectorELNS0_4arch9wavefront6targetE1EEEvT1_,"axG",@progbits,_ZN7rocprim17ROCPRIM_400000_NS6detail17trampoline_kernelINS0_14default_configENS1_25partition_config_selectorILNS1_17partition_subalgoE5ElNS0_10empty_typeEbEEZZNS1_14partition_implILS5_5ELb0ES3_mN6hipcub16HIPCUB_304000_NS21CountingInputIteratorIllEEPS6_NSA_22TransformInputIteratorIb7NonZeroIfEPflEENS0_5tupleIJPlS6_EEENSJ_IJSD_SD_EEES6_SK_JS6_EEE10hipError_tPvRmT3_T4_T5_T6_T7_T9_mT8_P12ihipStream_tbDpT10_ENKUlT_T0_E_clISt17integral_constantIbLb1EES16_EEDaS11_S12_EUlS11_E_NS1_11comp_targetILNS1_3genE9ELNS1_11target_archE1100ELNS1_3gpuE3ELNS1_3repE0EEENS1_30default_config_static_selectorELNS0_4arch9wavefront6targetE1EEEvT1_,comdat
.Lfunc_end267:
	.size	_ZN7rocprim17ROCPRIM_400000_NS6detail17trampoline_kernelINS0_14default_configENS1_25partition_config_selectorILNS1_17partition_subalgoE5ElNS0_10empty_typeEbEEZZNS1_14partition_implILS5_5ELb0ES3_mN6hipcub16HIPCUB_304000_NS21CountingInputIteratorIllEEPS6_NSA_22TransformInputIteratorIb7NonZeroIfEPflEENS0_5tupleIJPlS6_EEENSJ_IJSD_SD_EEES6_SK_JS6_EEE10hipError_tPvRmT3_T4_T5_T6_T7_T9_mT8_P12ihipStream_tbDpT10_ENKUlT_T0_E_clISt17integral_constantIbLb1EES16_EEDaS11_S12_EUlS11_E_NS1_11comp_targetILNS1_3genE9ELNS1_11target_archE1100ELNS1_3gpuE3ELNS1_3repE0EEENS1_30default_config_static_selectorELNS0_4arch9wavefront6targetE1EEEvT1_, .Lfunc_end267-_ZN7rocprim17ROCPRIM_400000_NS6detail17trampoline_kernelINS0_14default_configENS1_25partition_config_selectorILNS1_17partition_subalgoE5ElNS0_10empty_typeEbEEZZNS1_14partition_implILS5_5ELb0ES3_mN6hipcub16HIPCUB_304000_NS21CountingInputIteratorIllEEPS6_NSA_22TransformInputIteratorIb7NonZeroIfEPflEENS0_5tupleIJPlS6_EEENSJ_IJSD_SD_EEES6_SK_JS6_EEE10hipError_tPvRmT3_T4_T5_T6_T7_T9_mT8_P12ihipStream_tbDpT10_ENKUlT_T0_E_clISt17integral_constantIbLb1EES16_EEDaS11_S12_EUlS11_E_NS1_11comp_targetILNS1_3genE9ELNS1_11target_archE1100ELNS1_3gpuE3ELNS1_3repE0EEENS1_30default_config_static_selectorELNS0_4arch9wavefront6targetE1EEEvT1_
                                        ; -- End function
	.set _ZN7rocprim17ROCPRIM_400000_NS6detail17trampoline_kernelINS0_14default_configENS1_25partition_config_selectorILNS1_17partition_subalgoE5ElNS0_10empty_typeEbEEZZNS1_14partition_implILS5_5ELb0ES3_mN6hipcub16HIPCUB_304000_NS21CountingInputIteratorIllEEPS6_NSA_22TransformInputIteratorIb7NonZeroIfEPflEENS0_5tupleIJPlS6_EEENSJ_IJSD_SD_EEES6_SK_JS6_EEE10hipError_tPvRmT3_T4_T5_T6_T7_T9_mT8_P12ihipStream_tbDpT10_ENKUlT_T0_E_clISt17integral_constantIbLb1EES16_EEDaS11_S12_EUlS11_E_NS1_11comp_targetILNS1_3genE9ELNS1_11target_archE1100ELNS1_3gpuE3ELNS1_3repE0EEENS1_30default_config_static_selectorELNS0_4arch9wavefront6targetE1EEEvT1_.num_vgpr, 0
	.set _ZN7rocprim17ROCPRIM_400000_NS6detail17trampoline_kernelINS0_14default_configENS1_25partition_config_selectorILNS1_17partition_subalgoE5ElNS0_10empty_typeEbEEZZNS1_14partition_implILS5_5ELb0ES3_mN6hipcub16HIPCUB_304000_NS21CountingInputIteratorIllEEPS6_NSA_22TransformInputIteratorIb7NonZeroIfEPflEENS0_5tupleIJPlS6_EEENSJ_IJSD_SD_EEES6_SK_JS6_EEE10hipError_tPvRmT3_T4_T5_T6_T7_T9_mT8_P12ihipStream_tbDpT10_ENKUlT_T0_E_clISt17integral_constantIbLb1EES16_EEDaS11_S12_EUlS11_E_NS1_11comp_targetILNS1_3genE9ELNS1_11target_archE1100ELNS1_3gpuE3ELNS1_3repE0EEENS1_30default_config_static_selectorELNS0_4arch9wavefront6targetE1EEEvT1_.num_agpr, 0
	.set _ZN7rocprim17ROCPRIM_400000_NS6detail17trampoline_kernelINS0_14default_configENS1_25partition_config_selectorILNS1_17partition_subalgoE5ElNS0_10empty_typeEbEEZZNS1_14partition_implILS5_5ELb0ES3_mN6hipcub16HIPCUB_304000_NS21CountingInputIteratorIllEEPS6_NSA_22TransformInputIteratorIb7NonZeroIfEPflEENS0_5tupleIJPlS6_EEENSJ_IJSD_SD_EEES6_SK_JS6_EEE10hipError_tPvRmT3_T4_T5_T6_T7_T9_mT8_P12ihipStream_tbDpT10_ENKUlT_T0_E_clISt17integral_constantIbLb1EES16_EEDaS11_S12_EUlS11_E_NS1_11comp_targetILNS1_3genE9ELNS1_11target_archE1100ELNS1_3gpuE3ELNS1_3repE0EEENS1_30default_config_static_selectorELNS0_4arch9wavefront6targetE1EEEvT1_.numbered_sgpr, 0
	.set _ZN7rocprim17ROCPRIM_400000_NS6detail17trampoline_kernelINS0_14default_configENS1_25partition_config_selectorILNS1_17partition_subalgoE5ElNS0_10empty_typeEbEEZZNS1_14partition_implILS5_5ELb0ES3_mN6hipcub16HIPCUB_304000_NS21CountingInputIteratorIllEEPS6_NSA_22TransformInputIteratorIb7NonZeroIfEPflEENS0_5tupleIJPlS6_EEENSJ_IJSD_SD_EEES6_SK_JS6_EEE10hipError_tPvRmT3_T4_T5_T6_T7_T9_mT8_P12ihipStream_tbDpT10_ENKUlT_T0_E_clISt17integral_constantIbLb1EES16_EEDaS11_S12_EUlS11_E_NS1_11comp_targetILNS1_3genE9ELNS1_11target_archE1100ELNS1_3gpuE3ELNS1_3repE0EEENS1_30default_config_static_selectorELNS0_4arch9wavefront6targetE1EEEvT1_.num_named_barrier, 0
	.set _ZN7rocprim17ROCPRIM_400000_NS6detail17trampoline_kernelINS0_14default_configENS1_25partition_config_selectorILNS1_17partition_subalgoE5ElNS0_10empty_typeEbEEZZNS1_14partition_implILS5_5ELb0ES3_mN6hipcub16HIPCUB_304000_NS21CountingInputIteratorIllEEPS6_NSA_22TransformInputIteratorIb7NonZeroIfEPflEENS0_5tupleIJPlS6_EEENSJ_IJSD_SD_EEES6_SK_JS6_EEE10hipError_tPvRmT3_T4_T5_T6_T7_T9_mT8_P12ihipStream_tbDpT10_ENKUlT_T0_E_clISt17integral_constantIbLb1EES16_EEDaS11_S12_EUlS11_E_NS1_11comp_targetILNS1_3genE9ELNS1_11target_archE1100ELNS1_3gpuE3ELNS1_3repE0EEENS1_30default_config_static_selectorELNS0_4arch9wavefront6targetE1EEEvT1_.private_seg_size, 0
	.set _ZN7rocprim17ROCPRIM_400000_NS6detail17trampoline_kernelINS0_14default_configENS1_25partition_config_selectorILNS1_17partition_subalgoE5ElNS0_10empty_typeEbEEZZNS1_14partition_implILS5_5ELb0ES3_mN6hipcub16HIPCUB_304000_NS21CountingInputIteratorIllEEPS6_NSA_22TransformInputIteratorIb7NonZeroIfEPflEENS0_5tupleIJPlS6_EEENSJ_IJSD_SD_EEES6_SK_JS6_EEE10hipError_tPvRmT3_T4_T5_T6_T7_T9_mT8_P12ihipStream_tbDpT10_ENKUlT_T0_E_clISt17integral_constantIbLb1EES16_EEDaS11_S12_EUlS11_E_NS1_11comp_targetILNS1_3genE9ELNS1_11target_archE1100ELNS1_3gpuE3ELNS1_3repE0EEENS1_30default_config_static_selectorELNS0_4arch9wavefront6targetE1EEEvT1_.uses_vcc, 0
	.set _ZN7rocprim17ROCPRIM_400000_NS6detail17trampoline_kernelINS0_14default_configENS1_25partition_config_selectorILNS1_17partition_subalgoE5ElNS0_10empty_typeEbEEZZNS1_14partition_implILS5_5ELb0ES3_mN6hipcub16HIPCUB_304000_NS21CountingInputIteratorIllEEPS6_NSA_22TransformInputIteratorIb7NonZeroIfEPflEENS0_5tupleIJPlS6_EEENSJ_IJSD_SD_EEES6_SK_JS6_EEE10hipError_tPvRmT3_T4_T5_T6_T7_T9_mT8_P12ihipStream_tbDpT10_ENKUlT_T0_E_clISt17integral_constantIbLb1EES16_EEDaS11_S12_EUlS11_E_NS1_11comp_targetILNS1_3genE9ELNS1_11target_archE1100ELNS1_3gpuE3ELNS1_3repE0EEENS1_30default_config_static_selectorELNS0_4arch9wavefront6targetE1EEEvT1_.uses_flat_scratch, 0
	.set _ZN7rocprim17ROCPRIM_400000_NS6detail17trampoline_kernelINS0_14default_configENS1_25partition_config_selectorILNS1_17partition_subalgoE5ElNS0_10empty_typeEbEEZZNS1_14partition_implILS5_5ELb0ES3_mN6hipcub16HIPCUB_304000_NS21CountingInputIteratorIllEEPS6_NSA_22TransformInputIteratorIb7NonZeroIfEPflEENS0_5tupleIJPlS6_EEENSJ_IJSD_SD_EEES6_SK_JS6_EEE10hipError_tPvRmT3_T4_T5_T6_T7_T9_mT8_P12ihipStream_tbDpT10_ENKUlT_T0_E_clISt17integral_constantIbLb1EES16_EEDaS11_S12_EUlS11_E_NS1_11comp_targetILNS1_3genE9ELNS1_11target_archE1100ELNS1_3gpuE3ELNS1_3repE0EEENS1_30default_config_static_selectorELNS0_4arch9wavefront6targetE1EEEvT1_.has_dyn_sized_stack, 0
	.set _ZN7rocprim17ROCPRIM_400000_NS6detail17trampoline_kernelINS0_14default_configENS1_25partition_config_selectorILNS1_17partition_subalgoE5ElNS0_10empty_typeEbEEZZNS1_14partition_implILS5_5ELb0ES3_mN6hipcub16HIPCUB_304000_NS21CountingInputIteratorIllEEPS6_NSA_22TransformInputIteratorIb7NonZeroIfEPflEENS0_5tupleIJPlS6_EEENSJ_IJSD_SD_EEES6_SK_JS6_EEE10hipError_tPvRmT3_T4_T5_T6_T7_T9_mT8_P12ihipStream_tbDpT10_ENKUlT_T0_E_clISt17integral_constantIbLb1EES16_EEDaS11_S12_EUlS11_E_NS1_11comp_targetILNS1_3genE9ELNS1_11target_archE1100ELNS1_3gpuE3ELNS1_3repE0EEENS1_30default_config_static_selectorELNS0_4arch9wavefront6targetE1EEEvT1_.has_recursion, 0
	.set _ZN7rocprim17ROCPRIM_400000_NS6detail17trampoline_kernelINS0_14default_configENS1_25partition_config_selectorILNS1_17partition_subalgoE5ElNS0_10empty_typeEbEEZZNS1_14partition_implILS5_5ELb0ES3_mN6hipcub16HIPCUB_304000_NS21CountingInputIteratorIllEEPS6_NSA_22TransformInputIteratorIb7NonZeroIfEPflEENS0_5tupleIJPlS6_EEENSJ_IJSD_SD_EEES6_SK_JS6_EEE10hipError_tPvRmT3_T4_T5_T6_T7_T9_mT8_P12ihipStream_tbDpT10_ENKUlT_T0_E_clISt17integral_constantIbLb1EES16_EEDaS11_S12_EUlS11_E_NS1_11comp_targetILNS1_3genE9ELNS1_11target_archE1100ELNS1_3gpuE3ELNS1_3repE0EEENS1_30default_config_static_selectorELNS0_4arch9wavefront6targetE1EEEvT1_.has_indirect_call, 0
	.section	.AMDGPU.csdata,"",@progbits
; Kernel info:
; codeLenInByte = 0
; TotalNumSgprs: 6
; NumVgprs: 0
; NumAgprs: 0
; TotalNumVgprs: 0
; ScratchSize: 0
; MemoryBound: 0
; FloatMode: 240
; IeeeMode: 1
; LDSByteSize: 0 bytes/workgroup (compile time only)
; SGPRBlocks: 0
; VGPRBlocks: 0
; NumSGPRsForWavesPerEU: 6
; NumVGPRsForWavesPerEU: 1
; AccumOffset: 4
; Occupancy: 8
; WaveLimiterHint : 0
; COMPUTE_PGM_RSRC2:SCRATCH_EN: 0
; COMPUTE_PGM_RSRC2:USER_SGPR: 2
; COMPUTE_PGM_RSRC2:TRAP_HANDLER: 0
; COMPUTE_PGM_RSRC2:TGID_X_EN: 1
; COMPUTE_PGM_RSRC2:TGID_Y_EN: 0
; COMPUTE_PGM_RSRC2:TGID_Z_EN: 0
; COMPUTE_PGM_RSRC2:TIDIG_COMP_CNT: 0
; COMPUTE_PGM_RSRC3_GFX90A:ACCUM_OFFSET: 0
; COMPUTE_PGM_RSRC3_GFX90A:TG_SPLIT: 0
	.section	.text._ZN7rocprim17ROCPRIM_400000_NS6detail17trampoline_kernelINS0_14default_configENS1_25partition_config_selectorILNS1_17partition_subalgoE5ElNS0_10empty_typeEbEEZZNS1_14partition_implILS5_5ELb0ES3_mN6hipcub16HIPCUB_304000_NS21CountingInputIteratorIllEEPS6_NSA_22TransformInputIteratorIb7NonZeroIfEPflEENS0_5tupleIJPlS6_EEENSJ_IJSD_SD_EEES6_SK_JS6_EEE10hipError_tPvRmT3_T4_T5_T6_T7_T9_mT8_P12ihipStream_tbDpT10_ENKUlT_T0_E_clISt17integral_constantIbLb1EES16_EEDaS11_S12_EUlS11_E_NS1_11comp_targetILNS1_3genE8ELNS1_11target_archE1030ELNS1_3gpuE2ELNS1_3repE0EEENS1_30default_config_static_selectorELNS0_4arch9wavefront6targetE1EEEvT1_,"axG",@progbits,_ZN7rocprim17ROCPRIM_400000_NS6detail17trampoline_kernelINS0_14default_configENS1_25partition_config_selectorILNS1_17partition_subalgoE5ElNS0_10empty_typeEbEEZZNS1_14partition_implILS5_5ELb0ES3_mN6hipcub16HIPCUB_304000_NS21CountingInputIteratorIllEEPS6_NSA_22TransformInputIteratorIb7NonZeroIfEPflEENS0_5tupleIJPlS6_EEENSJ_IJSD_SD_EEES6_SK_JS6_EEE10hipError_tPvRmT3_T4_T5_T6_T7_T9_mT8_P12ihipStream_tbDpT10_ENKUlT_T0_E_clISt17integral_constantIbLb1EES16_EEDaS11_S12_EUlS11_E_NS1_11comp_targetILNS1_3genE8ELNS1_11target_archE1030ELNS1_3gpuE2ELNS1_3repE0EEENS1_30default_config_static_selectorELNS0_4arch9wavefront6targetE1EEEvT1_,comdat
	.protected	_ZN7rocprim17ROCPRIM_400000_NS6detail17trampoline_kernelINS0_14default_configENS1_25partition_config_selectorILNS1_17partition_subalgoE5ElNS0_10empty_typeEbEEZZNS1_14partition_implILS5_5ELb0ES3_mN6hipcub16HIPCUB_304000_NS21CountingInputIteratorIllEEPS6_NSA_22TransformInputIteratorIb7NonZeroIfEPflEENS0_5tupleIJPlS6_EEENSJ_IJSD_SD_EEES6_SK_JS6_EEE10hipError_tPvRmT3_T4_T5_T6_T7_T9_mT8_P12ihipStream_tbDpT10_ENKUlT_T0_E_clISt17integral_constantIbLb1EES16_EEDaS11_S12_EUlS11_E_NS1_11comp_targetILNS1_3genE8ELNS1_11target_archE1030ELNS1_3gpuE2ELNS1_3repE0EEENS1_30default_config_static_selectorELNS0_4arch9wavefront6targetE1EEEvT1_ ; -- Begin function _ZN7rocprim17ROCPRIM_400000_NS6detail17trampoline_kernelINS0_14default_configENS1_25partition_config_selectorILNS1_17partition_subalgoE5ElNS0_10empty_typeEbEEZZNS1_14partition_implILS5_5ELb0ES3_mN6hipcub16HIPCUB_304000_NS21CountingInputIteratorIllEEPS6_NSA_22TransformInputIteratorIb7NonZeroIfEPflEENS0_5tupleIJPlS6_EEENSJ_IJSD_SD_EEES6_SK_JS6_EEE10hipError_tPvRmT3_T4_T5_T6_T7_T9_mT8_P12ihipStream_tbDpT10_ENKUlT_T0_E_clISt17integral_constantIbLb1EES16_EEDaS11_S12_EUlS11_E_NS1_11comp_targetILNS1_3genE8ELNS1_11target_archE1030ELNS1_3gpuE2ELNS1_3repE0EEENS1_30default_config_static_selectorELNS0_4arch9wavefront6targetE1EEEvT1_
	.globl	_ZN7rocprim17ROCPRIM_400000_NS6detail17trampoline_kernelINS0_14default_configENS1_25partition_config_selectorILNS1_17partition_subalgoE5ElNS0_10empty_typeEbEEZZNS1_14partition_implILS5_5ELb0ES3_mN6hipcub16HIPCUB_304000_NS21CountingInputIteratorIllEEPS6_NSA_22TransformInputIteratorIb7NonZeroIfEPflEENS0_5tupleIJPlS6_EEENSJ_IJSD_SD_EEES6_SK_JS6_EEE10hipError_tPvRmT3_T4_T5_T6_T7_T9_mT8_P12ihipStream_tbDpT10_ENKUlT_T0_E_clISt17integral_constantIbLb1EES16_EEDaS11_S12_EUlS11_E_NS1_11comp_targetILNS1_3genE8ELNS1_11target_archE1030ELNS1_3gpuE2ELNS1_3repE0EEENS1_30default_config_static_selectorELNS0_4arch9wavefront6targetE1EEEvT1_
	.p2align	8
	.type	_ZN7rocprim17ROCPRIM_400000_NS6detail17trampoline_kernelINS0_14default_configENS1_25partition_config_selectorILNS1_17partition_subalgoE5ElNS0_10empty_typeEbEEZZNS1_14partition_implILS5_5ELb0ES3_mN6hipcub16HIPCUB_304000_NS21CountingInputIteratorIllEEPS6_NSA_22TransformInputIteratorIb7NonZeroIfEPflEENS0_5tupleIJPlS6_EEENSJ_IJSD_SD_EEES6_SK_JS6_EEE10hipError_tPvRmT3_T4_T5_T6_T7_T9_mT8_P12ihipStream_tbDpT10_ENKUlT_T0_E_clISt17integral_constantIbLb1EES16_EEDaS11_S12_EUlS11_E_NS1_11comp_targetILNS1_3genE8ELNS1_11target_archE1030ELNS1_3gpuE2ELNS1_3repE0EEENS1_30default_config_static_selectorELNS0_4arch9wavefront6targetE1EEEvT1_,@function
_ZN7rocprim17ROCPRIM_400000_NS6detail17trampoline_kernelINS0_14default_configENS1_25partition_config_selectorILNS1_17partition_subalgoE5ElNS0_10empty_typeEbEEZZNS1_14partition_implILS5_5ELb0ES3_mN6hipcub16HIPCUB_304000_NS21CountingInputIteratorIllEEPS6_NSA_22TransformInputIteratorIb7NonZeroIfEPflEENS0_5tupleIJPlS6_EEENSJ_IJSD_SD_EEES6_SK_JS6_EEE10hipError_tPvRmT3_T4_T5_T6_T7_T9_mT8_P12ihipStream_tbDpT10_ENKUlT_T0_E_clISt17integral_constantIbLb1EES16_EEDaS11_S12_EUlS11_E_NS1_11comp_targetILNS1_3genE8ELNS1_11target_archE1030ELNS1_3gpuE2ELNS1_3repE0EEENS1_30default_config_static_selectorELNS0_4arch9wavefront6targetE1EEEvT1_: ; @_ZN7rocprim17ROCPRIM_400000_NS6detail17trampoline_kernelINS0_14default_configENS1_25partition_config_selectorILNS1_17partition_subalgoE5ElNS0_10empty_typeEbEEZZNS1_14partition_implILS5_5ELb0ES3_mN6hipcub16HIPCUB_304000_NS21CountingInputIteratorIllEEPS6_NSA_22TransformInputIteratorIb7NonZeroIfEPflEENS0_5tupleIJPlS6_EEENSJ_IJSD_SD_EEES6_SK_JS6_EEE10hipError_tPvRmT3_T4_T5_T6_T7_T9_mT8_P12ihipStream_tbDpT10_ENKUlT_T0_E_clISt17integral_constantIbLb1EES16_EEDaS11_S12_EUlS11_E_NS1_11comp_targetILNS1_3genE8ELNS1_11target_archE1030ELNS1_3gpuE2ELNS1_3repE0EEENS1_30default_config_static_selectorELNS0_4arch9wavefront6targetE1EEEvT1_
; %bb.0:
	.section	.rodata,"a",@progbits
	.p2align	6, 0x0
	.amdhsa_kernel _ZN7rocprim17ROCPRIM_400000_NS6detail17trampoline_kernelINS0_14default_configENS1_25partition_config_selectorILNS1_17partition_subalgoE5ElNS0_10empty_typeEbEEZZNS1_14partition_implILS5_5ELb0ES3_mN6hipcub16HIPCUB_304000_NS21CountingInputIteratorIllEEPS6_NSA_22TransformInputIteratorIb7NonZeroIfEPflEENS0_5tupleIJPlS6_EEENSJ_IJSD_SD_EEES6_SK_JS6_EEE10hipError_tPvRmT3_T4_T5_T6_T7_T9_mT8_P12ihipStream_tbDpT10_ENKUlT_T0_E_clISt17integral_constantIbLb1EES16_EEDaS11_S12_EUlS11_E_NS1_11comp_targetILNS1_3genE8ELNS1_11target_archE1030ELNS1_3gpuE2ELNS1_3repE0EEENS1_30default_config_static_selectorELNS0_4arch9wavefront6targetE1EEEvT1_
		.amdhsa_group_segment_fixed_size 0
		.amdhsa_private_segment_fixed_size 0
		.amdhsa_kernarg_size 136
		.amdhsa_user_sgpr_count 2
		.amdhsa_user_sgpr_dispatch_ptr 0
		.amdhsa_user_sgpr_queue_ptr 0
		.amdhsa_user_sgpr_kernarg_segment_ptr 1
		.amdhsa_user_sgpr_dispatch_id 0
		.amdhsa_user_sgpr_kernarg_preload_length 0
		.amdhsa_user_sgpr_kernarg_preload_offset 0
		.amdhsa_user_sgpr_private_segment_size 0
		.amdhsa_uses_dynamic_stack 0
		.amdhsa_enable_private_segment 0
		.amdhsa_system_sgpr_workgroup_id_x 1
		.amdhsa_system_sgpr_workgroup_id_y 0
		.amdhsa_system_sgpr_workgroup_id_z 0
		.amdhsa_system_sgpr_workgroup_info 0
		.amdhsa_system_vgpr_workitem_id 0
		.amdhsa_next_free_vgpr 1
		.amdhsa_next_free_sgpr 0
		.amdhsa_accum_offset 4
		.amdhsa_reserve_vcc 0
		.amdhsa_float_round_mode_32 0
		.amdhsa_float_round_mode_16_64 0
		.amdhsa_float_denorm_mode_32 3
		.amdhsa_float_denorm_mode_16_64 3
		.amdhsa_dx10_clamp 1
		.amdhsa_ieee_mode 1
		.amdhsa_fp16_overflow 0
		.amdhsa_tg_split 0
		.amdhsa_exception_fp_ieee_invalid_op 0
		.amdhsa_exception_fp_denorm_src 0
		.amdhsa_exception_fp_ieee_div_zero 0
		.amdhsa_exception_fp_ieee_overflow 0
		.amdhsa_exception_fp_ieee_underflow 0
		.amdhsa_exception_fp_ieee_inexact 0
		.amdhsa_exception_int_div_zero 0
	.end_amdhsa_kernel
	.section	.text._ZN7rocprim17ROCPRIM_400000_NS6detail17trampoline_kernelINS0_14default_configENS1_25partition_config_selectorILNS1_17partition_subalgoE5ElNS0_10empty_typeEbEEZZNS1_14partition_implILS5_5ELb0ES3_mN6hipcub16HIPCUB_304000_NS21CountingInputIteratorIllEEPS6_NSA_22TransformInputIteratorIb7NonZeroIfEPflEENS0_5tupleIJPlS6_EEENSJ_IJSD_SD_EEES6_SK_JS6_EEE10hipError_tPvRmT3_T4_T5_T6_T7_T9_mT8_P12ihipStream_tbDpT10_ENKUlT_T0_E_clISt17integral_constantIbLb1EES16_EEDaS11_S12_EUlS11_E_NS1_11comp_targetILNS1_3genE8ELNS1_11target_archE1030ELNS1_3gpuE2ELNS1_3repE0EEENS1_30default_config_static_selectorELNS0_4arch9wavefront6targetE1EEEvT1_,"axG",@progbits,_ZN7rocprim17ROCPRIM_400000_NS6detail17trampoline_kernelINS0_14default_configENS1_25partition_config_selectorILNS1_17partition_subalgoE5ElNS0_10empty_typeEbEEZZNS1_14partition_implILS5_5ELb0ES3_mN6hipcub16HIPCUB_304000_NS21CountingInputIteratorIllEEPS6_NSA_22TransformInputIteratorIb7NonZeroIfEPflEENS0_5tupleIJPlS6_EEENSJ_IJSD_SD_EEES6_SK_JS6_EEE10hipError_tPvRmT3_T4_T5_T6_T7_T9_mT8_P12ihipStream_tbDpT10_ENKUlT_T0_E_clISt17integral_constantIbLb1EES16_EEDaS11_S12_EUlS11_E_NS1_11comp_targetILNS1_3genE8ELNS1_11target_archE1030ELNS1_3gpuE2ELNS1_3repE0EEENS1_30default_config_static_selectorELNS0_4arch9wavefront6targetE1EEEvT1_,comdat
.Lfunc_end268:
	.size	_ZN7rocprim17ROCPRIM_400000_NS6detail17trampoline_kernelINS0_14default_configENS1_25partition_config_selectorILNS1_17partition_subalgoE5ElNS0_10empty_typeEbEEZZNS1_14partition_implILS5_5ELb0ES3_mN6hipcub16HIPCUB_304000_NS21CountingInputIteratorIllEEPS6_NSA_22TransformInputIteratorIb7NonZeroIfEPflEENS0_5tupleIJPlS6_EEENSJ_IJSD_SD_EEES6_SK_JS6_EEE10hipError_tPvRmT3_T4_T5_T6_T7_T9_mT8_P12ihipStream_tbDpT10_ENKUlT_T0_E_clISt17integral_constantIbLb1EES16_EEDaS11_S12_EUlS11_E_NS1_11comp_targetILNS1_3genE8ELNS1_11target_archE1030ELNS1_3gpuE2ELNS1_3repE0EEENS1_30default_config_static_selectorELNS0_4arch9wavefront6targetE1EEEvT1_, .Lfunc_end268-_ZN7rocprim17ROCPRIM_400000_NS6detail17trampoline_kernelINS0_14default_configENS1_25partition_config_selectorILNS1_17partition_subalgoE5ElNS0_10empty_typeEbEEZZNS1_14partition_implILS5_5ELb0ES3_mN6hipcub16HIPCUB_304000_NS21CountingInputIteratorIllEEPS6_NSA_22TransformInputIteratorIb7NonZeroIfEPflEENS0_5tupleIJPlS6_EEENSJ_IJSD_SD_EEES6_SK_JS6_EEE10hipError_tPvRmT3_T4_T5_T6_T7_T9_mT8_P12ihipStream_tbDpT10_ENKUlT_T0_E_clISt17integral_constantIbLb1EES16_EEDaS11_S12_EUlS11_E_NS1_11comp_targetILNS1_3genE8ELNS1_11target_archE1030ELNS1_3gpuE2ELNS1_3repE0EEENS1_30default_config_static_selectorELNS0_4arch9wavefront6targetE1EEEvT1_
                                        ; -- End function
	.set _ZN7rocprim17ROCPRIM_400000_NS6detail17trampoline_kernelINS0_14default_configENS1_25partition_config_selectorILNS1_17partition_subalgoE5ElNS0_10empty_typeEbEEZZNS1_14partition_implILS5_5ELb0ES3_mN6hipcub16HIPCUB_304000_NS21CountingInputIteratorIllEEPS6_NSA_22TransformInputIteratorIb7NonZeroIfEPflEENS0_5tupleIJPlS6_EEENSJ_IJSD_SD_EEES6_SK_JS6_EEE10hipError_tPvRmT3_T4_T5_T6_T7_T9_mT8_P12ihipStream_tbDpT10_ENKUlT_T0_E_clISt17integral_constantIbLb1EES16_EEDaS11_S12_EUlS11_E_NS1_11comp_targetILNS1_3genE8ELNS1_11target_archE1030ELNS1_3gpuE2ELNS1_3repE0EEENS1_30default_config_static_selectorELNS0_4arch9wavefront6targetE1EEEvT1_.num_vgpr, 0
	.set _ZN7rocprim17ROCPRIM_400000_NS6detail17trampoline_kernelINS0_14default_configENS1_25partition_config_selectorILNS1_17partition_subalgoE5ElNS0_10empty_typeEbEEZZNS1_14partition_implILS5_5ELb0ES3_mN6hipcub16HIPCUB_304000_NS21CountingInputIteratorIllEEPS6_NSA_22TransformInputIteratorIb7NonZeroIfEPflEENS0_5tupleIJPlS6_EEENSJ_IJSD_SD_EEES6_SK_JS6_EEE10hipError_tPvRmT3_T4_T5_T6_T7_T9_mT8_P12ihipStream_tbDpT10_ENKUlT_T0_E_clISt17integral_constantIbLb1EES16_EEDaS11_S12_EUlS11_E_NS1_11comp_targetILNS1_3genE8ELNS1_11target_archE1030ELNS1_3gpuE2ELNS1_3repE0EEENS1_30default_config_static_selectorELNS0_4arch9wavefront6targetE1EEEvT1_.num_agpr, 0
	.set _ZN7rocprim17ROCPRIM_400000_NS6detail17trampoline_kernelINS0_14default_configENS1_25partition_config_selectorILNS1_17partition_subalgoE5ElNS0_10empty_typeEbEEZZNS1_14partition_implILS5_5ELb0ES3_mN6hipcub16HIPCUB_304000_NS21CountingInputIteratorIllEEPS6_NSA_22TransformInputIteratorIb7NonZeroIfEPflEENS0_5tupleIJPlS6_EEENSJ_IJSD_SD_EEES6_SK_JS6_EEE10hipError_tPvRmT3_T4_T5_T6_T7_T9_mT8_P12ihipStream_tbDpT10_ENKUlT_T0_E_clISt17integral_constantIbLb1EES16_EEDaS11_S12_EUlS11_E_NS1_11comp_targetILNS1_3genE8ELNS1_11target_archE1030ELNS1_3gpuE2ELNS1_3repE0EEENS1_30default_config_static_selectorELNS0_4arch9wavefront6targetE1EEEvT1_.numbered_sgpr, 0
	.set _ZN7rocprim17ROCPRIM_400000_NS6detail17trampoline_kernelINS0_14default_configENS1_25partition_config_selectorILNS1_17partition_subalgoE5ElNS0_10empty_typeEbEEZZNS1_14partition_implILS5_5ELb0ES3_mN6hipcub16HIPCUB_304000_NS21CountingInputIteratorIllEEPS6_NSA_22TransformInputIteratorIb7NonZeroIfEPflEENS0_5tupleIJPlS6_EEENSJ_IJSD_SD_EEES6_SK_JS6_EEE10hipError_tPvRmT3_T4_T5_T6_T7_T9_mT8_P12ihipStream_tbDpT10_ENKUlT_T0_E_clISt17integral_constantIbLb1EES16_EEDaS11_S12_EUlS11_E_NS1_11comp_targetILNS1_3genE8ELNS1_11target_archE1030ELNS1_3gpuE2ELNS1_3repE0EEENS1_30default_config_static_selectorELNS0_4arch9wavefront6targetE1EEEvT1_.num_named_barrier, 0
	.set _ZN7rocprim17ROCPRIM_400000_NS6detail17trampoline_kernelINS0_14default_configENS1_25partition_config_selectorILNS1_17partition_subalgoE5ElNS0_10empty_typeEbEEZZNS1_14partition_implILS5_5ELb0ES3_mN6hipcub16HIPCUB_304000_NS21CountingInputIteratorIllEEPS6_NSA_22TransformInputIteratorIb7NonZeroIfEPflEENS0_5tupleIJPlS6_EEENSJ_IJSD_SD_EEES6_SK_JS6_EEE10hipError_tPvRmT3_T4_T5_T6_T7_T9_mT8_P12ihipStream_tbDpT10_ENKUlT_T0_E_clISt17integral_constantIbLb1EES16_EEDaS11_S12_EUlS11_E_NS1_11comp_targetILNS1_3genE8ELNS1_11target_archE1030ELNS1_3gpuE2ELNS1_3repE0EEENS1_30default_config_static_selectorELNS0_4arch9wavefront6targetE1EEEvT1_.private_seg_size, 0
	.set _ZN7rocprim17ROCPRIM_400000_NS6detail17trampoline_kernelINS0_14default_configENS1_25partition_config_selectorILNS1_17partition_subalgoE5ElNS0_10empty_typeEbEEZZNS1_14partition_implILS5_5ELb0ES3_mN6hipcub16HIPCUB_304000_NS21CountingInputIteratorIllEEPS6_NSA_22TransformInputIteratorIb7NonZeroIfEPflEENS0_5tupleIJPlS6_EEENSJ_IJSD_SD_EEES6_SK_JS6_EEE10hipError_tPvRmT3_T4_T5_T6_T7_T9_mT8_P12ihipStream_tbDpT10_ENKUlT_T0_E_clISt17integral_constantIbLb1EES16_EEDaS11_S12_EUlS11_E_NS1_11comp_targetILNS1_3genE8ELNS1_11target_archE1030ELNS1_3gpuE2ELNS1_3repE0EEENS1_30default_config_static_selectorELNS0_4arch9wavefront6targetE1EEEvT1_.uses_vcc, 0
	.set _ZN7rocprim17ROCPRIM_400000_NS6detail17trampoline_kernelINS0_14default_configENS1_25partition_config_selectorILNS1_17partition_subalgoE5ElNS0_10empty_typeEbEEZZNS1_14partition_implILS5_5ELb0ES3_mN6hipcub16HIPCUB_304000_NS21CountingInputIteratorIllEEPS6_NSA_22TransformInputIteratorIb7NonZeroIfEPflEENS0_5tupleIJPlS6_EEENSJ_IJSD_SD_EEES6_SK_JS6_EEE10hipError_tPvRmT3_T4_T5_T6_T7_T9_mT8_P12ihipStream_tbDpT10_ENKUlT_T0_E_clISt17integral_constantIbLb1EES16_EEDaS11_S12_EUlS11_E_NS1_11comp_targetILNS1_3genE8ELNS1_11target_archE1030ELNS1_3gpuE2ELNS1_3repE0EEENS1_30default_config_static_selectorELNS0_4arch9wavefront6targetE1EEEvT1_.uses_flat_scratch, 0
	.set _ZN7rocprim17ROCPRIM_400000_NS6detail17trampoline_kernelINS0_14default_configENS1_25partition_config_selectorILNS1_17partition_subalgoE5ElNS0_10empty_typeEbEEZZNS1_14partition_implILS5_5ELb0ES3_mN6hipcub16HIPCUB_304000_NS21CountingInputIteratorIllEEPS6_NSA_22TransformInputIteratorIb7NonZeroIfEPflEENS0_5tupleIJPlS6_EEENSJ_IJSD_SD_EEES6_SK_JS6_EEE10hipError_tPvRmT3_T4_T5_T6_T7_T9_mT8_P12ihipStream_tbDpT10_ENKUlT_T0_E_clISt17integral_constantIbLb1EES16_EEDaS11_S12_EUlS11_E_NS1_11comp_targetILNS1_3genE8ELNS1_11target_archE1030ELNS1_3gpuE2ELNS1_3repE0EEENS1_30default_config_static_selectorELNS0_4arch9wavefront6targetE1EEEvT1_.has_dyn_sized_stack, 0
	.set _ZN7rocprim17ROCPRIM_400000_NS6detail17trampoline_kernelINS0_14default_configENS1_25partition_config_selectorILNS1_17partition_subalgoE5ElNS0_10empty_typeEbEEZZNS1_14partition_implILS5_5ELb0ES3_mN6hipcub16HIPCUB_304000_NS21CountingInputIteratorIllEEPS6_NSA_22TransformInputIteratorIb7NonZeroIfEPflEENS0_5tupleIJPlS6_EEENSJ_IJSD_SD_EEES6_SK_JS6_EEE10hipError_tPvRmT3_T4_T5_T6_T7_T9_mT8_P12ihipStream_tbDpT10_ENKUlT_T0_E_clISt17integral_constantIbLb1EES16_EEDaS11_S12_EUlS11_E_NS1_11comp_targetILNS1_3genE8ELNS1_11target_archE1030ELNS1_3gpuE2ELNS1_3repE0EEENS1_30default_config_static_selectorELNS0_4arch9wavefront6targetE1EEEvT1_.has_recursion, 0
	.set _ZN7rocprim17ROCPRIM_400000_NS6detail17trampoline_kernelINS0_14default_configENS1_25partition_config_selectorILNS1_17partition_subalgoE5ElNS0_10empty_typeEbEEZZNS1_14partition_implILS5_5ELb0ES3_mN6hipcub16HIPCUB_304000_NS21CountingInputIteratorIllEEPS6_NSA_22TransformInputIteratorIb7NonZeroIfEPflEENS0_5tupleIJPlS6_EEENSJ_IJSD_SD_EEES6_SK_JS6_EEE10hipError_tPvRmT3_T4_T5_T6_T7_T9_mT8_P12ihipStream_tbDpT10_ENKUlT_T0_E_clISt17integral_constantIbLb1EES16_EEDaS11_S12_EUlS11_E_NS1_11comp_targetILNS1_3genE8ELNS1_11target_archE1030ELNS1_3gpuE2ELNS1_3repE0EEENS1_30default_config_static_selectorELNS0_4arch9wavefront6targetE1EEEvT1_.has_indirect_call, 0
	.section	.AMDGPU.csdata,"",@progbits
; Kernel info:
; codeLenInByte = 0
; TotalNumSgprs: 6
; NumVgprs: 0
; NumAgprs: 0
; TotalNumVgprs: 0
; ScratchSize: 0
; MemoryBound: 0
; FloatMode: 240
; IeeeMode: 1
; LDSByteSize: 0 bytes/workgroup (compile time only)
; SGPRBlocks: 0
; VGPRBlocks: 0
; NumSGPRsForWavesPerEU: 6
; NumVGPRsForWavesPerEU: 1
; AccumOffset: 4
; Occupancy: 8
; WaveLimiterHint : 0
; COMPUTE_PGM_RSRC2:SCRATCH_EN: 0
; COMPUTE_PGM_RSRC2:USER_SGPR: 2
; COMPUTE_PGM_RSRC2:TRAP_HANDLER: 0
; COMPUTE_PGM_RSRC2:TGID_X_EN: 1
; COMPUTE_PGM_RSRC2:TGID_Y_EN: 0
; COMPUTE_PGM_RSRC2:TGID_Z_EN: 0
; COMPUTE_PGM_RSRC2:TIDIG_COMP_CNT: 0
; COMPUTE_PGM_RSRC3_GFX90A:ACCUM_OFFSET: 0
; COMPUTE_PGM_RSRC3_GFX90A:TG_SPLIT: 0
	.section	.text._ZN7rocprim17ROCPRIM_400000_NS6detail17trampoline_kernelINS0_14default_configENS1_25partition_config_selectorILNS1_17partition_subalgoE5ElNS0_10empty_typeEbEEZZNS1_14partition_implILS5_5ELb0ES3_mN6hipcub16HIPCUB_304000_NS21CountingInputIteratorIllEEPS6_NSA_22TransformInputIteratorIb7NonZeroIfEPflEENS0_5tupleIJPlS6_EEENSJ_IJSD_SD_EEES6_SK_JS6_EEE10hipError_tPvRmT3_T4_T5_T6_T7_T9_mT8_P12ihipStream_tbDpT10_ENKUlT_T0_E_clISt17integral_constantIbLb1EES15_IbLb0EEEEDaS11_S12_EUlS11_E_NS1_11comp_targetILNS1_3genE0ELNS1_11target_archE4294967295ELNS1_3gpuE0ELNS1_3repE0EEENS1_30default_config_static_selectorELNS0_4arch9wavefront6targetE1EEEvT1_,"axG",@progbits,_ZN7rocprim17ROCPRIM_400000_NS6detail17trampoline_kernelINS0_14default_configENS1_25partition_config_selectorILNS1_17partition_subalgoE5ElNS0_10empty_typeEbEEZZNS1_14partition_implILS5_5ELb0ES3_mN6hipcub16HIPCUB_304000_NS21CountingInputIteratorIllEEPS6_NSA_22TransformInputIteratorIb7NonZeroIfEPflEENS0_5tupleIJPlS6_EEENSJ_IJSD_SD_EEES6_SK_JS6_EEE10hipError_tPvRmT3_T4_T5_T6_T7_T9_mT8_P12ihipStream_tbDpT10_ENKUlT_T0_E_clISt17integral_constantIbLb1EES15_IbLb0EEEEDaS11_S12_EUlS11_E_NS1_11comp_targetILNS1_3genE0ELNS1_11target_archE4294967295ELNS1_3gpuE0ELNS1_3repE0EEENS1_30default_config_static_selectorELNS0_4arch9wavefront6targetE1EEEvT1_,comdat
	.protected	_ZN7rocprim17ROCPRIM_400000_NS6detail17trampoline_kernelINS0_14default_configENS1_25partition_config_selectorILNS1_17partition_subalgoE5ElNS0_10empty_typeEbEEZZNS1_14partition_implILS5_5ELb0ES3_mN6hipcub16HIPCUB_304000_NS21CountingInputIteratorIllEEPS6_NSA_22TransformInputIteratorIb7NonZeroIfEPflEENS0_5tupleIJPlS6_EEENSJ_IJSD_SD_EEES6_SK_JS6_EEE10hipError_tPvRmT3_T4_T5_T6_T7_T9_mT8_P12ihipStream_tbDpT10_ENKUlT_T0_E_clISt17integral_constantIbLb1EES15_IbLb0EEEEDaS11_S12_EUlS11_E_NS1_11comp_targetILNS1_3genE0ELNS1_11target_archE4294967295ELNS1_3gpuE0ELNS1_3repE0EEENS1_30default_config_static_selectorELNS0_4arch9wavefront6targetE1EEEvT1_ ; -- Begin function _ZN7rocprim17ROCPRIM_400000_NS6detail17trampoline_kernelINS0_14default_configENS1_25partition_config_selectorILNS1_17partition_subalgoE5ElNS0_10empty_typeEbEEZZNS1_14partition_implILS5_5ELb0ES3_mN6hipcub16HIPCUB_304000_NS21CountingInputIteratorIllEEPS6_NSA_22TransformInputIteratorIb7NonZeroIfEPflEENS0_5tupleIJPlS6_EEENSJ_IJSD_SD_EEES6_SK_JS6_EEE10hipError_tPvRmT3_T4_T5_T6_T7_T9_mT8_P12ihipStream_tbDpT10_ENKUlT_T0_E_clISt17integral_constantIbLb1EES15_IbLb0EEEEDaS11_S12_EUlS11_E_NS1_11comp_targetILNS1_3genE0ELNS1_11target_archE4294967295ELNS1_3gpuE0ELNS1_3repE0EEENS1_30default_config_static_selectorELNS0_4arch9wavefront6targetE1EEEvT1_
	.globl	_ZN7rocprim17ROCPRIM_400000_NS6detail17trampoline_kernelINS0_14default_configENS1_25partition_config_selectorILNS1_17partition_subalgoE5ElNS0_10empty_typeEbEEZZNS1_14partition_implILS5_5ELb0ES3_mN6hipcub16HIPCUB_304000_NS21CountingInputIteratorIllEEPS6_NSA_22TransformInputIteratorIb7NonZeroIfEPflEENS0_5tupleIJPlS6_EEENSJ_IJSD_SD_EEES6_SK_JS6_EEE10hipError_tPvRmT3_T4_T5_T6_T7_T9_mT8_P12ihipStream_tbDpT10_ENKUlT_T0_E_clISt17integral_constantIbLb1EES15_IbLb0EEEEDaS11_S12_EUlS11_E_NS1_11comp_targetILNS1_3genE0ELNS1_11target_archE4294967295ELNS1_3gpuE0ELNS1_3repE0EEENS1_30default_config_static_selectorELNS0_4arch9wavefront6targetE1EEEvT1_
	.p2align	8
	.type	_ZN7rocprim17ROCPRIM_400000_NS6detail17trampoline_kernelINS0_14default_configENS1_25partition_config_selectorILNS1_17partition_subalgoE5ElNS0_10empty_typeEbEEZZNS1_14partition_implILS5_5ELb0ES3_mN6hipcub16HIPCUB_304000_NS21CountingInputIteratorIllEEPS6_NSA_22TransformInputIteratorIb7NonZeroIfEPflEENS0_5tupleIJPlS6_EEENSJ_IJSD_SD_EEES6_SK_JS6_EEE10hipError_tPvRmT3_T4_T5_T6_T7_T9_mT8_P12ihipStream_tbDpT10_ENKUlT_T0_E_clISt17integral_constantIbLb1EES15_IbLb0EEEEDaS11_S12_EUlS11_E_NS1_11comp_targetILNS1_3genE0ELNS1_11target_archE4294967295ELNS1_3gpuE0ELNS1_3repE0EEENS1_30default_config_static_selectorELNS0_4arch9wavefront6targetE1EEEvT1_,@function
_ZN7rocprim17ROCPRIM_400000_NS6detail17trampoline_kernelINS0_14default_configENS1_25partition_config_selectorILNS1_17partition_subalgoE5ElNS0_10empty_typeEbEEZZNS1_14partition_implILS5_5ELb0ES3_mN6hipcub16HIPCUB_304000_NS21CountingInputIteratorIllEEPS6_NSA_22TransformInputIteratorIb7NonZeroIfEPflEENS0_5tupleIJPlS6_EEENSJ_IJSD_SD_EEES6_SK_JS6_EEE10hipError_tPvRmT3_T4_T5_T6_T7_T9_mT8_P12ihipStream_tbDpT10_ENKUlT_T0_E_clISt17integral_constantIbLb1EES15_IbLb0EEEEDaS11_S12_EUlS11_E_NS1_11comp_targetILNS1_3genE0ELNS1_11target_archE4294967295ELNS1_3gpuE0ELNS1_3repE0EEENS1_30default_config_static_selectorELNS0_4arch9wavefront6targetE1EEEvT1_: ; @_ZN7rocprim17ROCPRIM_400000_NS6detail17trampoline_kernelINS0_14default_configENS1_25partition_config_selectorILNS1_17partition_subalgoE5ElNS0_10empty_typeEbEEZZNS1_14partition_implILS5_5ELb0ES3_mN6hipcub16HIPCUB_304000_NS21CountingInputIteratorIllEEPS6_NSA_22TransformInputIteratorIb7NonZeroIfEPflEENS0_5tupleIJPlS6_EEENSJ_IJSD_SD_EEES6_SK_JS6_EEE10hipError_tPvRmT3_T4_T5_T6_T7_T9_mT8_P12ihipStream_tbDpT10_ENKUlT_T0_E_clISt17integral_constantIbLb1EES15_IbLb0EEEEDaS11_S12_EUlS11_E_NS1_11comp_targetILNS1_3genE0ELNS1_11target_archE4294967295ELNS1_3gpuE0ELNS1_3repE0EEENS1_30default_config_static_selectorELNS0_4arch9wavefront6targetE1EEEvT1_
; %bb.0:
	s_endpgm
	.section	.rodata,"a",@progbits
	.p2align	6, 0x0
	.amdhsa_kernel _ZN7rocprim17ROCPRIM_400000_NS6detail17trampoline_kernelINS0_14default_configENS1_25partition_config_selectorILNS1_17partition_subalgoE5ElNS0_10empty_typeEbEEZZNS1_14partition_implILS5_5ELb0ES3_mN6hipcub16HIPCUB_304000_NS21CountingInputIteratorIllEEPS6_NSA_22TransformInputIteratorIb7NonZeroIfEPflEENS0_5tupleIJPlS6_EEENSJ_IJSD_SD_EEES6_SK_JS6_EEE10hipError_tPvRmT3_T4_T5_T6_T7_T9_mT8_P12ihipStream_tbDpT10_ENKUlT_T0_E_clISt17integral_constantIbLb1EES15_IbLb0EEEEDaS11_S12_EUlS11_E_NS1_11comp_targetILNS1_3genE0ELNS1_11target_archE4294967295ELNS1_3gpuE0ELNS1_3repE0EEENS1_30default_config_static_selectorELNS0_4arch9wavefront6targetE1EEEvT1_
		.amdhsa_group_segment_fixed_size 0
		.amdhsa_private_segment_fixed_size 0
		.amdhsa_kernarg_size 120
		.amdhsa_user_sgpr_count 2
		.amdhsa_user_sgpr_dispatch_ptr 0
		.amdhsa_user_sgpr_queue_ptr 0
		.amdhsa_user_sgpr_kernarg_segment_ptr 1
		.amdhsa_user_sgpr_dispatch_id 0
		.amdhsa_user_sgpr_kernarg_preload_length 0
		.amdhsa_user_sgpr_kernarg_preload_offset 0
		.amdhsa_user_sgpr_private_segment_size 0
		.amdhsa_uses_dynamic_stack 0
		.amdhsa_enable_private_segment 0
		.amdhsa_system_sgpr_workgroup_id_x 1
		.amdhsa_system_sgpr_workgroup_id_y 0
		.amdhsa_system_sgpr_workgroup_id_z 0
		.amdhsa_system_sgpr_workgroup_info 0
		.amdhsa_system_vgpr_workitem_id 0
		.amdhsa_next_free_vgpr 1
		.amdhsa_next_free_sgpr 0
		.amdhsa_accum_offset 4
		.amdhsa_reserve_vcc 0
		.amdhsa_float_round_mode_32 0
		.amdhsa_float_round_mode_16_64 0
		.amdhsa_float_denorm_mode_32 3
		.amdhsa_float_denorm_mode_16_64 3
		.amdhsa_dx10_clamp 1
		.amdhsa_ieee_mode 1
		.amdhsa_fp16_overflow 0
		.amdhsa_tg_split 0
		.amdhsa_exception_fp_ieee_invalid_op 0
		.amdhsa_exception_fp_denorm_src 0
		.amdhsa_exception_fp_ieee_div_zero 0
		.amdhsa_exception_fp_ieee_overflow 0
		.amdhsa_exception_fp_ieee_underflow 0
		.amdhsa_exception_fp_ieee_inexact 0
		.amdhsa_exception_int_div_zero 0
	.end_amdhsa_kernel
	.section	.text._ZN7rocprim17ROCPRIM_400000_NS6detail17trampoline_kernelINS0_14default_configENS1_25partition_config_selectorILNS1_17partition_subalgoE5ElNS0_10empty_typeEbEEZZNS1_14partition_implILS5_5ELb0ES3_mN6hipcub16HIPCUB_304000_NS21CountingInputIteratorIllEEPS6_NSA_22TransformInputIteratorIb7NonZeroIfEPflEENS0_5tupleIJPlS6_EEENSJ_IJSD_SD_EEES6_SK_JS6_EEE10hipError_tPvRmT3_T4_T5_T6_T7_T9_mT8_P12ihipStream_tbDpT10_ENKUlT_T0_E_clISt17integral_constantIbLb1EES15_IbLb0EEEEDaS11_S12_EUlS11_E_NS1_11comp_targetILNS1_3genE0ELNS1_11target_archE4294967295ELNS1_3gpuE0ELNS1_3repE0EEENS1_30default_config_static_selectorELNS0_4arch9wavefront6targetE1EEEvT1_,"axG",@progbits,_ZN7rocprim17ROCPRIM_400000_NS6detail17trampoline_kernelINS0_14default_configENS1_25partition_config_selectorILNS1_17partition_subalgoE5ElNS0_10empty_typeEbEEZZNS1_14partition_implILS5_5ELb0ES3_mN6hipcub16HIPCUB_304000_NS21CountingInputIteratorIllEEPS6_NSA_22TransformInputIteratorIb7NonZeroIfEPflEENS0_5tupleIJPlS6_EEENSJ_IJSD_SD_EEES6_SK_JS6_EEE10hipError_tPvRmT3_T4_T5_T6_T7_T9_mT8_P12ihipStream_tbDpT10_ENKUlT_T0_E_clISt17integral_constantIbLb1EES15_IbLb0EEEEDaS11_S12_EUlS11_E_NS1_11comp_targetILNS1_3genE0ELNS1_11target_archE4294967295ELNS1_3gpuE0ELNS1_3repE0EEENS1_30default_config_static_selectorELNS0_4arch9wavefront6targetE1EEEvT1_,comdat
.Lfunc_end269:
	.size	_ZN7rocprim17ROCPRIM_400000_NS6detail17trampoline_kernelINS0_14default_configENS1_25partition_config_selectorILNS1_17partition_subalgoE5ElNS0_10empty_typeEbEEZZNS1_14partition_implILS5_5ELb0ES3_mN6hipcub16HIPCUB_304000_NS21CountingInputIteratorIllEEPS6_NSA_22TransformInputIteratorIb7NonZeroIfEPflEENS0_5tupleIJPlS6_EEENSJ_IJSD_SD_EEES6_SK_JS6_EEE10hipError_tPvRmT3_T4_T5_T6_T7_T9_mT8_P12ihipStream_tbDpT10_ENKUlT_T0_E_clISt17integral_constantIbLb1EES15_IbLb0EEEEDaS11_S12_EUlS11_E_NS1_11comp_targetILNS1_3genE0ELNS1_11target_archE4294967295ELNS1_3gpuE0ELNS1_3repE0EEENS1_30default_config_static_selectorELNS0_4arch9wavefront6targetE1EEEvT1_, .Lfunc_end269-_ZN7rocprim17ROCPRIM_400000_NS6detail17trampoline_kernelINS0_14default_configENS1_25partition_config_selectorILNS1_17partition_subalgoE5ElNS0_10empty_typeEbEEZZNS1_14partition_implILS5_5ELb0ES3_mN6hipcub16HIPCUB_304000_NS21CountingInputIteratorIllEEPS6_NSA_22TransformInputIteratorIb7NonZeroIfEPflEENS0_5tupleIJPlS6_EEENSJ_IJSD_SD_EEES6_SK_JS6_EEE10hipError_tPvRmT3_T4_T5_T6_T7_T9_mT8_P12ihipStream_tbDpT10_ENKUlT_T0_E_clISt17integral_constantIbLb1EES15_IbLb0EEEEDaS11_S12_EUlS11_E_NS1_11comp_targetILNS1_3genE0ELNS1_11target_archE4294967295ELNS1_3gpuE0ELNS1_3repE0EEENS1_30default_config_static_selectorELNS0_4arch9wavefront6targetE1EEEvT1_
                                        ; -- End function
	.set _ZN7rocprim17ROCPRIM_400000_NS6detail17trampoline_kernelINS0_14default_configENS1_25partition_config_selectorILNS1_17partition_subalgoE5ElNS0_10empty_typeEbEEZZNS1_14partition_implILS5_5ELb0ES3_mN6hipcub16HIPCUB_304000_NS21CountingInputIteratorIllEEPS6_NSA_22TransformInputIteratorIb7NonZeroIfEPflEENS0_5tupleIJPlS6_EEENSJ_IJSD_SD_EEES6_SK_JS6_EEE10hipError_tPvRmT3_T4_T5_T6_T7_T9_mT8_P12ihipStream_tbDpT10_ENKUlT_T0_E_clISt17integral_constantIbLb1EES15_IbLb0EEEEDaS11_S12_EUlS11_E_NS1_11comp_targetILNS1_3genE0ELNS1_11target_archE4294967295ELNS1_3gpuE0ELNS1_3repE0EEENS1_30default_config_static_selectorELNS0_4arch9wavefront6targetE1EEEvT1_.num_vgpr, 0
	.set _ZN7rocprim17ROCPRIM_400000_NS6detail17trampoline_kernelINS0_14default_configENS1_25partition_config_selectorILNS1_17partition_subalgoE5ElNS0_10empty_typeEbEEZZNS1_14partition_implILS5_5ELb0ES3_mN6hipcub16HIPCUB_304000_NS21CountingInputIteratorIllEEPS6_NSA_22TransformInputIteratorIb7NonZeroIfEPflEENS0_5tupleIJPlS6_EEENSJ_IJSD_SD_EEES6_SK_JS6_EEE10hipError_tPvRmT3_T4_T5_T6_T7_T9_mT8_P12ihipStream_tbDpT10_ENKUlT_T0_E_clISt17integral_constantIbLb1EES15_IbLb0EEEEDaS11_S12_EUlS11_E_NS1_11comp_targetILNS1_3genE0ELNS1_11target_archE4294967295ELNS1_3gpuE0ELNS1_3repE0EEENS1_30default_config_static_selectorELNS0_4arch9wavefront6targetE1EEEvT1_.num_agpr, 0
	.set _ZN7rocprim17ROCPRIM_400000_NS6detail17trampoline_kernelINS0_14default_configENS1_25partition_config_selectorILNS1_17partition_subalgoE5ElNS0_10empty_typeEbEEZZNS1_14partition_implILS5_5ELb0ES3_mN6hipcub16HIPCUB_304000_NS21CountingInputIteratorIllEEPS6_NSA_22TransformInputIteratorIb7NonZeroIfEPflEENS0_5tupleIJPlS6_EEENSJ_IJSD_SD_EEES6_SK_JS6_EEE10hipError_tPvRmT3_T4_T5_T6_T7_T9_mT8_P12ihipStream_tbDpT10_ENKUlT_T0_E_clISt17integral_constantIbLb1EES15_IbLb0EEEEDaS11_S12_EUlS11_E_NS1_11comp_targetILNS1_3genE0ELNS1_11target_archE4294967295ELNS1_3gpuE0ELNS1_3repE0EEENS1_30default_config_static_selectorELNS0_4arch9wavefront6targetE1EEEvT1_.numbered_sgpr, 0
	.set _ZN7rocprim17ROCPRIM_400000_NS6detail17trampoline_kernelINS0_14default_configENS1_25partition_config_selectorILNS1_17partition_subalgoE5ElNS0_10empty_typeEbEEZZNS1_14partition_implILS5_5ELb0ES3_mN6hipcub16HIPCUB_304000_NS21CountingInputIteratorIllEEPS6_NSA_22TransformInputIteratorIb7NonZeroIfEPflEENS0_5tupleIJPlS6_EEENSJ_IJSD_SD_EEES6_SK_JS6_EEE10hipError_tPvRmT3_T4_T5_T6_T7_T9_mT8_P12ihipStream_tbDpT10_ENKUlT_T0_E_clISt17integral_constantIbLb1EES15_IbLb0EEEEDaS11_S12_EUlS11_E_NS1_11comp_targetILNS1_3genE0ELNS1_11target_archE4294967295ELNS1_3gpuE0ELNS1_3repE0EEENS1_30default_config_static_selectorELNS0_4arch9wavefront6targetE1EEEvT1_.num_named_barrier, 0
	.set _ZN7rocprim17ROCPRIM_400000_NS6detail17trampoline_kernelINS0_14default_configENS1_25partition_config_selectorILNS1_17partition_subalgoE5ElNS0_10empty_typeEbEEZZNS1_14partition_implILS5_5ELb0ES3_mN6hipcub16HIPCUB_304000_NS21CountingInputIteratorIllEEPS6_NSA_22TransformInputIteratorIb7NonZeroIfEPflEENS0_5tupleIJPlS6_EEENSJ_IJSD_SD_EEES6_SK_JS6_EEE10hipError_tPvRmT3_T4_T5_T6_T7_T9_mT8_P12ihipStream_tbDpT10_ENKUlT_T0_E_clISt17integral_constantIbLb1EES15_IbLb0EEEEDaS11_S12_EUlS11_E_NS1_11comp_targetILNS1_3genE0ELNS1_11target_archE4294967295ELNS1_3gpuE0ELNS1_3repE0EEENS1_30default_config_static_selectorELNS0_4arch9wavefront6targetE1EEEvT1_.private_seg_size, 0
	.set _ZN7rocprim17ROCPRIM_400000_NS6detail17trampoline_kernelINS0_14default_configENS1_25partition_config_selectorILNS1_17partition_subalgoE5ElNS0_10empty_typeEbEEZZNS1_14partition_implILS5_5ELb0ES3_mN6hipcub16HIPCUB_304000_NS21CountingInputIteratorIllEEPS6_NSA_22TransformInputIteratorIb7NonZeroIfEPflEENS0_5tupleIJPlS6_EEENSJ_IJSD_SD_EEES6_SK_JS6_EEE10hipError_tPvRmT3_T4_T5_T6_T7_T9_mT8_P12ihipStream_tbDpT10_ENKUlT_T0_E_clISt17integral_constantIbLb1EES15_IbLb0EEEEDaS11_S12_EUlS11_E_NS1_11comp_targetILNS1_3genE0ELNS1_11target_archE4294967295ELNS1_3gpuE0ELNS1_3repE0EEENS1_30default_config_static_selectorELNS0_4arch9wavefront6targetE1EEEvT1_.uses_vcc, 0
	.set _ZN7rocprim17ROCPRIM_400000_NS6detail17trampoline_kernelINS0_14default_configENS1_25partition_config_selectorILNS1_17partition_subalgoE5ElNS0_10empty_typeEbEEZZNS1_14partition_implILS5_5ELb0ES3_mN6hipcub16HIPCUB_304000_NS21CountingInputIteratorIllEEPS6_NSA_22TransformInputIteratorIb7NonZeroIfEPflEENS0_5tupleIJPlS6_EEENSJ_IJSD_SD_EEES6_SK_JS6_EEE10hipError_tPvRmT3_T4_T5_T6_T7_T9_mT8_P12ihipStream_tbDpT10_ENKUlT_T0_E_clISt17integral_constantIbLb1EES15_IbLb0EEEEDaS11_S12_EUlS11_E_NS1_11comp_targetILNS1_3genE0ELNS1_11target_archE4294967295ELNS1_3gpuE0ELNS1_3repE0EEENS1_30default_config_static_selectorELNS0_4arch9wavefront6targetE1EEEvT1_.uses_flat_scratch, 0
	.set _ZN7rocprim17ROCPRIM_400000_NS6detail17trampoline_kernelINS0_14default_configENS1_25partition_config_selectorILNS1_17partition_subalgoE5ElNS0_10empty_typeEbEEZZNS1_14partition_implILS5_5ELb0ES3_mN6hipcub16HIPCUB_304000_NS21CountingInputIteratorIllEEPS6_NSA_22TransformInputIteratorIb7NonZeroIfEPflEENS0_5tupleIJPlS6_EEENSJ_IJSD_SD_EEES6_SK_JS6_EEE10hipError_tPvRmT3_T4_T5_T6_T7_T9_mT8_P12ihipStream_tbDpT10_ENKUlT_T0_E_clISt17integral_constantIbLb1EES15_IbLb0EEEEDaS11_S12_EUlS11_E_NS1_11comp_targetILNS1_3genE0ELNS1_11target_archE4294967295ELNS1_3gpuE0ELNS1_3repE0EEENS1_30default_config_static_selectorELNS0_4arch9wavefront6targetE1EEEvT1_.has_dyn_sized_stack, 0
	.set _ZN7rocprim17ROCPRIM_400000_NS6detail17trampoline_kernelINS0_14default_configENS1_25partition_config_selectorILNS1_17partition_subalgoE5ElNS0_10empty_typeEbEEZZNS1_14partition_implILS5_5ELb0ES3_mN6hipcub16HIPCUB_304000_NS21CountingInputIteratorIllEEPS6_NSA_22TransformInputIteratorIb7NonZeroIfEPflEENS0_5tupleIJPlS6_EEENSJ_IJSD_SD_EEES6_SK_JS6_EEE10hipError_tPvRmT3_T4_T5_T6_T7_T9_mT8_P12ihipStream_tbDpT10_ENKUlT_T0_E_clISt17integral_constantIbLb1EES15_IbLb0EEEEDaS11_S12_EUlS11_E_NS1_11comp_targetILNS1_3genE0ELNS1_11target_archE4294967295ELNS1_3gpuE0ELNS1_3repE0EEENS1_30default_config_static_selectorELNS0_4arch9wavefront6targetE1EEEvT1_.has_recursion, 0
	.set _ZN7rocprim17ROCPRIM_400000_NS6detail17trampoline_kernelINS0_14default_configENS1_25partition_config_selectorILNS1_17partition_subalgoE5ElNS0_10empty_typeEbEEZZNS1_14partition_implILS5_5ELb0ES3_mN6hipcub16HIPCUB_304000_NS21CountingInputIteratorIllEEPS6_NSA_22TransformInputIteratorIb7NonZeroIfEPflEENS0_5tupleIJPlS6_EEENSJ_IJSD_SD_EEES6_SK_JS6_EEE10hipError_tPvRmT3_T4_T5_T6_T7_T9_mT8_P12ihipStream_tbDpT10_ENKUlT_T0_E_clISt17integral_constantIbLb1EES15_IbLb0EEEEDaS11_S12_EUlS11_E_NS1_11comp_targetILNS1_3genE0ELNS1_11target_archE4294967295ELNS1_3gpuE0ELNS1_3repE0EEENS1_30default_config_static_selectorELNS0_4arch9wavefront6targetE1EEEvT1_.has_indirect_call, 0
	.section	.AMDGPU.csdata,"",@progbits
; Kernel info:
; codeLenInByte = 4
; TotalNumSgprs: 6
; NumVgprs: 0
; NumAgprs: 0
; TotalNumVgprs: 0
; ScratchSize: 0
; MemoryBound: 0
; FloatMode: 240
; IeeeMode: 1
; LDSByteSize: 0 bytes/workgroup (compile time only)
; SGPRBlocks: 0
; VGPRBlocks: 0
; NumSGPRsForWavesPerEU: 6
; NumVGPRsForWavesPerEU: 1
; AccumOffset: 4
; Occupancy: 8
; WaveLimiterHint : 0
; COMPUTE_PGM_RSRC2:SCRATCH_EN: 0
; COMPUTE_PGM_RSRC2:USER_SGPR: 2
; COMPUTE_PGM_RSRC2:TRAP_HANDLER: 0
; COMPUTE_PGM_RSRC2:TGID_X_EN: 1
; COMPUTE_PGM_RSRC2:TGID_Y_EN: 0
; COMPUTE_PGM_RSRC2:TGID_Z_EN: 0
; COMPUTE_PGM_RSRC2:TIDIG_COMP_CNT: 0
; COMPUTE_PGM_RSRC3_GFX90A:ACCUM_OFFSET: 0
; COMPUTE_PGM_RSRC3_GFX90A:TG_SPLIT: 0
	.section	.text._ZN7rocprim17ROCPRIM_400000_NS6detail17trampoline_kernelINS0_14default_configENS1_25partition_config_selectorILNS1_17partition_subalgoE5ElNS0_10empty_typeEbEEZZNS1_14partition_implILS5_5ELb0ES3_mN6hipcub16HIPCUB_304000_NS21CountingInputIteratorIllEEPS6_NSA_22TransformInputIteratorIb7NonZeroIfEPflEENS0_5tupleIJPlS6_EEENSJ_IJSD_SD_EEES6_SK_JS6_EEE10hipError_tPvRmT3_T4_T5_T6_T7_T9_mT8_P12ihipStream_tbDpT10_ENKUlT_T0_E_clISt17integral_constantIbLb1EES15_IbLb0EEEEDaS11_S12_EUlS11_E_NS1_11comp_targetILNS1_3genE5ELNS1_11target_archE942ELNS1_3gpuE9ELNS1_3repE0EEENS1_30default_config_static_selectorELNS0_4arch9wavefront6targetE1EEEvT1_,"axG",@progbits,_ZN7rocprim17ROCPRIM_400000_NS6detail17trampoline_kernelINS0_14default_configENS1_25partition_config_selectorILNS1_17partition_subalgoE5ElNS0_10empty_typeEbEEZZNS1_14partition_implILS5_5ELb0ES3_mN6hipcub16HIPCUB_304000_NS21CountingInputIteratorIllEEPS6_NSA_22TransformInputIteratorIb7NonZeroIfEPflEENS0_5tupleIJPlS6_EEENSJ_IJSD_SD_EEES6_SK_JS6_EEE10hipError_tPvRmT3_T4_T5_T6_T7_T9_mT8_P12ihipStream_tbDpT10_ENKUlT_T0_E_clISt17integral_constantIbLb1EES15_IbLb0EEEEDaS11_S12_EUlS11_E_NS1_11comp_targetILNS1_3genE5ELNS1_11target_archE942ELNS1_3gpuE9ELNS1_3repE0EEENS1_30default_config_static_selectorELNS0_4arch9wavefront6targetE1EEEvT1_,comdat
	.protected	_ZN7rocprim17ROCPRIM_400000_NS6detail17trampoline_kernelINS0_14default_configENS1_25partition_config_selectorILNS1_17partition_subalgoE5ElNS0_10empty_typeEbEEZZNS1_14partition_implILS5_5ELb0ES3_mN6hipcub16HIPCUB_304000_NS21CountingInputIteratorIllEEPS6_NSA_22TransformInputIteratorIb7NonZeroIfEPflEENS0_5tupleIJPlS6_EEENSJ_IJSD_SD_EEES6_SK_JS6_EEE10hipError_tPvRmT3_T4_T5_T6_T7_T9_mT8_P12ihipStream_tbDpT10_ENKUlT_T0_E_clISt17integral_constantIbLb1EES15_IbLb0EEEEDaS11_S12_EUlS11_E_NS1_11comp_targetILNS1_3genE5ELNS1_11target_archE942ELNS1_3gpuE9ELNS1_3repE0EEENS1_30default_config_static_selectorELNS0_4arch9wavefront6targetE1EEEvT1_ ; -- Begin function _ZN7rocprim17ROCPRIM_400000_NS6detail17trampoline_kernelINS0_14default_configENS1_25partition_config_selectorILNS1_17partition_subalgoE5ElNS0_10empty_typeEbEEZZNS1_14partition_implILS5_5ELb0ES3_mN6hipcub16HIPCUB_304000_NS21CountingInputIteratorIllEEPS6_NSA_22TransformInputIteratorIb7NonZeroIfEPflEENS0_5tupleIJPlS6_EEENSJ_IJSD_SD_EEES6_SK_JS6_EEE10hipError_tPvRmT3_T4_T5_T6_T7_T9_mT8_P12ihipStream_tbDpT10_ENKUlT_T0_E_clISt17integral_constantIbLb1EES15_IbLb0EEEEDaS11_S12_EUlS11_E_NS1_11comp_targetILNS1_3genE5ELNS1_11target_archE942ELNS1_3gpuE9ELNS1_3repE0EEENS1_30default_config_static_selectorELNS0_4arch9wavefront6targetE1EEEvT1_
	.globl	_ZN7rocprim17ROCPRIM_400000_NS6detail17trampoline_kernelINS0_14default_configENS1_25partition_config_selectorILNS1_17partition_subalgoE5ElNS0_10empty_typeEbEEZZNS1_14partition_implILS5_5ELb0ES3_mN6hipcub16HIPCUB_304000_NS21CountingInputIteratorIllEEPS6_NSA_22TransformInputIteratorIb7NonZeroIfEPflEENS0_5tupleIJPlS6_EEENSJ_IJSD_SD_EEES6_SK_JS6_EEE10hipError_tPvRmT3_T4_T5_T6_T7_T9_mT8_P12ihipStream_tbDpT10_ENKUlT_T0_E_clISt17integral_constantIbLb1EES15_IbLb0EEEEDaS11_S12_EUlS11_E_NS1_11comp_targetILNS1_3genE5ELNS1_11target_archE942ELNS1_3gpuE9ELNS1_3repE0EEENS1_30default_config_static_selectorELNS0_4arch9wavefront6targetE1EEEvT1_
	.p2align	8
	.type	_ZN7rocprim17ROCPRIM_400000_NS6detail17trampoline_kernelINS0_14default_configENS1_25partition_config_selectorILNS1_17partition_subalgoE5ElNS0_10empty_typeEbEEZZNS1_14partition_implILS5_5ELb0ES3_mN6hipcub16HIPCUB_304000_NS21CountingInputIteratorIllEEPS6_NSA_22TransformInputIteratorIb7NonZeroIfEPflEENS0_5tupleIJPlS6_EEENSJ_IJSD_SD_EEES6_SK_JS6_EEE10hipError_tPvRmT3_T4_T5_T6_T7_T9_mT8_P12ihipStream_tbDpT10_ENKUlT_T0_E_clISt17integral_constantIbLb1EES15_IbLb0EEEEDaS11_S12_EUlS11_E_NS1_11comp_targetILNS1_3genE5ELNS1_11target_archE942ELNS1_3gpuE9ELNS1_3repE0EEENS1_30default_config_static_selectorELNS0_4arch9wavefront6targetE1EEEvT1_,@function
_ZN7rocprim17ROCPRIM_400000_NS6detail17trampoline_kernelINS0_14default_configENS1_25partition_config_selectorILNS1_17partition_subalgoE5ElNS0_10empty_typeEbEEZZNS1_14partition_implILS5_5ELb0ES3_mN6hipcub16HIPCUB_304000_NS21CountingInputIteratorIllEEPS6_NSA_22TransformInputIteratorIb7NonZeroIfEPflEENS0_5tupleIJPlS6_EEENSJ_IJSD_SD_EEES6_SK_JS6_EEE10hipError_tPvRmT3_T4_T5_T6_T7_T9_mT8_P12ihipStream_tbDpT10_ENKUlT_T0_E_clISt17integral_constantIbLb1EES15_IbLb0EEEEDaS11_S12_EUlS11_E_NS1_11comp_targetILNS1_3genE5ELNS1_11target_archE942ELNS1_3gpuE9ELNS1_3repE0EEENS1_30default_config_static_selectorELNS0_4arch9wavefront6targetE1EEEvT1_: ; @_ZN7rocprim17ROCPRIM_400000_NS6detail17trampoline_kernelINS0_14default_configENS1_25partition_config_selectorILNS1_17partition_subalgoE5ElNS0_10empty_typeEbEEZZNS1_14partition_implILS5_5ELb0ES3_mN6hipcub16HIPCUB_304000_NS21CountingInputIteratorIllEEPS6_NSA_22TransformInputIteratorIb7NonZeroIfEPflEENS0_5tupleIJPlS6_EEENSJ_IJSD_SD_EEES6_SK_JS6_EEE10hipError_tPvRmT3_T4_T5_T6_T7_T9_mT8_P12ihipStream_tbDpT10_ENKUlT_T0_E_clISt17integral_constantIbLb1EES15_IbLb0EEEEDaS11_S12_EUlS11_E_NS1_11comp_targetILNS1_3genE5ELNS1_11target_archE942ELNS1_3gpuE9ELNS1_3repE0EEENS1_30default_config_static_selectorELNS0_4arch9wavefront6targetE1EEEvT1_
; %bb.0:
	.section	.rodata,"a",@progbits
	.p2align	6, 0x0
	.amdhsa_kernel _ZN7rocprim17ROCPRIM_400000_NS6detail17trampoline_kernelINS0_14default_configENS1_25partition_config_selectorILNS1_17partition_subalgoE5ElNS0_10empty_typeEbEEZZNS1_14partition_implILS5_5ELb0ES3_mN6hipcub16HIPCUB_304000_NS21CountingInputIteratorIllEEPS6_NSA_22TransformInputIteratorIb7NonZeroIfEPflEENS0_5tupleIJPlS6_EEENSJ_IJSD_SD_EEES6_SK_JS6_EEE10hipError_tPvRmT3_T4_T5_T6_T7_T9_mT8_P12ihipStream_tbDpT10_ENKUlT_T0_E_clISt17integral_constantIbLb1EES15_IbLb0EEEEDaS11_S12_EUlS11_E_NS1_11comp_targetILNS1_3genE5ELNS1_11target_archE942ELNS1_3gpuE9ELNS1_3repE0EEENS1_30default_config_static_selectorELNS0_4arch9wavefront6targetE1EEEvT1_
		.amdhsa_group_segment_fixed_size 0
		.amdhsa_private_segment_fixed_size 0
		.amdhsa_kernarg_size 120
		.amdhsa_user_sgpr_count 2
		.amdhsa_user_sgpr_dispatch_ptr 0
		.amdhsa_user_sgpr_queue_ptr 0
		.amdhsa_user_sgpr_kernarg_segment_ptr 1
		.amdhsa_user_sgpr_dispatch_id 0
		.amdhsa_user_sgpr_kernarg_preload_length 0
		.amdhsa_user_sgpr_kernarg_preload_offset 0
		.amdhsa_user_sgpr_private_segment_size 0
		.amdhsa_uses_dynamic_stack 0
		.amdhsa_enable_private_segment 0
		.amdhsa_system_sgpr_workgroup_id_x 1
		.amdhsa_system_sgpr_workgroup_id_y 0
		.amdhsa_system_sgpr_workgroup_id_z 0
		.amdhsa_system_sgpr_workgroup_info 0
		.amdhsa_system_vgpr_workitem_id 0
		.amdhsa_next_free_vgpr 1
		.amdhsa_next_free_sgpr 0
		.amdhsa_accum_offset 4
		.amdhsa_reserve_vcc 0
		.amdhsa_float_round_mode_32 0
		.amdhsa_float_round_mode_16_64 0
		.amdhsa_float_denorm_mode_32 3
		.amdhsa_float_denorm_mode_16_64 3
		.amdhsa_dx10_clamp 1
		.amdhsa_ieee_mode 1
		.amdhsa_fp16_overflow 0
		.amdhsa_tg_split 0
		.amdhsa_exception_fp_ieee_invalid_op 0
		.amdhsa_exception_fp_denorm_src 0
		.amdhsa_exception_fp_ieee_div_zero 0
		.amdhsa_exception_fp_ieee_overflow 0
		.amdhsa_exception_fp_ieee_underflow 0
		.amdhsa_exception_fp_ieee_inexact 0
		.amdhsa_exception_int_div_zero 0
	.end_amdhsa_kernel
	.section	.text._ZN7rocprim17ROCPRIM_400000_NS6detail17trampoline_kernelINS0_14default_configENS1_25partition_config_selectorILNS1_17partition_subalgoE5ElNS0_10empty_typeEbEEZZNS1_14partition_implILS5_5ELb0ES3_mN6hipcub16HIPCUB_304000_NS21CountingInputIteratorIllEEPS6_NSA_22TransformInputIteratorIb7NonZeroIfEPflEENS0_5tupleIJPlS6_EEENSJ_IJSD_SD_EEES6_SK_JS6_EEE10hipError_tPvRmT3_T4_T5_T6_T7_T9_mT8_P12ihipStream_tbDpT10_ENKUlT_T0_E_clISt17integral_constantIbLb1EES15_IbLb0EEEEDaS11_S12_EUlS11_E_NS1_11comp_targetILNS1_3genE5ELNS1_11target_archE942ELNS1_3gpuE9ELNS1_3repE0EEENS1_30default_config_static_selectorELNS0_4arch9wavefront6targetE1EEEvT1_,"axG",@progbits,_ZN7rocprim17ROCPRIM_400000_NS6detail17trampoline_kernelINS0_14default_configENS1_25partition_config_selectorILNS1_17partition_subalgoE5ElNS0_10empty_typeEbEEZZNS1_14partition_implILS5_5ELb0ES3_mN6hipcub16HIPCUB_304000_NS21CountingInputIteratorIllEEPS6_NSA_22TransformInputIteratorIb7NonZeroIfEPflEENS0_5tupleIJPlS6_EEENSJ_IJSD_SD_EEES6_SK_JS6_EEE10hipError_tPvRmT3_T4_T5_T6_T7_T9_mT8_P12ihipStream_tbDpT10_ENKUlT_T0_E_clISt17integral_constantIbLb1EES15_IbLb0EEEEDaS11_S12_EUlS11_E_NS1_11comp_targetILNS1_3genE5ELNS1_11target_archE942ELNS1_3gpuE9ELNS1_3repE0EEENS1_30default_config_static_selectorELNS0_4arch9wavefront6targetE1EEEvT1_,comdat
.Lfunc_end270:
	.size	_ZN7rocprim17ROCPRIM_400000_NS6detail17trampoline_kernelINS0_14default_configENS1_25partition_config_selectorILNS1_17partition_subalgoE5ElNS0_10empty_typeEbEEZZNS1_14partition_implILS5_5ELb0ES3_mN6hipcub16HIPCUB_304000_NS21CountingInputIteratorIllEEPS6_NSA_22TransformInputIteratorIb7NonZeroIfEPflEENS0_5tupleIJPlS6_EEENSJ_IJSD_SD_EEES6_SK_JS6_EEE10hipError_tPvRmT3_T4_T5_T6_T7_T9_mT8_P12ihipStream_tbDpT10_ENKUlT_T0_E_clISt17integral_constantIbLb1EES15_IbLb0EEEEDaS11_S12_EUlS11_E_NS1_11comp_targetILNS1_3genE5ELNS1_11target_archE942ELNS1_3gpuE9ELNS1_3repE0EEENS1_30default_config_static_selectorELNS0_4arch9wavefront6targetE1EEEvT1_, .Lfunc_end270-_ZN7rocprim17ROCPRIM_400000_NS6detail17trampoline_kernelINS0_14default_configENS1_25partition_config_selectorILNS1_17partition_subalgoE5ElNS0_10empty_typeEbEEZZNS1_14partition_implILS5_5ELb0ES3_mN6hipcub16HIPCUB_304000_NS21CountingInputIteratorIllEEPS6_NSA_22TransformInputIteratorIb7NonZeroIfEPflEENS0_5tupleIJPlS6_EEENSJ_IJSD_SD_EEES6_SK_JS6_EEE10hipError_tPvRmT3_T4_T5_T6_T7_T9_mT8_P12ihipStream_tbDpT10_ENKUlT_T0_E_clISt17integral_constantIbLb1EES15_IbLb0EEEEDaS11_S12_EUlS11_E_NS1_11comp_targetILNS1_3genE5ELNS1_11target_archE942ELNS1_3gpuE9ELNS1_3repE0EEENS1_30default_config_static_selectorELNS0_4arch9wavefront6targetE1EEEvT1_
                                        ; -- End function
	.set _ZN7rocprim17ROCPRIM_400000_NS6detail17trampoline_kernelINS0_14default_configENS1_25partition_config_selectorILNS1_17partition_subalgoE5ElNS0_10empty_typeEbEEZZNS1_14partition_implILS5_5ELb0ES3_mN6hipcub16HIPCUB_304000_NS21CountingInputIteratorIllEEPS6_NSA_22TransformInputIteratorIb7NonZeroIfEPflEENS0_5tupleIJPlS6_EEENSJ_IJSD_SD_EEES6_SK_JS6_EEE10hipError_tPvRmT3_T4_T5_T6_T7_T9_mT8_P12ihipStream_tbDpT10_ENKUlT_T0_E_clISt17integral_constantIbLb1EES15_IbLb0EEEEDaS11_S12_EUlS11_E_NS1_11comp_targetILNS1_3genE5ELNS1_11target_archE942ELNS1_3gpuE9ELNS1_3repE0EEENS1_30default_config_static_selectorELNS0_4arch9wavefront6targetE1EEEvT1_.num_vgpr, 0
	.set _ZN7rocprim17ROCPRIM_400000_NS6detail17trampoline_kernelINS0_14default_configENS1_25partition_config_selectorILNS1_17partition_subalgoE5ElNS0_10empty_typeEbEEZZNS1_14partition_implILS5_5ELb0ES3_mN6hipcub16HIPCUB_304000_NS21CountingInputIteratorIllEEPS6_NSA_22TransformInputIteratorIb7NonZeroIfEPflEENS0_5tupleIJPlS6_EEENSJ_IJSD_SD_EEES6_SK_JS6_EEE10hipError_tPvRmT3_T4_T5_T6_T7_T9_mT8_P12ihipStream_tbDpT10_ENKUlT_T0_E_clISt17integral_constantIbLb1EES15_IbLb0EEEEDaS11_S12_EUlS11_E_NS1_11comp_targetILNS1_3genE5ELNS1_11target_archE942ELNS1_3gpuE9ELNS1_3repE0EEENS1_30default_config_static_selectorELNS0_4arch9wavefront6targetE1EEEvT1_.num_agpr, 0
	.set _ZN7rocprim17ROCPRIM_400000_NS6detail17trampoline_kernelINS0_14default_configENS1_25partition_config_selectorILNS1_17partition_subalgoE5ElNS0_10empty_typeEbEEZZNS1_14partition_implILS5_5ELb0ES3_mN6hipcub16HIPCUB_304000_NS21CountingInputIteratorIllEEPS6_NSA_22TransformInputIteratorIb7NonZeroIfEPflEENS0_5tupleIJPlS6_EEENSJ_IJSD_SD_EEES6_SK_JS6_EEE10hipError_tPvRmT3_T4_T5_T6_T7_T9_mT8_P12ihipStream_tbDpT10_ENKUlT_T0_E_clISt17integral_constantIbLb1EES15_IbLb0EEEEDaS11_S12_EUlS11_E_NS1_11comp_targetILNS1_3genE5ELNS1_11target_archE942ELNS1_3gpuE9ELNS1_3repE0EEENS1_30default_config_static_selectorELNS0_4arch9wavefront6targetE1EEEvT1_.numbered_sgpr, 0
	.set _ZN7rocprim17ROCPRIM_400000_NS6detail17trampoline_kernelINS0_14default_configENS1_25partition_config_selectorILNS1_17partition_subalgoE5ElNS0_10empty_typeEbEEZZNS1_14partition_implILS5_5ELb0ES3_mN6hipcub16HIPCUB_304000_NS21CountingInputIteratorIllEEPS6_NSA_22TransformInputIteratorIb7NonZeroIfEPflEENS0_5tupleIJPlS6_EEENSJ_IJSD_SD_EEES6_SK_JS6_EEE10hipError_tPvRmT3_T4_T5_T6_T7_T9_mT8_P12ihipStream_tbDpT10_ENKUlT_T0_E_clISt17integral_constantIbLb1EES15_IbLb0EEEEDaS11_S12_EUlS11_E_NS1_11comp_targetILNS1_3genE5ELNS1_11target_archE942ELNS1_3gpuE9ELNS1_3repE0EEENS1_30default_config_static_selectorELNS0_4arch9wavefront6targetE1EEEvT1_.num_named_barrier, 0
	.set _ZN7rocprim17ROCPRIM_400000_NS6detail17trampoline_kernelINS0_14default_configENS1_25partition_config_selectorILNS1_17partition_subalgoE5ElNS0_10empty_typeEbEEZZNS1_14partition_implILS5_5ELb0ES3_mN6hipcub16HIPCUB_304000_NS21CountingInputIteratorIllEEPS6_NSA_22TransformInputIteratorIb7NonZeroIfEPflEENS0_5tupleIJPlS6_EEENSJ_IJSD_SD_EEES6_SK_JS6_EEE10hipError_tPvRmT3_T4_T5_T6_T7_T9_mT8_P12ihipStream_tbDpT10_ENKUlT_T0_E_clISt17integral_constantIbLb1EES15_IbLb0EEEEDaS11_S12_EUlS11_E_NS1_11comp_targetILNS1_3genE5ELNS1_11target_archE942ELNS1_3gpuE9ELNS1_3repE0EEENS1_30default_config_static_selectorELNS0_4arch9wavefront6targetE1EEEvT1_.private_seg_size, 0
	.set _ZN7rocprim17ROCPRIM_400000_NS6detail17trampoline_kernelINS0_14default_configENS1_25partition_config_selectorILNS1_17partition_subalgoE5ElNS0_10empty_typeEbEEZZNS1_14partition_implILS5_5ELb0ES3_mN6hipcub16HIPCUB_304000_NS21CountingInputIteratorIllEEPS6_NSA_22TransformInputIteratorIb7NonZeroIfEPflEENS0_5tupleIJPlS6_EEENSJ_IJSD_SD_EEES6_SK_JS6_EEE10hipError_tPvRmT3_T4_T5_T6_T7_T9_mT8_P12ihipStream_tbDpT10_ENKUlT_T0_E_clISt17integral_constantIbLb1EES15_IbLb0EEEEDaS11_S12_EUlS11_E_NS1_11comp_targetILNS1_3genE5ELNS1_11target_archE942ELNS1_3gpuE9ELNS1_3repE0EEENS1_30default_config_static_selectorELNS0_4arch9wavefront6targetE1EEEvT1_.uses_vcc, 0
	.set _ZN7rocprim17ROCPRIM_400000_NS6detail17trampoline_kernelINS0_14default_configENS1_25partition_config_selectorILNS1_17partition_subalgoE5ElNS0_10empty_typeEbEEZZNS1_14partition_implILS5_5ELb0ES3_mN6hipcub16HIPCUB_304000_NS21CountingInputIteratorIllEEPS6_NSA_22TransformInputIteratorIb7NonZeroIfEPflEENS0_5tupleIJPlS6_EEENSJ_IJSD_SD_EEES6_SK_JS6_EEE10hipError_tPvRmT3_T4_T5_T6_T7_T9_mT8_P12ihipStream_tbDpT10_ENKUlT_T0_E_clISt17integral_constantIbLb1EES15_IbLb0EEEEDaS11_S12_EUlS11_E_NS1_11comp_targetILNS1_3genE5ELNS1_11target_archE942ELNS1_3gpuE9ELNS1_3repE0EEENS1_30default_config_static_selectorELNS0_4arch9wavefront6targetE1EEEvT1_.uses_flat_scratch, 0
	.set _ZN7rocprim17ROCPRIM_400000_NS6detail17trampoline_kernelINS0_14default_configENS1_25partition_config_selectorILNS1_17partition_subalgoE5ElNS0_10empty_typeEbEEZZNS1_14partition_implILS5_5ELb0ES3_mN6hipcub16HIPCUB_304000_NS21CountingInputIteratorIllEEPS6_NSA_22TransformInputIteratorIb7NonZeroIfEPflEENS0_5tupleIJPlS6_EEENSJ_IJSD_SD_EEES6_SK_JS6_EEE10hipError_tPvRmT3_T4_T5_T6_T7_T9_mT8_P12ihipStream_tbDpT10_ENKUlT_T0_E_clISt17integral_constantIbLb1EES15_IbLb0EEEEDaS11_S12_EUlS11_E_NS1_11comp_targetILNS1_3genE5ELNS1_11target_archE942ELNS1_3gpuE9ELNS1_3repE0EEENS1_30default_config_static_selectorELNS0_4arch9wavefront6targetE1EEEvT1_.has_dyn_sized_stack, 0
	.set _ZN7rocprim17ROCPRIM_400000_NS6detail17trampoline_kernelINS0_14default_configENS1_25partition_config_selectorILNS1_17partition_subalgoE5ElNS0_10empty_typeEbEEZZNS1_14partition_implILS5_5ELb0ES3_mN6hipcub16HIPCUB_304000_NS21CountingInputIteratorIllEEPS6_NSA_22TransformInputIteratorIb7NonZeroIfEPflEENS0_5tupleIJPlS6_EEENSJ_IJSD_SD_EEES6_SK_JS6_EEE10hipError_tPvRmT3_T4_T5_T6_T7_T9_mT8_P12ihipStream_tbDpT10_ENKUlT_T0_E_clISt17integral_constantIbLb1EES15_IbLb0EEEEDaS11_S12_EUlS11_E_NS1_11comp_targetILNS1_3genE5ELNS1_11target_archE942ELNS1_3gpuE9ELNS1_3repE0EEENS1_30default_config_static_selectorELNS0_4arch9wavefront6targetE1EEEvT1_.has_recursion, 0
	.set _ZN7rocprim17ROCPRIM_400000_NS6detail17trampoline_kernelINS0_14default_configENS1_25partition_config_selectorILNS1_17partition_subalgoE5ElNS0_10empty_typeEbEEZZNS1_14partition_implILS5_5ELb0ES3_mN6hipcub16HIPCUB_304000_NS21CountingInputIteratorIllEEPS6_NSA_22TransformInputIteratorIb7NonZeroIfEPflEENS0_5tupleIJPlS6_EEENSJ_IJSD_SD_EEES6_SK_JS6_EEE10hipError_tPvRmT3_T4_T5_T6_T7_T9_mT8_P12ihipStream_tbDpT10_ENKUlT_T0_E_clISt17integral_constantIbLb1EES15_IbLb0EEEEDaS11_S12_EUlS11_E_NS1_11comp_targetILNS1_3genE5ELNS1_11target_archE942ELNS1_3gpuE9ELNS1_3repE0EEENS1_30default_config_static_selectorELNS0_4arch9wavefront6targetE1EEEvT1_.has_indirect_call, 0
	.section	.AMDGPU.csdata,"",@progbits
; Kernel info:
; codeLenInByte = 0
; TotalNumSgprs: 6
; NumVgprs: 0
; NumAgprs: 0
; TotalNumVgprs: 0
; ScratchSize: 0
; MemoryBound: 0
; FloatMode: 240
; IeeeMode: 1
; LDSByteSize: 0 bytes/workgroup (compile time only)
; SGPRBlocks: 0
; VGPRBlocks: 0
; NumSGPRsForWavesPerEU: 6
; NumVGPRsForWavesPerEU: 1
; AccumOffset: 4
; Occupancy: 8
; WaveLimiterHint : 0
; COMPUTE_PGM_RSRC2:SCRATCH_EN: 0
; COMPUTE_PGM_RSRC2:USER_SGPR: 2
; COMPUTE_PGM_RSRC2:TRAP_HANDLER: 0
; COMPUTE_PGM_RSRC2:TGID_X_EN: 1
; COMPUTE_PGM_RSRC2:TGID_Y_EN: 0
; COMPUTE_PGM_RSRC2:TGID_Z_EN: 0
; COMPUTE_PGM_RSRC2:TIDIG_COMP_CNT: 0
; COMPUTE_PGM_RSRC3_GFX90A:ACCUM_OFFSET: 0
; COMPUTE_PGM_RSRC3_GFX90A:TG_SPLIT: 0
	.section	.text._ZN7rocprim17ROCPRIM_400000_NS6detail17trampoline_kernelINS0_14default_configENS1_25partition_config_selectorILNS1_17partition_subalgoE5ElNS0_10empty_typeEbEEZZNS1_14partition_implILS5_5ELb0ES3_mN6hipcub16HIPCUB_304000_NS21CountingInputIteratorIllEEPS6_NSA_22TransformInputIteratorIb7NonZeroIfEPflEENS0_5tupleIJPlS6_EEENSJ_IJSD_SD_EEES6_SK_JS6_EEE10hipError_tPvRmT3_T4_T5_T6_T7_T9_mT8_P12ihipStream_tbDpT10_ENKUlT_T0_E_clISt17integral_constantIbLb1EES15_IbLb0EEEEDaS11_S12_EUlS11_E_NS1_11comp_targetILNS1_3genE4ELNS1_11target_archE910ELNS1_3gpuE8ELNS1_3repE0EEENS1_30default_config_static_selectorELNS0_4arch9wavefront6targetE1EEEvT1_,"axG",@progbits,_ZN7rocprim17ROCPRIM_400000_NS6detail17trampoline_kernelINS0_14default_configENS1_25partition_config_selectorILNS1_17partition_subalgoE5ElNS0_10empty_typeEbEEZZNS1_14partition_implILS5_5ELb0ES3_mN6hipcub16HIPCUB_304000_NS21CountingInputIteratorIllEEPS6_NSA_22TransformInputIteratorIb7NonZeroIfEPflEENS0_5tupleIJPlS6_EEENSJ_IJSD_SD_EEES6_SK_JS6_EEE10hipError_tPvRmT3_T4_T5_T6_T7_T9_mT8_P12ihipStream_tbDpT10_ENKUlT_T0_E_clISt17integral_constantIbLb1EES15_IbLb0EEEEDaS11_S12_EUlS11_E_NS1_11comp_targetILNS1_3genE4ELNS1_11target_archE910ELNS1_3gpuE8ELNS1_3repE0EEENS1_30default_config_static_selectorELNS0_4arch9wavefront6targetE1EEEvT1_,comdat
	.protected	_ZN7rocprim17ROCPRIM_400000_NS6detail17trampoline_kernelINS0_14default_configENS1_25partition_config_selectorILNS1_17partition_subalgoE5ElNS0_10empty_typeEbEEZZNS1_14partition_implILS5_5ELb0ES3_mN6hipcub16HIPCUB_304000_NS21CountingInputIteratorIllEEPS6_NSA_22TransformInputIteratorIb7NonZeroIfEPflEENS0_5tupleIJPlS6_EEENSJ_IJSD_SD_EEES6_SK_JS6_EEE10hipError_tPvRmT3_T4_T5_T6_T7_T9_mT8_P12ihipStream_tbDpT10_ENKUlT_T0_E_clISt17integral_constantIbLb1EES15_IbLb0EEEEDaS11_S12_EUlS11_E_NS1_11comp_targetILNS1_3genE4ELNS1_11target_archE910ELNS1_3gpuE8ELNS1_3repE0EEENS1_30default_config_static_selectorELNS0_4arch9wavefront6targetE1EEEvT1_ ; -- Begin function _ZN7rocprim17ROCPRIM_400000_NS6detail17trampoline_kernelINS0_14default_configENS1_25partition_config_selectorILNS1_17partition_subalgoE5ElNS0_10empty_typeEbEEZZNS1_14partition_implILS5_5ELb0ES3_mN6hipcub16HIPCUB_304000_NS21CountingInputIteratorIllEEPS6_NSA_22TransformInputIteratorIb7NonZeroIfEPflEENS0_5tupleIJPlS6_EEENSJ_IJSD_SD_EEES6_SK_JS6_EEE10hipError_tPvRmT3_T4_T5_T6_T7_T9_mT8_P12ihipStream_tbDpT10_ENKUlT_T0_E_clISt17integral_constantIbLb1EES15_IbLb0EEEEDaS11_S12_EUlS11_E_NS1_11comp_targetILNS1_3genE4ELNS1_11target_archE910ELNS1_3gpuE8ELNS1_3repE0EEENS1_30default_config_static_selectorELNS0_4arch9wavefront6targetE1EEEvT1_
	.globl	_ZN7rocprim17ROCPRIM_400000_NS6detail17trampoline_kernelINS0_14default_configENS1_25partition_config_selectorILNS1_17partition_subalgoE5ElNS0_10empty_typeEbEEZZNS1_14partition_implILS5_5ELb0ES3_mN6hipcub16HIPCUB_304000_NS21CountingInputIteratorIllEEPS6_NSA_22TransformInputIteratorIb7NonZeroIfEPflEENS0_5tupleIJPlS6_EEENSJ_IJSD_SD_EEES6_SK_JS6_EEE10hipError_tPvRmT3_T4_T5_T6_T7_T9_mT8_P12ihipStream_tbDpT10_ENKUlT_T0_E_clISt17integral_constantIbLb1EES15_IbLb0EEEEDaS11_S12_EUlS11_E_NS1_11comp_targetILNS1_3genE4ELNS1_11target_archE910ELNS1_3gpuE8ELNS1_3repE0EEENS1_30default_config_static_selectorELNS0_4arch9wavefront6targetE1EEEvT1_
	.p2align	8
	.type	_ZN7rocprim17ROCPRIM_400000_NS6detail17trampoline_kernelINS0_14default_configENS1_25partition_config_selectorILNS1_17partition_subalgoE5ElNS0_10empty_typeEbEEZZNS1_14partition_implILS5_5ELb0ES3_mN6hipcub16HIPCUB_304000_NS21CountingInputIteratorIllEEPS6_NSA_22TransformInputIteratorIb7NonZeroIfEPflEENS0_5tupleIJPlS6_EEENSJ_IJSD_SD_EEES6_SK_JS6_EEE10hipError_tPvRmT3_T4_T5_T6_T7_T9_mT8_P12ihipStream_tbDpT10_ENKUlT_T0_E_clISt17integral_constantIbLb1EES15_IbLb0EEEEDaS11_S12_EUlS11_E_NS1_11comp_targetILNS1_3genE4ELNS1_11target_archE910ELNS1_3gpuE8ELNS1_3repE0EEENS1_30default_config_static_selectorELNS0_4arch9wavefront6targetE1EEEvT1_,@function
_ZN7rocprim17ROCPRIM_400000_NS6detail17trampoline_kernelINS0_14default_configENS1_25partition_config_selectorILNS1_17partition_subalgoE5ElNS0_10empty_typeEbEEZZNS1_14partition_implILS5_5ELb0ES3_mN6hipcub16HIPCUB_304000_NS21CountingInputIteratorIllEEPS6_NSA_22TransformInputIteratorIb7NonZeroIfEPflEENS0_5tupleIJPlS6_EEENSJ_IJSD_SD_EEES6_SK_JS6_EEE10hipError_tPvRmT3_T4_T5_T6_T7_T9_mT8_P12ihipStream_tbDpT10_ENKUlT_T0_E_clISt17integral_constantIbLb1EES15_IbLb0EEEEDaS11_S12_EUlS11_E_NS1_11comp_targetILNS1_3genE4ELNS1_11target_archE910ELNS1_3gpuE8ELNS1_3repE0EEENS1_30default_config_static_selectorELNS0_4arch9wavefront6targetE1EEEvT1_: ; @_ZN7rocprim17ROCPRIM_400000_NS6detail17trampoline_kernelINS0_14default_configENS1_25partition_config_selectorILNS1_17partition_subalgoE5ElNS0_10empty_typeEbEEZZNS1_14partition_implILS5_5ELb0ES3_mN6hipcub16HIPCUB_304000_NS21CountingInputIteratorIllEEPS6_NSA_22TransformInputIteratorIb7NonZeroIfEPflEENS0_5tupleIJPlS6_EEENSJ_IJSD_SD_EEES6_SK_JS6_EEE10hipError_tPvRmT3_T4_T5_T6_T7_T9_mT8_P12ihipStream_tbDpT10_ENKUlT_T0_E_clISt17integral_constantIbLb1EES15_IbLb0EEEEDaS11_S12_EUlS11_E_NS1_11comp_targetILNS1_3genE4ELNS1_11target_archE910ELNS1_3gpuE8ELNS1_3repE0EEENS1_30default_config_static_selectorELNS0_4arch9wavefront6targetE1EEEvT1_
; %bb.0:
	.section	.rodata,"a",@progbits
	.p2align	6, 0x0
	.amdhsa_kernel _ZN7rocprim17ROCPRIM_400000_NS6detail17trampoline_kernelINS0_14default_configENS1_25partition_config_selectorILNS1_17partition_subalgoE5ElNS0_10empty_typeEbEEZZNS1_14partition_implILS5_5ELb0ES3_mN6hipcub16HIPCUB_304000_NS21CountingInputIteratorIllEEPS6_NSA_22TransformInputIteratorIb7NonZeroIfEPflEENS0_5tupleIJPlS6_EEENSJ_IJSD_SD_EEES6_SK_JS6_EEE10hipError_tPvRmT3_T4_T5_T6_T7_T9_mT8_P12ihipStream_tbDpT10_ENKUlT_T0_E_clISt17integral_constantIbLb1EES15_IbLb0EEEEDaS11_S12_EUlS11_E_NS1_11comp_targetILNS1_3genE4ELNS1_11target_archE910ELNS1_3gpuE8ELNS1_3repE0EEENS1_30default_config_static_selectorELNS0_4arch9wavefront6targetE1EEEvT1_
		.amdhsa_group_segment_fixed_size 0
		.amdhsa_private_segment_fixed_size 0
		.amdhsa_kernarg_size 120
		.amdhsa_user_sgpr_count 2
		.amdhsa_user_sgpr_dispatch_ptr 0
		.amdhsa_user_sgpr_queue_ptr 0
		.amdhsa_user_sgpr_kernarg_segment_ptr 1
		.amdhsa_user_sgpr_dispatch_id 0
		.amdhsa_user_sgpr_kernarg_preload_length 0
		.amdhsa_user_sgpr_kernarg_preload_offset 0
		.amdhsa_user_sgpr_private_segment_size 0
		.amdhsa_uses_dynamic_stack 0
		.amdhsa_enable_private_segment 0
		.amdhsa_system_sgpr_workgroup_id_x 1
		.amdhsa_system_sgpr_workgroup_id_y 0
		.amdhsa_system_sgpr_workgroup_id_z 0
		.amdhsa_system_sgpr_workgroup_info 0
		.amdhsa_system_vgpr_workitem_id 0
		.amdhsa_next_free_vgpr 1
		.amdhsa_next_free_sgpr 0
		.amdhsa_accum_offset 4
		.amdhsa_reserve_vcc 0
		.amdhsa_float_round_mode_32 0
		.amdhsa_float_round_mode_16_64 0
		.amdhsa_float_denorm_mode_32 3
		.amdhsa_float_denorm_mode_16_64 3
		.amdhsa_dx10_clamp 1
		.amdhsa_ieee_mode 1
		.amdhsa_fp16_overflow 0
		.amdhsa_tg_split 0
		.amdhsa_exception_fp_ieee_invalid_op 0
		.amdhsa_exception_fp_denorm_src 0
		.amdhsa_exception_fp_ieee_div_zero 0
		.amdhsa_exception_fp_ieee_overflow 0
		.amdhsa_exception_fp_ieee_underflow 0
		.amdhsa_exception_fp_ieee_inexact 0
		.amdhsa_exception_int_div_zero 0
	.end_amdhsa_kernel
	.section	.text._ZN7rocprim17ROCPRIM_400000_NS6detail17trampoline_kernelINS0_14default_configENS1_25partition_config_selectorILNS1_17partition_subalgoE5ElNS0_10empty_typeEbEEZZNS1_14partition_implILS5_5ELb0ES3_mN6hipcub16HIPCUB_304000_NS21CountingInputIteratorIllEEPS6_NSA_22TransformInputIteratorIb7NonZeroIfEPflEENS0_5tupleIJPlS6_EEENSJ_IJSD_SD_EEES6_SK_JS6_EEE10hipError_tPvRmT3_T4_T5_T6_T7_T9_mT8_P12ihipStream_tbDpT10_ENKUlT_T0_E_clISt17integral_constantIbLb1EES15_IbLb0EEEEDaS11_S12_EUlS11_E_NS1_11comp_targetILNS1_3genE4ELNS1_11target_archE910ELNS1_3gpuE8ELNS1_3repE0EEENS1_30default_config_static_selectorELNS0_4arch9wavefront6targetE1EEEvT1_,"axG",@progbits,_ZN7rocprim17ROCPRIM_400000_NS6detail17trampoline_kernelINS0_14default_configENS1_25partition_config_selectorILNS1_17partition_subalgoE5ElNS0_10empty_typeEbEEZZNS1_14partition_implILS5_5ELb0ES3_mN6hipcub16HIPCUB_304000_NS21CountingInputIteratorIllEEPS6_NSA_22TransformInputIteratorIb7NonZeroIfEPflEENS0_5tupleIJPlS6_EEENSJ_IJSD_SD_EEES6_SK_JS6_EEE10hipError_tPvRmT3_T4_T5_T6_T7_T9_mT8_P12ihipStream_tbDpT10_ENKUlT_T0_E_clISt17integral_constantIbLb1EES15_IbLb0EEEEDaS11_S12_EUlS11_E_NS1_11comp_targetILNS1_3genE4ELNS1_11target_archE910ELNS1_3gpuE8ELNS1_3repE0EEENS1_30default_config_static_selectorELNS0_4arch9wavefront6targetE1EEEvT1_,comdat
.Lfunc_end271:
	.size	_ZN7rocprim17ROCPRIM_400000_NS6detail17trampoline_kernelINS0_14default_configENS1_25partition_config_selectorILNS1_17partition_subalgoE5ElNS0_10empty_typeEbEEZZNS1_14partition_implILS5_5ELb0ES3_mN6hipcub16HIPCUB_304000_NS21CountingInputIteratorIllEEPS6_NSA_22TransformInputIteratorIb7NonZeroIfEPflEENS0_5tupleIJPlS6_EEENSJ_IJSD_SD_EEES6_SK_JS6_EEE10hipError_tPvRmT3_T4_T5_T6_T7_T9_mT8_P12ihipStream_tbDpT10_ENKUlT_T0_E_clISt17integral_constantIbLb1EES15_IbLb0EEEEDaS11_S12_EUlS11_E_NS1_11comp_targetILNS1_3genE4ELNS1_11target_archE910ELNS1_3gpuE8ELNS1_3repE0EEENS1_30default_config_static_selectorELNS0_4arch9wavefront6targetE1EEEvT1_, .Lfunc_end271-_ZN7rocprim17ROCPRIM_400000_NS6detail17trampoline_kernelINS0_14default_configENS1_25partition_config_selectorILNS1_17partition_subalgoE5ElNS0_10empty_typeEbEEZZNS1_14partition_implILS5_5ELb0ES3_mN6hipcub16HIPCUB_304000_NS21CountingInputIteratorIllEEPS6_NSA_22TransformInputIteratorIb7NonZeroIfEPflEENS0_5tupleIJPlS6_EEENSJ_IJSD_SD_EEES6_SK_JS6_EEE10hipError_tPvRmT3_T4_T5_T6_T7_T9_mT8_P12ihipStream_tbDpT10_ENKUlT_T0_E_clISt17integral_constantIbLb1EES15_IbLb0EEEEDaS11_S12_EUlS11_E_NS1_11comp_targetILNS1_3genE4ELNS1_11target_archE910ELNS1_3gpuE8ELNS1_3repE0EEENS1_30default_config_static_selectorELNS0_4arch9wavefront6targetE1EEEvT1_
                                        ; -- End function
	.set _ZN7rocprim17ROCPRIM_400000_NS6detail17trampoline_kernelINS0_14default_configENS1_25partition_config_selectorILNS1_17partition_subalgoE5ElNS0_10empty_typeEbEEZZNS1_14partition_implILS5_5ELb0ES3_mN6hipcub16HIPCUB_304000_NS21CountingInputIteratorIllEEPS6_NSA_22TransformInputIteratorIb7NonZeroIfEPflEENS0_5tupleIJPlS6_EEENSJ_IJSD_SD_EEES6_SK_JS6_EEE10hipError_tPvRmT3_T4_T5_T6_T7_T9_mT8_P12ihipStream_tbDpT10_ENKUlT_T0_E_clISt17integral_constantIbLb1EES15_IbLb0EEEEDaS11_S12_EUlS11_E_NS1_11comp_targetILNS1_3genE4ELNS1_11target_archE910ELNS1_3gpuE8ELNS1_3repE0EEENS1_30default_config_static_selectorELNS0_4arch9wavefront6targetE1EEEvT1_.num_vgpr, 0
	.set _ZN7rocprim17ROCPRIM_400000_NS6detail17trampoline_kernelINS0_14default_configENS1_25partition_config_selectorILNS1_17partition_subalgoE5ElNS0_10empty_typeEbEEZZNS1_14partition_implILS5_5ELb0ES3_mN6hipcub16HIPCUB_304000_NS21CountingInputIteratorIllEEPS6_NSA_22TransformInputIteratorIb7NonZeroIfEPflEENS0_5tupleIJPlS6_EEENSJ_IJSD_SD_EEES6_SK_JS6_EEE10hipError_tPvRmT3_T4_T5_T6_T7_T9_mT8_P12ihipStream_tbDpT10_ENKUlT_T0_E_clISt17integral_constantIbLb1EES15_IbLb0EEEEDaS11_S12_EUlS11_E_NS1_11comp_targetILNS1_3genE4ELNS1_11target_archE910ELNS1_3gpuE8ELNS1_3repE0EEENS1_30default_config_static_selectorELNS0_4arch9wavefront6targetE1EEEvT1_.num_agpr, 0
	.set _ZN7rocprim17ROCPRIM_400000_NS6detail17trampoline_kernelINS0_14default_configENS1_25partition_config_selectorILNS1_17partition_subalgoE5ElNS0_10empty_typeEbEEZZNS1_14partition_implILS5_5ELb0ES3_mN6hipcub16HIPCUB_304000_NS21CountingInputIteratorIllEEPS6_NSA_22TransformInputIteratorIb7NonZeroIfEPflEENS0_5tupleIJPlS6_EEENSJ_IJSD_SD_EEES6_SK_JS6_EEE10hipError_tPvRmT3_T4_T5_T6_T7_T9_mT8_P12ihipStream_tbDpT10_ENKUlT_T0_E_clISt17integral_constantIbLb1EES15_IbLb0EEEEDaS11_S12_EUlS11_E_NS1_11comp_targetILNS1_3genE4ELNS1_11target_archE910ELNS1_3gpuE8ELNS1_3repE0EEENS1_30default_config_static_selectorELNS0_4arch9wavefront6targetE1EEEvT1_.numbered_sgpr, 0
	.set _ZN7rocprim17ROCPRIM_400000_NS6detail17trampoline_kernelINS0_14default_configENS1_25partition_config_selectorILNS1_17partition_subalgoE5ElNS0_10empty_typeEbEEZZNS1_14partition_implILS5_5ELb0ES3_mN6hipcub16HIPCUB_304000_NS21CountingInputIteratorIllEEPS6_NSA_22TransformInputIteratorIb7NonZeroIfEPflEENS0_5tupleIJPlS6_EEENSJ_IJSD_SD_EEES6_SK_JS6_EEE10hipError_tPvRmT3_T4_T5_T6_T7_T9_mT8_P12ihipStream_tbDpT10_ENKUlT_T0_E_clISt17integral_constantIbLb1EES15_IbLb0EEEEDaS11_S12_EUlS11_E_NS1_11comp_targetILNS1_3genE4ELNS1_11target_archE910ELNS1_3gpuE8ELNS1_3repE0EEENS1_30default_config_static_selectorELNS0_4arch9wavefront6targetE1EEEvT1_.num_named_barrier, 0
	.set _ZN7rocprim17ROCPRIM_400000_NS6detail17trampoline_kernelINS0_14default_configENS1_25partition_config_selectorILNS1_17partition_subalgoE5ElNS0_10empty_typeEbEEZZNS1_14partition_implILS5_5ELb0ES3_mN6hipcub16HIPCUB_304000_NS21CountingInputIteratorIllEEPS6_NSA_22TransformInputIteratorIb7NonZeroIfEPflEENS0_5tupleIJPlS6_EEENSJ_IJSD_SD_EEES6_SK_JS6_EEE10hipError_tPvRmT3_T4_T5_T6_T7_T9_mT8_P12ihipStream_tbDpT10_ENKUlT_T0_E_clISt17integral_constantIbLb1EES15_IbLb0EEEEDaS11_S12_EUlS11_E_NS1_11comp_targetILNS1_3genE4ELNS1_11target_archE910ELNS1_3gpuE8ELNS1_3repE0EEENS1_30default_config_static_selectorELNS0_4arch9wavefront6targetE1EEEvT1_.private_seg_size, 0
	.set _ZN7rocprim17ROCPRIM_400000_NS6detail17trampoline_kernelINS0_14default_configENS1_25partition_config_selectorILNS1_17partition_subalgoE5ElNS0_10empty_typeEbEEZZNS1_14partition_implILS5_5ELb0ES3_mN6hipcub16HIPCUB_304000_NS21CountingInputIteratorIllEEPS6_NSA_22TransformInputIteratorIb7NonZeroIfEPflEENS0_5tupleIJPlS6_EEENSJ_IJSD_SD_EEES6_SK_JS6_EEE10hipError_tPvRmT3_T4_T5_T6_T7_T9_mT8_P12ihipStream_tbDpT10_ENKUlT_T0_E_clISt17integral_constantIbLb1EES15_IbLb0EEEEDaS11_S12_EUlS11_E_NS1_11comp_targetILNS1_3genE4ELNS1_11target_archE910ELNS1_3gpuE8ELNS1_3repE0EEENS1_30default_config_static_selectorELNS0_4arch9wavefront6targetE1EEEvT1_.uses_vcc, 0
	.set _ZN7rocprim17ROCPRIM_400000_NS6detail17trampoline_kernelINS0_14default_configENS1_25partition_config_selectorILNS1_17partition_subalgoE5ElNS0_10empty_typeEbEEZZNS1_14partition_implILS5_5ELb0ES3_mN6hipcub16HIPCUB_304000_NS21CountingInputIteratorIllEEPS6_NSA_22TransformInputIteratorIb7NonZeroIfEPflEENS0_5tupleIJPlS6_EEENSJ_IJSD_SD_EEES6_SK_JS6_EEE10hipError_tPvRmT3_T4_T5_T6_T7_T9_mT8_P12ihipStream_tbDpT10_ENKUlT_T0_E_clISt17integral_constantIbLb1EES15_IbLb0EEEEDaS11_S12_EUlS11_E_NS1_11comp_targetILNS1_3genE4ELNS1_11target_archE910ELNS1_3gpuE8ELNS1_3repE0EEENS1_30default_config_static_selectorELNS0_4arch9wavefront6targetE1EEEvT1_.uses_flat_scratch, 0
	.set _ZN7rocprim17ROCPRIM_400000_NS6detail17trampoline_kernelINS0_14default_configENS1_25partition_config_selectorILNS1_17partition_subalgoE5ElNS0_10empty_typeEbEEZZNS1_14partition_implILS5_5ELb0ES3_mN6hipcub16HIPCUB_304000_NS21CountingInputIteratorIllEEPS6_NSA_22TransformInputIteratorIb7NonZeroIfEPflEENS0_5tupleIJPlS6_EEENSJ_IJSD_SD_EEES6_SK_JS6_EEE10hipError_tPvRmT3_T4_T5_T6_T7_T9_mT8_P12ihipStream_tbDpT10_ENKUlT_T0_E_clISt17integral_constantIbLb1EES15_IbLb0EEEEDaS11_S12_EUlS11_E_NS1_11comp_targetILNS1_3genE4ELNS1_11target_archE910ELNS1_3gpuE8ELNS1_3repE0EEENS1_30default_config_static_selectorELNS0_4arch9wavefront6targetE1EEEvT1_.has_dyn_sized_stack, 0
	.set _ZN7rocprim17ROCPRIM_400000_NS6detail17trampoline_kernelINS0_14default_configENS1_25partition_config_selectorILNS1_17partition_subalgoE5ElNS0_10empty_typeEbEEZZNS1_14partition_implILS5_5ELb0ES3_mN6hipcub16HIPCUB_304000_NS21CountingInputIteratorIllEEPS6_NSA_22TransformInputIteratorIb7NonZeroIfEPflEENS0_5tupleIJPlS6_EEENSJ_IJSD_SD_EEES6_SK_JS6_EEE10hipError_tPvRmT3_T4_T5_T6_T7_T9_mT8_P12ihipStream_tbDpT10_ENKUlT_T0_E_clISt17integral_constantIbLb1EES15_IbLb0EEEEDaS11_S12_EUlS11_E_NS1_11comp_targetILNS1_3genE4ELNS1_11target_archE910ELNS1_3gpuE8ELNS1_3repE0EEENS1_30default_config_static_selectorELNS0_4arch9wavefront6targetE1EEEvT1_.has_recursion, 0
	.set _ZN7rocprim17ROCPRIM_400000_NS6detail17trampoline_kernelINS0_14default_configENS1_25partition_config_selectorILNS1_17partition_subalgoE5ElNS0_10empty_typeEbEEZZNS1_14partition_implILS5_5ELb0ES3_mN6hipcub16HIPCUB_304000_NS21CountingInputIteratorIllEEPS6_NSA_22TransformInputIteratorIb7NonZeroIfEPflEENS0_5tupleIJPlS6_EEENSJ_IJSD_SD_EEES6_SK_JS6_EEE10hipError_tPvRmT3_T4_T5_T6_T7_T9_mT8_P12ihipStream_tbDpT10_ENKUlT_T0_E_clISt17integral_constantIbLb1EES15_IbLb0EEEEDaS11_S12_EUlS11_E_NS1_11comp_targetILNS1_3genE4ELNS1_11target_archE910ELNS1_3gpuE8ELNS1_3repE0EEENS1_30default_config_static_selectorELNS0_4arch9wavefront6targetE1EEEvT1_.has_indirect_call, 0
	.section	.AMDGPU.csdata,"",@progbits
; Kernel info:
; codeLenInByte = 0
; TotalNumSgprs: 6
; NumVgprs: 0
; NumAgprs: 0
; TotalNumVgprs: 0
; ScratchSize: 0
; MemoryBound: 0
; FloatMode: 240
; IeeeMode: 1
; LDSByteSize: 0 bytes/workgroup (compile time only)
; SGPRBlocks: 0
; VGPRBlocks: 0
; NumSGPRsForWavesPerEU: 6
; NumVGPRsForWavesPerEU: 1
; AccumOffset: 4
; Occupancy: 8
; WaveLimiterHint : 0
; COMPUTE_PGM_RSRC2:SCRATCH_EN: 0
; COMPUTE_PGM_RSRC2:USER_SGPR: 2
; COMPUTE_PGM_RSRC2:TRAP_HANDLER: 0
; COMPUTE_PGM_RSRC2:TGID_X_EN: 1
; COMPUTE_PGM_RSRC2:TGID_Y_EN: 0
; COMPUTE_PGM_RSRC2:TGID_Z_EN: 0
; COMPUTE_PGM_RSRC2:TIDIG_COMP_CNT: 0
; COMPUTE_PGM_RSRC3_GFX90A:ACCUM_OFFSET: 0
; COMPUTE_PGM_RSRC3_GFX90A:TG_SPLIT: 0
	.section	.text._ZN7rocprim17ROCPRIM_400000_NS6detail17trampoline_kernelINS0_14default_configENS1_25partition_config_selectorILNS1_17partition_subalgoE5ElNS0_10empty_typeEbEEZZNS1_14partition_implILS5_5ELb0ES3_mN6hipcub16HIPCUB_304000_NS21CountingInputIteratorIllEEPS6_NSA_22TransformInputIteratorIb7NonZeroIfEPflEENS0_5tupleIJPlS6_EEENSJ_IJSD_SD_EEES6_SK_JS6_EEE10hipError_tPvRmT3_T4_T5_T6_T7_T9_mT8_P12ihipStream_tbDpT10_ENKUlT_T0_E_clISt17integral_constantIbLb1EES15_IbLb0EEEEDaS11_S12_EUlS11_E_NS1_11comp_targetILNS1_3genE3ELNS1_11target_archE908ELNS1_3gpuE7ELNS1_3repE0EEENS1_30default_config_static_selectorELNS0_4arch9wavefront6targetE1EEEvT1_,"axG",@progbits,_ZN7rocprim17ROCPRIM_400000_NS6detail17trampoline_kernelINS0_14default_configENS1_25partition_config_selectorILNS1_17partition_subalgoE5ElNS0_10empty_typeEbEEZZNS1_14partition_implILS5_5ELb0ES3_mN6hipcub16HIPCUB_304000_NS21CountingInputIteratorIllEEPS6_NSA_22TransformInputIteratorIb7NonZeroIfEPflEENS0_5tupleIJPlS6_EEENSJ_IJSD_SD_EEES6_SK_JS6_EEE10hipError_tPvRmT3_T4_T5_T6_T7_T9_mT8_P12ihipStream_tbDpT10_ENKUlT_T0_E_clISt17integral_constantIbLb1EES15_IbLb0EEEEDaS11_S12_EUlS11_E_NS1_11comp_targetILNS1_3genE3ELNS1_11target_archE908ELNS1_3gpuE7ELNS1_3repE0EEENS1_30default_config_static_selectorELNS0_4arch9wavefront6targetE1EEEvT1_,comdat
	.protected	_ZN7rocprim17ROCPRIM_400000_NS6detail17trampoline_kernelINS0_14default_configENS1_25partition_config_selectorILNS1_17partition_subalgoE5ElNS0_10empty_typeEbEEZZNS1_14partition_implILS5_5ELb0ES3_mN6hipcub16HIPCUB_304000_NS21CountingInputIteratorIllEEPS6_NSA_22TransformInputIteratorIb7NonZeroIfEPflEENS0_5tupleIJPlS6_EEENSJ_IJSD_SD_EEES6_SK_JS6_EEE10hipError_tPvRmT3_T4_T5_T6_T7_T9_mT8_P12ihipStream_tbDpT10_ENKUlT_T0_E_clISt17integral_constantIbLb1EES15_IbLb0EEEEDaS11_S12_EUlS11_E_NS1_11comp_targetILNS1_3genE3ELNS1_11target_archE908ELNS1_3gpuE7ELNS1_3repE0EEENS1_30default_config_static_selectorELNS0_4arch9wavefront6targetE1EEEvT1_ ; -- Begin function _ZN7rocprim17ROCPRIM_400000_NS6detail17trampoline_kernelINS0_14default_configENS1_25partition_config_selectorILNS1_17partition_subalgoE5ElNS0_10empty_typeEbEEZZNS1_14partition_implILS5_5ELb0ES3_mN6hipcub16HIPCUB_304000_NS21CountingInputIteratorIllEEPS6_NSA_22TransformInputIteratorIb7NonZeroIfEPflEENS0_5tupleIJPlS6_EEENSJ_IJSD_SD_EEES6_SK_JS6_EEE10hipError_tPvRmT3_T4_T5_T6_T7_T9_mT8_P12ihipStream_tbDpT10_ENKUlT_T0_E_clISt17integral_constantIbLb1EES15_IbLb0EEEEDaS11_S12_EUlS11_E_NS1_11comp_targetILNS1_3genE3ELNS1_11target_archE908ELNS1_3gpuE7ELNS1_3repE0EEENS1_30default_config_static_selectorELNS0_4arch9wavefront6targetE1EEEvT1_
	.globl	_ZN7rocprim17ROCPRIM_400000_NS6detail17trampoline_kernelINS0_14default_configENS1_25partition_config_selectorILNS1_17partition_subalgoE5ElNS0_10empty_typeEbEEZZNS1_14partition_implILS5_5ELb0ES3_mN6hipcub16HIPCUB_304000_NS21CountingInputIteratorIllEEPS6_NSA_22TransformInputIteratorIb7NonZeroIfEPflEENS0_5tupleIJPlS6_EEENSJ_IJSD_SD_EEES6_SK_JS6_EEE10hipError_tPvRmT3_T4_T5_T6_T7_T9_mT8_P12ihipStream_tbDpT10_ENKUlT_T0_E_clISt17integral_constantIbLb1EES15_IbLb0EEEEDaS11_S12_EUlS11_E_NS1_11comp_targetILNS1_3genE3ELNS1_11target_archE908ELNS1_3gpuE7ELNS1_3repE0EEENS1_30default_config_static_selectorELNS0_4arch9wavefront6targetE1EEEvT1_
	.p2align	8
	.type	_ZN7rocprim17ROCPRIM_400000_NS6detail17trampoline_kernelINS0_14default_configENS1_25partition_config_selectorILNS1_17partition_subalgoE5ElNS0_10empty_typeEbEEZZNS1_14partition_implILS5_5ELb0ES3_mN6hipcub16HIPCUB_304000_NS21CountingInputIteratorIllEEPS6_NSA_22TransformInputIteratorIb7NonZeroIfEPflEENS0_5tupleIJPlS6_EEENSJ_IJSD_SD_EEES6_SK_JS6_EEE10hipError_tPvRmT3_T4_T5_T6_T7_T9_mT8_P12ihipStream_tbDpT10_ENKUlT_T0_E_clISt17integral_constantIbLb1EES15_IbLb0EEEEDaS11_S12_EUlS11_E_NS1_11comp_targetILNS1_3genE3ELNS1_11target_archE908ELNS1_3gpuE7ELNS1_3repE0EEENS1_30default_config_static_selectorELNS0_4arch9wavefront6targetE1EEEvT1_,@function
_ZN7rocprim17ROCPRIM_400000_NS6detail17trampoline_kernelINS0_14default_configENS1_25partition_config_selectorILNS1_17partition_subalgoE5ElNS0_10empty_typeEbEEZZNS1_14partition_implILS5_5ELb0ES3_mN6hipcub16HIPCUB_304000_NS21CountingInputIteratorIllEEPS6_NSA_22TransformInputIteratorIb7NonZeroIfEPflEENS0_5tupleIJPlS6_EEENSJ_IJSD_SD_EEES6_SK_JS6_EEE10hipError_tPvRmT3_T4_T5_T6_T7_T9_mT8_P12ihipStream_tbDpT10_ENKUlT_T0_E_clISt17integral_constantIbLb1EES15_IbLb0EEEEDaS11_S12_EUlS11_E_NS1_11comp_targetILNS1_3genE3ELNS1_11target_archE908ELNS1_3gpuE7ELNS1_3repE0EEENS1_30default_config_static_selectorELNS0_4arch9wavefront6targetE1EEEvT1_: ; @_ZN7rocprim17ROCPRIM_400000_NS6detail17trampoline_kernelINS0_14default_configENS1_25partition_config_selectorILNS1_17partition_subalgoE5ElNS0_10empty_typeEbEEZZNS1_14partition_implILS5_5ELb0ES3_mN6hipcub16HIPCUB_304000_NS21CountingInputIteratorIllEEPS6_NSA_22TransformInputIteratorIb7NonZeroIfEPflEENS0_5tupleIJPlS6_EEENSJ_IJSD_SD_EEES6_SK_JS6_EEE10hipError_tPvRmT3_T4_T5_T6_T7_T9_mT8_P12ihipStream_tbDpT10_ENKUlT_T0_E_clISt17integral_constantIbLb1EES15_IbLb0EEEEDaS11_S12_EUlS11_E_NS1_11comp_targetILNS1_3genE3ELNS1_11target_archE908ELNS1_3gpuE7ELNS1_3repE0EEENS1_30default_config_static_selectorELNS0_4arch9wavefront6targetE1EEEvT1_
; %bb.0:
	.section	.rodata,"a",@progbits
	.p2align	6, 0x0
	.amdhsa_kernel _ZN7rocprim17ROCPRIM_400000_NS6detail17trampoline_kernelINS0_14default_configENS1_25partition_config_selectorILNS1_17partition_subalgoE5ElNS0_10empty_typeEbEEZZNS1_14partition_implILS5_5ELb0ES3_mN6hipcub16HIPCUB_304000_NS21CountingInputIteratorIllEEPS6_NSA_22TransformInputIteratorIb7NonZeroIfEPflEENS0_5tupleIJPlS6_EEENSJ_IJSD_SD_EEES6_SK_JS6_EEE10hipError_tPvRmT3_T4_T5_T6_T7_T9_mT8_P12ihipStream_tbDpT10_ENKUlT_T0_E_clISt17integral_constantIbLb1EES15_IbLb0EEEEDaS11_S12_EUlS11_E_NS1_11comp_targetILNS1_3genE3ELNS1_11target_archE908ELNS1_3gpuE7ELNS1_3repE0EEENS1_30default_config_static_selectorELNS0_4arch9wavefront6targetE1EEEvT1_
		.amdhsa_group_segment_fixed_size 0
		.amdhsa_private_segment_fixed_size 0
		.amdhsa_kernarg_size 120
		.amdhsa_user_sgpr_count 2
		.amdhsa_user_sgpr_dispatch_ptr 0
		.amdhsa_user_sgpr_queue_ptr 0
		.amdhsa_user_sgpr_kernarg_segment_ptr 1
		.amdhsa_user_sgpr_dispatch_id 0
		.amdhsa_user_sgpr_kernarg_preload_length 0
		.amdhsa_user_sgpr_kernarg_preload_offset 0
		.amdhsa_user_sgpr_private_segment_size 0
		.amdhsa_uses_dynamic_stack 0
		.amdhsa_enable_private_segment 0
		.amdhsa_system_sgpr_workgroup_id_x 1
		.amdhsa_system_sgpr_workgroup_id_y 0
		.amdhsa_system_sgpr_workgroup_id_z 0
		.amdhsa_system_sgpr_workgroup_info 0
		.amdhsa_system_vgpr_workitem_id 0
		.amdhsa_next_free_vgpr 1
		.amdhsa_next_free_sgpr 0
		.amdhsa_accum_offset 4
		.amdhsa_reserve_vcc 0
		.amdhsa_float_round_mode_32 0
		.amdhsa_float_round_mode_16_64 0
		.amdhsa_float_denorm_mode_32 3
		.amdhsa_float_denorm_mode_16_64 3
		.amdhsa_dx10_clamp 1
		.amdhsa_ieee_mode 1
		.amdhsa_fp16_overflow 0
		.amdhsa_tg_split 0
		.amdhsa_exception_fp_ieee_invalid_op 0
		.amdhsa_exception_fp_denorm_src 0
		.amdhsa_exception_fp_ieee_div_zero 0
		.amdhsa_exception_fp_ieee_overflow 0
		.amdhsa_exception_fp_ieee_underflow 0
		.amdhsa_exception_fp_ieee_inexact 0
		.amdhsa_exception_int_div_zero 0
	.end_amdhsa_kernel
	.section	.text._ZN7rocprim17ROCPRIM_400000_NS6detail17trampoline_kernelINS0_14default_configENS1_25partition_config_selectorILNS1_17partition_subalgoE5ElNS0_10empty_typeEbEEZZNS1_14partition_implILS5_5ELb0ES3_mN6hipcub16HIPCUB_304000_NS21CountingInputIteratorIllEEPS6_NSA_22TransformInputIteratorIb7NonZeroIfEPflEENS0_5tupleIJPlS6_EEENSJ_IJSD_SD_EEES6_SK_JS6_EEE10hipError_tPvRmT3_T4_T5_T6_T7_T9_mT8_P12ihipStream_tbDpT10_ENKUlT_T0_E_clISt17integral_constantIbLb1EES15_IbLb0EEEEDaS11_S12_EUlS11_E_NS1_11comp_targetILNS1_3genE3ELNS1_11target_archE908ELNS1_3gpuE7ELNS1_3repE0EEENS1_30default_config_static_selectorELNS0_4arch9wavefront6targetE1EEEvT1_,"axG",@progbits,_ZN7rocprim17ROCPRIM_400000_NS6detail17trampoline_kernelINS0_14default_configENS1_25partition_config_selectorILNS1_17partition_subalgoE5ElNS0_10empty_typeEbEEZZNS1_14partition_implILS5_5ELb0ES3_mN6hipcub16HIPCUB_304000_NS21CountingInputIteratorIllEEPS6_NSA_22TransformInputIteratorIb7NonZeroIfEPflEENS0_5tupleIJPlS6_EEENSJ_IJSD_SD_EEES6_SK_JS6_EEE10hipError_tPvRmT3_T4_T5_T6_T7_T9_mT8_P12ihipStream_tbDpT10_ENKUlT_T0_E_clISt17integral_constantIbLb1EES15_IbLb0EEEEDaS11_S12_EUlS11_E_NS1_11comp_targetILNS1_3genE3ELNS1_11target_archE908ELNS1_3gpuE7ELNS1_3repE0EEENS1_30default_config_static_selectorELNS0_4arch9wavefront6targetE1EEEvT1_,comdat
.Lfunc_end272:
	.size	_ZN7rocprim17ROCPRIM_400000_NS6detail17trampoline_kernelINS0_14default_configENS1_25partition_config_selectorILNS1_17partition_subalgoE5ElNS0_10empty_typeEbEEZZNS1_14partition_implILS5_5ELb0ES3_mN6hipcub16HIPCUB_304000_NS21CountingInputIteratorIllEEPS6_NSA_22TransformInputIteratorIb7NonZeroIfEPflEENS0_5tupleIJPlS6_EEENSJ_IJSD_SD_EEES6_SK_JS6_EEE10hipError_tPvRmT3_T4_T5_T6_T7_T9_mT8_P12ihipStream_tbDpT10_ENKUlT_T0_E_clISt17integral_constantIbLb1EES15_IbLb0EEEEDaS11_S12_EUlS11_E_NS1_11comp_targetILNS1_3genE3ELNS1_11target_archE908ELNS1_3gpuE7ELNS1_3repE0EEENS1_30default_config_static_selectorELNS0_4arch9wavefront6targetE1EEEvT1_, .Lfunc_end272-_ZN7rocprim17ROCPRIM_400000_NS6detail17trampoline_kernelINS0_14default_configENS1_25partition_config_selectorILNS1_17partition_subalgoE5ElNS0_10empty_typeEbEEZZNS1_14partition_implILS5_5ELb0ES3_mN6hipcub16HIPCUB_304000_NS21CountingInputIteratorIllEEPS6_NSA_22TransformInputIteratorIb7NonZeroIfEPflEENS0_5tupleIJPlS6_EEENSJ_IJSD_SD_EEES6_SK_JS6_EEE10hipError_tPvRmT3_T4_T5_T6_T7_T9_mT8_P12ihipStream_tbDpT10_ENKUlT_T0_E_clISt17integral_constantIbLb1EES15_IbLb0EEEEDaS11_S12_EUlS11_E_NS1_11comp_targetILNS1_3genE3ELNS1_11target_archE908ELNS1_3gpuE7ELNS1_3repE0EEENS1_30default_config_static_selectorELNS0_4arch9wavefront6targetE1EEEvT1_
                                        ; -- End function
	.set _ZN7rocprim17ROCPRIM_400000_NS6detail17trampoline_kernelINS0_14default_configENS1_25partition_config_selectorILNS1_17partition_subalgoE5ElNS0_10empty_typeEbEEZZNS1_14partition_implILS5_5ELb0ES3_mN6hipcub16HIPCUB_304000_NS21CountingInputIteratorIllEEPS6_NSA_22TransformInputIteratorIb7NonZeroIfEPflEENS0_5tupleIJPlS6_EEENSJ_IJSD_SD_EEES6_SK_JS6_EEE10hipError_tPvRmT3_T4_T5_T6_T7_T9_mT8_P12ihipStream_tbDpT10_ENKUlT_T0_E_clISt17integral_constantIbLb1EES15_IbLb0EEEEDaS11_S12_EUlS11_E_NS1_11comp_targetILNS1_3genE3ELNS1_11target_archE908ELNS1_3gpuE7ELNS1_3repE0EEENS1_30default_config_static_selectorELNS0_4arch9wavefront6targetE1EEEvT1_.num_vgpr, 0
	.set _ZN7rocprim17ROCPRIM_400000_NS6detail17trampoline_kernelINS0_14default_configENS1_25partition_config_selectorILNS1_17partition_subalgoE5ElNS0_10empty_typeEbEEZZNS1_14partition_implILS5_5ELb0ES3_mN6hipcub16HIPCUB_304000_NS21CountingInputIteratorIllEEPS6_NSA_22TransformInputIteratorIb7NonZeroIfEPflEENS0_5tupleIJPlS6_EEENSJ_IJSD_SD_EEES6_SK_JS6_EEE10hipError_tPvRmT3_T4_T5_T6_T7_T9_mT8_P12ihipStream_tbDpT10_ENKUlT_T0_E_clISt17integral_constantIbLb1EES15_IbLb0EEEEDaS11_S12_EUlS11_E_NS1_11comp_targetILNS1_3genE3ELNS1_11target_archE908ELNS1_3gpuE7ELNS1_3repE0EEENS1_30default_config_static_selectorELNS0_4arch9wavefront6targetE1EEEvT1_.num_agpr, 0
	.set _ZN7rocprim17ROCPRIM_400000_NS6detail17trampoline_kernelINS0_14default_configENS1_25partition_config_selectorILNS1_17partition_subalgoE5ElNS0_10empty_typeEbEEZZNS1_14partition_implILS5_5ELb0ES3_mN6hipcub16HIPCUB_304000_NS21CountingInputIteratorIllEEPS6_NSA_22TransformInputIteratorIb7NonZeroIfEPflEENS0_5tupleIJPlS6_EEENSJ_IJSD_SD_EEES6_SK_JS6_EEE10hipError_tPvRmT3_T4_T5_T6_T7_T9_mT8_P12ihipStream_tbDpT10_ENKUlT_T0_E_clISt17integral_constantIbLb1EES15_IbLb0EEEEDaS11_S12_EUlS11_E_NS1_11comp_targetILNS1_3genE3ELNS1_11target_archE908ELNS1_3gpuE7ELNS1_3repE0EEENS1_30default_config_static_selectorELNS0_4arch9wavefront6targetE1EEEvT1_.numbered_sgpr, 0
	.set _ZN7rocprim17ROCPRIM_400000_NS6detail17trampoline_kernelINS0_14default_configENS1_25partition_config_selectorILNS1_17partition_subalgoE5ElNS0_10empty_typeEbEEZZNS1_14partition_implILS5_5ELb0ES3_mN6hipcub16HIPCUB_304000_NS21CountingInputIteratorIllEEPS6_NSA_22TransformInputIteratorIb7NonZeroIfEPflEENS0_5tupleIJPlS6_EEENSJ_IJSD_SD_EEES6_SK_JS6_EEE10hipError_tPvRmT3_T4_T5_T6_T7_T9_mT8_P12ihipStream_tbDpT10_ENKUlT_T0_E_clISt17integral_constantIbLb1EES15_IbLb0EEEEDaS11_S12_EUlS11_E_NS1_11comp_targetILNS1_3genE3ELNS1_11target_archE908ELNS1_3gpuE7ELNS1_3repE0EEENS1_30default_config_static_selectorELNS0_4arch9wavefront6targetE1EEEvT1_.num_named_barrier, 0
	.set _ZN7rocprim17ROCPRIM_400000_NS6detail17trampoline_kernelINS0_14default_configENS1_25partition_config_selectorILNS1_17partition_subalgoE5ElNS0_10empty_typeEbEEZZNS1_14partition_implILS5_5ELb0ES3_mN6hipcub16HIPCUB_304000_NS21CountingInputIteratorIllEEPS6_NSA_22TransformInputIteratorIb7NonZeroIfEPflEENS0_5tupleIJPlS6_EEENSJ_IJSD_SD_EEES6_SK_JS6_EEE10hipError_tPvRmT3_T4_T5_T6_T7_T9_mT8_P12ihipStream_tbDpT10_ENKUlT_T0_E_clISt17integral_constantIbLb1EES15_IbLb0EEEEDaS11_S12_EUlS11_E_NS1_11comp_targetILNS1_3genE3ELNS1_11target_archE908ELNS1_3gpuE7ELNS1_3repE0EEENS1_30default_config_static_selectorELNS0_4arch9wavefront6targetE1EEEvT1_.private_seg_size, 0
	.set _ZN7rocprim17ROCPRIM_400000_NS6detail17trampoline_kernelINS0_14default_configENS1_25partition_config_selectorILNS1_17partition_subalgoE5ElNS0_10empty_typeEbEEZZNS1_14partition_implILS5_5ELb0ES3_mN6hipcub16HIPCUB_304000_NS21CountingInputIteratorIllEEPS6_NSA_22TransformInputIteratorIb7NonZeroIfEPflEENS0_5tupleIJPlS6_EEENSJ_IJSD_SD_EEES6_SK_JS6_EEE10hipError_tPvRmT3_T4_T5_T6_T7_T9_mT8_P12ihipStream_tbDpT10_ENKUlT_T0_E_clISt17integral_constantIbLb1EES15_IbLb0EEEEDaS11_S12_EUlS11_E_NS1_11comp_targetILNS1_3genE3ELNS1_11target_archE908ELNS1_3gpuE7ELNS1_3repE0EEENS1_30default_config_static_selectorELNS0_4arch9wavefront6targetE1EEEvT1_.uses_vcc, 0
	.set _ZN7rocprim17ROCPRIM_400000_NS6detail17trampoline_kernelINS0_14default_configENS1_25partition_config_selectorILNS1_17partition_subalgoE5ElNS0_10empty_typeEbEEZZNS1_14partition_implILS5_5ELb0ES3_mN6hipcub16HIPCUB_304000_NS21CountingInputIteratorIllEEPS6_NSA_22TransformInputIteratorIb7NonZeroIfEPflEENS0_5tupleIJPlS6_EEENSJ_IJSD_SD_EEES6_SK_JS6_EEE10hipError_tPvRmT3_T4_T5_T6_T7_T9_mT8_P12ihipStream_tbDpT10_ENKUlT_T0_E_clISt17integral_constantIbLb1EES15_IbLb0EEEEDaS11_S12_EUlS11_E_NS1_11comp_targetILNS1_3genE3ELNS1_11target_archE908ELNS1_3gpuE7ELNS1_3repE0EEENS1_30default_config_static_selectorELNS0_4arch9wavefront6targetE1EEEvT1_.uses_flat_scratch, 0
	.set _ZN7rocprim17ROCPRIM_400000_NS6detail17trampoline_kernelINS0_14default_configENS1_25partition_config_selectorILNS1_17partition_subalgoE5ElNS0_10empty_typeEbEEZZNS1_14partition_implILS5_5ELb0ES3_mN6hipcub16HIPCUB_304000_NS21CountingInputIteratorIllEEPS6_NSA_22TransformInputIteratorIb7NonZeroIfEPflEENS0_5tupleIJPlS6_EEENSJ_IJSD_SD_EEES6_SK_JS6_EEE10hipError_tPvRmT3_T4_T5_T6_T7_T9_mT8_P12ihipStream_tbDpT10_ENKUlT_T0_E_clISt17integral_constantIbLb1EES15_IbLb0EEEEDaS11_S12_EUlS11_E_NS1_11comp_targetILNS1_3genE3ELNS1_11target_archE908ELNS1_3gpuE7ELNS1_3repE0EEENS1_30default_config_static_selectorELNS0_4arch9wavefront6targetE1EEEvT1_.has_dyn_sized_stack, 0
	.set _ZN7rocprim17ROCPRIM_400000_NS6detail17trampoline_kernelINS0_14default_configENS1_25partition_config_selectorILNS1_17partition_subalgoE5ElNS0_10empty_typeEbEEZZNS1_14partition_implILS5_5ELb0ES3_mN6hipcub16HIPCUB_304000_NS21CountingInputIteratorIllEEPS6_NSA_22TransformInputIteratorIb7NonZeroIfEPflEENS0_5tupleIJPlS6_EEENSJ_IJSD_SD_EEES6_SK_JS6_EEE10hipError_tPvRmT3_T4_T5_T6_T7_T9_mT8_P12ihipStream_tbDpT10_ENKUlT_T0_E_clISt17integral_constantIbLb1EES15_IbLb0EEEEDaS11_S12_EUlS11_E_NS1_11comp_targetILNS1_3genE3ELNS1_11target_archE908ELNS1_3gpuE7ELNS1_3repE0EEENS1_30default_config_static_selectorELNS0_4arch9wavefront6targetE1EEEvT1_.has_recursion, 0
	.set _ZN7rocprim17ROCPRIM_400000_NS6detail17trampoline_kernelINS0_14default_configENS1_25partition_config_selectorILNS1_17partition_subalgoE5ElNS0_10empty_typeEbEEZZNS1_14partition_implILS5_5ELb0ES3_mN6hipcub16HIPCUB_304000_NS21CountingInputIteratorIllEEPS6_NSA_22TransformInputIteratorIb7NonZeroIfEPflEENS0_5tupleIJPlS6_EEENSJ_IJSD_SD_EEES6_SK_JS6_EEE10hipError_tPvRmT3_T4_T5_T6_T7_T9_mT8_P12ihipStream_tbDpT10_ENKUlT_T0_E_clISt17integral_constantIbLb1EES15_IbLb0EEEEDaS11_S12_EUlS11_E_NS1_11comp_targetILNS1_3genE3ELNS1_11target_archE908ELNS1_3gpuE7ELNS1_3repE0EEENS1_30default_config_static_selectorELNS0_4arch9wavefront6targetE1EEEvT1_.has_indirect_call, 0
	.section	.AMDGPU.csdata,"",@progbits
; Kernel info:
; codeLenInByte = 0
; TotalNumSgprs: 6
; NumVgprs: 0
; NumAgprs: 0
; TotalNumVgprs: 0
; ScratchSize: 0
; MemoryBound: 0
; FloatMode: 240
; IeeeMode: 1
; LDSByteSize: 0 bytes/workgroup (compile time only)
; SGPRBlocks: 0
; VGPRBlocks: 0
; NumSGPRsForWavesPerEU: 6
; NumVGPRsForWavesPerEU: 1
; AccumOffset: 4
; Occupancy: 8
; WaveLimiterHint : 0
; COMPUTE_PGM_RSRC2:SCRATCH_EN: 0
; COMPUTE_PGM_RSRC2:USER_SGPR: 2
; COMPUTE_PGM_RSRC2:TRAP_HANDLER: 0
; COMPUTE_PGM_RSRC2:TGID_X_EN: 1
; COMPUTE_PGM_RSRC2:TGID_Y_EN: 0
; COMPUTE_PGM_RSRC2:TGID_Z_EN: 0
; COMPUTE_PGM_RSRC2:TIDIG_COMP_CNT: 0
; COMPUTE_PGM_RSRC3_GFX90A:ACCUM_OFFSET: 0
; COMPUTE_PGM_RSRC3_GFX90A:TG_SPLIT: 0
	.section	.text._ZN7rocprim17ROCPRIM_400000_NS6detail17trampoline_kernelINS0_14default_configENS1_25partition_config_selectorILNS1_17partition_subalgoE5ElNS0_10empty_typeEbEEZZNS1_14partition_implILS5_5ELb0ES3_mN6hipcub16HIPCUB_304000_NS21CountingInputIteratorIllEEPS6_NSA_22TransformInputIteratorIb7NonZeroIfEPflEENS0_5tupleIJPlS6_EEENSJ_IJSD_SD_EEES6_SK_JS6_EEE10hipError_tPvRmT3_T4_T5_T6_T7_T9_mT8_P12ihipStream_tbDpT10_ENKUlT_T0_E_clISt17integral_constantIbLb1EES15_IbLb0EEEEDaS11_S12_EUlS11_E_NS1_11comp_targetILNS1_3genE2ELNS1_11target_archE906ELNS1_3gpuE6ELNS1_3repE0EEENS1_30default_config_static_selectorELNS0_4arch9wavefront6targetE1EEEvT1_,"axG",@progbits,_ZN7rocprim17ROCPRIM_400000_NS6detail17trampoline_kernelINS0_14default_configENS1_25partition_config_selectorILNS1_17partition_subalgoE5ElNS0_10empty_typeEbEEZZNS1_14partition_implILS5_5ELb0ES3_mN6hipcub16HIPCUB_304000_NS21CountingInputIteratorIllEEPS6_NSA_22TransformInputIteratorIb7NonZeroIfEPflEENS0_5tupleIJPlS6_EEENSJ_IJSD_SD_EEES6_SK_JS6_EEE10hipError_tPvRmT3_T4_T5_T6_T7_T9_mT8_P12ihipStream_tbDpT10_ENKUlT_T0_E_clISt17integral_constantIbLb1EES15_IbLb0EEEEDaS11_S12_EUlS11_E_NS1_11comp_targetILNS1_3genE2ELNS1_11target_archE906ELNS1_3gpuE6ELNS1_3repE0EEENS1_30default_config_static_selectorELNS0_4arch9wavefront6targetE1EEEvT1_,comdat
	.protected	_ZN7rocprim17ROCPRIM_400000_NS6detail17trampoline_kernelINS0_14default_configENS1_25partition_config_selectorILNS1_17partition_subalgoE5ElNS0_10empty_typeEbEEZZNS1_14partition_implILS5_5ELb0ES3_mN6hipcub16HIPCUB_304000_NS21CountingInputIteratorIllEEPS6_NSA_22TransformInputIteratorIb7NonZeroIfEPflEENS0_5tupleIJPlS6_EEENSJ_IJSD_SD_EEES6_SK_JS6_EEE10hipError_tPvRmT3_T4_T5_T6_T7_T9_mT8_P12ihipStream_tbDpT10_ENKUlT_T0_E_clISt17integral_constantIbLb1EES15_IbLb0EEEEDaS11_S12_EUlS11_E_NS1_11comp_targetILNS1_3genE2ELNS1_11target_archE906ELNS1_3gpuE6ELNS1_3repE0EEENS1_30default_config_static_selectorELNS0_4arch9wavefront6targetE1EEEvT1_ ; -- Begin function _ZN7rocprim17ROCPRIM_400000_NS6detail17trampoline_kernelINS0_14default_configENS1_25partition_config_selectorILNS1_17partition_subalgoE5ElNS0_10empty_typeEbEEZZNS1_14partition_implILS5_5ELb0ES3_mN6hipcub16HIPCUB_304000_NS21CountingInputIteratorIllEEPS6_NSA_22TransformInputIteratorIb7NonZeroIfEPflEENS0_5tupleIJPlS6_EEENSJ_IJSD_SD_EEES6_SK_JS6_EEE10hipError_tPvRmT3_T4_T5_T6_T7_T9_mT8_P12ihipStream_tbDpT10_ENKUlT_T0_E_clISt17integral_constantIbLb1EES15_IbLb0EEEEDaS11_S12_EUlS11_E_NS1_11comp_targetILNS1_3genE2ELNS1_11target_archE906ELNS1_3gpuE6ELNS1_3repE0EEENS1_30default_config_static_selectorELNS0_4arch9wavefront6targetE1EEEvT1_
	.globl	_ZN7rocprim17ROCPRIM_400000_NS6detail17trampoline_kernelINS0_14default_configENS1_25partition_config_selectorILNS1_17partition_subalgoE5ElNS0_10empty_typeEbEEZZNS1_14partition_implILS5_5ELb0ES3_mN6hipcub16HIPCUB_304000_NS21CountingInputIteratorIllEEPS6_NSA_22TransformInputIteratorIb7NonZeroIfEPflEENS0_5tupleIJPlS6_EEENSJ_IJSD_SD_EEES6_SK_JS6_EEE10hipError_tPvRmT3_T4_T5_T6_T7_T9_mT8_P12ihipStream_tbDpT10_ENKUlT_T0_E_clISt17integral_constantIbLb1EES15_IbLb0EEEEDaS11_S12_EUlS11_E_NS1_11comp_targetILNS1_3genE2ELNS1_11target_archE906ELNS1_3gpuE6ELNS1_3repE0EEENS1_30default_config_static_selectorELNS0_4arch9wavefront6targetE1EEEvT1_
	.p2align	8
	.type	_ZN7rocprim17ROCPRIM_400000_NS6detail17trampoline_kernelINS0_14default_configENS1_25partition_config_selectorILNS1_17partition_subalgoE5ElNS0_10empty_typeEbEEZZNS1_14partition_implILS5_5ELb0ES3_mN6hipcub16HIPCUB_304000_NS21CountingInputIteratorIllEEPS6_NSA_22TransformInputIteratorIb7NonZeroIfEPflEENS0_5tupleIJPlS6_EEENSJ_IJSD_SD_EEES6_SK_JS6_EEE10hipError_tPvRmT3_T4_T5_T6_T7_T9_mT8_P12ihipStream_tbDpT10_ENKUlT_T0_E_clISt17integral_constantIbLb1EES15_IbLb0EEEEDaS11_S12_EUlS11_E_NS1_11comp_targetILNS1_3genE2ELNS1_11target_archE906ELNS1_3gpuE6ELNS1_3repE0EEENS1_30default_config_static_selectorELNS0_4arch9wavefront6targetE1EEEvT1_,@function
_ZN7rocprim17ROCPRIM_400000_NS6detail17trampoline_kernelINS0_14default_configENS1_25partition_config_selectorILNS1_17partition_subalgoE5ElNS0_10empty_typeEbEEZZNS1_14partition_implILS5_5ELb0ES3_mN6hipcub16HIPCUB_304000_NS21CountingInputIteratorIllEEPS6_NSA_22TransformInputIteratorIb7NonZeroIfEPflEENS0_5tupleIJPlS6_EEENSJ_IJSD_SD_EEES6_SK_JS6_EEE10hipError_tPvRmT3_T4_T5_T6_T7_T9_mT8_P12ihipStream_tbDpT10_ENKUlT_T0_E_clISt17integral_constantIbLb1EES15_IbLb0EEEEDaS11_S12_EUlS11_E_NS1_11comp_targetILNS1_3genE2ELNS1_11target_archE906ELNS1_3gpuE6ELNS1_3repE0EEENS1_30default_config_static_selectorELNS0_4arch9wavefront6targetE1EEEvT1_: ; @_ZN7rocprim17ROCPRIM_400000_NS6detail17trampoline_kernelINS0_14default_configENS1_25partition_config_selectorILNS1_17partition_subalgoE5ElNS0_10empty_typeEbEEZZNS1_14partition_implILS5_5ELb0ES3_mN6hipcub16HIPCUB_304000_NS21CountingInputIteratorIllEEPS6_NSA_22TransformInputIteratorIb7NonZeroIfEPflEENS0_5tupleIJPlS6_EEENSJ_IJSD_SD_EEES6_SK_JS6_EEE10hipError_tPvRmT3_T4_T5_T6_T7_T9_mT8_P12ihipStream_tbDpT10_ENKUlT_T0_E_clISt17integral_constantIbLb1EES15_IbLb0EEEEDaS11_S12_EUlS11_E_NS1_11comp_targetILNS1_3genE2ELNS1_11target_archE906ELNS1_3gpuE6ELNS1_3repE0EEENS1_30default_config_static_selectorELNS0_4arch9wavefront6targetE1EEEvT1_
; %bb.0:
	.section	.rodata,"a",@progbits
	.p2align	6, 0x0
	.amdhsa_kernel _ZN7rocprim17ROCPRIM_400000_NS6detail17trampoline_kernelINS0_14default_configENS1_25partition_config_selectorILNS1_17partition_subalgoE5ElNS0_10empty_typeEbEEZZNS1_14partition_implILS5_5ELb0ES3_mN6hipcub16HIPCUB_304000_NS21CountingInputIteratorIllEEPS6_NSA_22TransformInputIteratorIb7NonZeroIfEPflEENS0_5tupleIJPlS6_EEENSJ_IJSD_SD_EEES6_SK_JS6_EEE10hipError_tPvRmT3_T4_T5_T6_T7_T9_mT8_P12ihipStream_tbDpT10_ENKUlT_T0_E_clISt17integral_constantIbLb1EES15_IbLb0EEEEDaS11_S12_EUlS11_E_NS1_11comp_targetILNS1_3genE2ELNS1_11target_archE906ELNS1_3gpuE6ELNS1_3repE0EEENS1_30default_config_static_selectorELNS0_4arch9wavefront6targetE1EEEvT1_
		.amdhsa_group_segment_fixed_size 0
		.amdhsa_private_segment_fixed_size 0
		.amdhsa_kernarg_size 120
		.amdhsa_user_sgpr_count 2
		.amdhsa_user_sgpr_dispatch_ptr 0
		.amdhsa_user_sgpr_queue_ptr 0
		.amdhsa_user_sgpr_kernarg_segment_ptr 1
		.amdhsa_user_sgpr_dispatch_id 0
		.amdhsa_user_sgpr_kernarg_preload_length 0
		.amdhsa_user_sgpr_kernarg_preload_offset 0
		.amdhsa_user_sgpr_private_segment_size 0
		.amdhsa_uses_dynamic_stack 0
		.amdhsa_enable_private_segment 0
		.amdhsa_system_sgpr_workgroup_id_x 1
		.amdhsa_system_sgpr_workgroup_id_y 0
		.amdhsa_system_sgpr_workgroup_id_z 0
		.amdhsa_system_sgpr_workgroup_info 0
		.amdhsa_system_vgpr_workitem_id 0
		.amdhsa_next_free_vgpr 1
		.amdhsa_next_free_sgpr 0
		.amdhsa_accum_offset 4
		.amdhsa_reserve_vcc 0
		.amdhsa_float_round_mode_32 0
		.amdhsa_float_round_mode_16_64 0
		.amdhsa_float_denorm_mode_32 3
		.amdhsa_float_denorm_mode_16_64 3
		.amdhsa_dx10_clamp 1
		.amdhsa_ieee_mode 1
		.amdhsa_fp16_overflow 0
		.amdhsa_tg_split 0
		.amdhsa_exception_fp_ieee_invalid_op 0
		.amdhsa_exception_fp_denorm_src 0
		.amdhsa_exception_fp_ieee_div_zero 0
		.amdhsa_exception_fp_ieee_overflow 0
		.amdhsa_exception_fp_ieee_underflow 0
		.amdhsa_exception_fp_ieee_inexact 0
		.amdhsa_exception_int_div_zero 0
	.end_amdhsa_kernel
	.section	.text._ZN7rocprim17ROCPRIM_400000_NS6detail17trampoline_kernelINS0_14default_configENS1_25partition_config_selectorILNS1_17partition_subalgoE5ElNS0_10empty_typeEbEEZZNS1_14partition_implILS5_5ELb0ES3_mN6hipcub16HIPCUB_304000_NS21CountingInputIteratorIllEEPS6_NSA_22TransformInputIteratorIb7NonZeroIfEPflEENS0_5tupleIJPlS6_EEENSJ_IJSD_SD_EEES6_SK_JS6_EEE10hipError_tPvRmT3_T4_T5_T6_T7_T9_mT8_P12ihipStream_tbDpT10_ENKUlT_T0_E_clISt17integral_constantIbLb1EES15_IbLb0EEEEDaS11_S12_EUlS11_E_NS1_11comp_targetILNS1_3genE2ELNS1_11target_archE906ELNS1_3gpuE6ELNS1_3repE0EEENS1_30default_config_static_selectorELNS0_4arch9wavefront6targetE1EEEvT1_,"axG",@progbits,_ZN7rocprim17ROCPRIM_400000_NS6detail17trampoline_kernelINS0_14default_configENS1_25partition_config_selectorILNS1_17partition_subalgoE5ElNS0_10empty_typeEbEEZZNS1_14partition_implILS5_5ELb0ES3_mN6hipcub16HIPCUB_304000_NS21CountingInputIteratorIllEEPS6_NSA_22TransformInputIteratorIb7NonZeroIfEPflEENS0_5tupleIJPlS6_EEENSJ_IJSD_SD_EEES6_SK_JS6_EEE10hipError_tPvRmT3_T4_T5_T6_T7_T9_mT8_P12ihipStream_tbDpT10_ENKUlT_T0_E_clISt17integral_constantIbLb1EES15_IbLb0EEEEDaS11_S12_EUlS11_E_NS1_11comp_targetILNS1_3genE2ELNS1_11target_archE906ELNS1_3gpuE6ELNS1_3repE0EEENS1_30default_config_static_selectorELNS0_4arch9wavefront6targetE1EEEvT1_,comdat
.Lfunc_end273:
	.size	_ZN7rocprim17ROCPRIM_400000_NS6detail17trampoline_kernelINS0_14default_configENS1_25partition_config_selectorILNS1_17partition_subalgoE5ElNS0_10empty_typeEbEEZZNS1_14partition_implILS5_5ELb0ES3_mN6hipcub16HIPCUB_304000_NS21CountingInputIteratorIllEEPS6_NSA_22TransformInputIteratorIb7NonZeroIfEPflEENS0_5tupleIJPlS6_EEENSJ_IJSD_SD_EEES6_SK_JS6_EEE10hipError_tPvRmT3_T4_T5_T6_T7_T9_mT8_P12ihipStream_tbDpT10_ENKUlT_T0_E_clISt17integral_constantIbLb1EES15_IbLb0EEEEDaS11_S12_EUlS11_E_NS1_11comp_targetILNS1_3genE2ELNS1_11target_archE906ELNS1_3gpuE6ELNS1_3repE0EEENS1_30default_config_static_selectorELNS0_4arch9wavefront6targetE1EEEvT1_, .Lfunc_end273-_ZN7rocprim17ROCPRIM_400000_NS6detail17trampoline_kernelINS0_14default_configENS1_25partition_config_selectorILNS1_17partition_subalgoE5ElNS0_10empty_typeEbEEZZNS1_14partition_implILS5_5ELb0ES3_mN6hipcub16HIPCUB_304000_NS21CountingInputIteratorIllEEPS6_NSA_22TransformInputIteratorIb7NonZeroIfEPflEENS0_5tupleIJPlS6_EEENSJ_IJSD_SD_EEES6_SK_JS6_EEE10hipError_tPvRmT3_T4_T5_T6_T7_T9_mT8_P12ihipStream_tbDpT10_ENKUlT_T0_E_clISt17integral_constantIbLb1EES15_IbLb0EEEEDaS11_S12_EUlS11_E_NS1_11comp_targetILNS1_3genE2ELNS1_11target_archE906ELNS1_3gpuE6ELNS1_3repE0EEENS1_30default_config_static_selectorELNS0_4arch9wavefront6targetE1EEEvT1_
                                        ; -- End function
	.set _ZN7rocprim17ROCPRIM_400000_NS6detail17trampoline_kernelINS0_14default_configENS1_25partition_config_selectorILNS1_17partition_subalgoE5ElNS0_10empty_typeEbEEZZNS1_14partition_implILS5_5ELb0ES3_mN6hipcub16HIPCUB_304000_NS21CountingInputIteratorIllEEPS6_NSA_22TransformInputIteratorIb7NonZeroIfEPflEENS0_5tupleIJPlS6_EEENSJ_IJSD_SD_EEES6_SK_JS6_EEE10hipError_tPvRmT3_T4_T5_T6_T7_T9_mT8_P12ihipStream_tbDpT10_ENKUlT_T0_E_clISt17integral_constantIbLb1EES15_IbLb0EEEEDaS11_S12_EUlS11_E_NS1_11comp_targetILNS1_3genE2ELNS1_11target_archE906ELNS1_3gpuE6ELNS1_3repE0EEENS1_30default_config_static_selectorELNS0_4arch9wavefront6targetE1EEEvT1_.num_vgpr, 0
	.set _ZN7rocprim17ROCPRIM_400000_NS6detail17trampoline_kernelINS0_14default_configENS1_25partition_config_selectorILNS1_17partition_subalgoE5ElNS0_10empty_typeEbEEZZNS1_14partition_implILS5_5ELb0ES3_mN6hipcub16HIPCUB_304000_NS21CountingInputIteratorIllEEPS6_NSA_22TransformInputIteratorIb7NonZeroIfEPflEENS0_5tupleIJPlS6_EEENSJ_IJSD_SD_EEES6_SK_JS6_EEE10hipError_tPvRmT3_T4_T5_T6_T7_T9_mT8_P12ihipStream_tbDpT10_ENKUlT_T0_E_clISt17integral_constantIbLb1EES15_IbLb0EEEEDaS11_S12_EUlS11_E_NS1_11comp_targetILNS1_3genE2ELNS1_11target_archE906ELNS1_3gpuE6ELNS1_3repE0EEENS1_30default_config_static_selectorELNS0_4arch9wavefront6targetE1EEEvT1_.num_agpr, 0
	.set _ZN7rocprim17ROCPRIM_400000_NS6detail17trampoline_kernelINS0_14default_configENS1_25partition_config_selectorILNS1_17partition_subalgoE5ElNS0_10empty_typeEbEEZZNS1_14partition_implILS5_5ELb0ES3_mN6hipcub16HIPCUB_304000_NS21CountingInputIteratorIllEEPS6_NSA_22TransformInputIteratorIb7NonZeroIfEPflEENS0_5tupleIJPlS6_EEENSJ_IJSD_SD_EEES6_SK_JS6_EEE10hipError_tPvRmT3_T4_T5_T6_T7_T9_mT8_P12ihipStream_tbDpT10_ENKUlT_T0_E_clISt17integral_constantIbLb1EES15_IbLb0EEEEDaS11_S12_EUlS11_E_NS1_11comp_targetILNS1_3genE2ELNS1_11target_archE906ELNS1_3gpuE6ELNS1_3repE0EEENS1_30default_config_static_selectorELNS0_4arch9wavefront6targetE1EEEvT1_.numbered_sgpr, 0
	.set _ZN7rocprim17ROCPRIM_400000_NS6detail17trampoline_kernelINS0_14default_configENS1_25partition_config_selectorILNS1_17partition_subalgoE5ElNS0_10empty_typeEbEEZZNS1_14partition_implILS5_5ELb0ES3_mN6hipcub16HIPCUB_304000_NS21CountingInputIteratorIllEEPS6_NSA_22TransformInputIteratorIb7NonZeroIfEPflEENS0_5tupleIJPlS6_EEENSJ_IJSD_SD_EEES6_SK_JS6_EEE10hipError_tPvRmT3_T4_T5_T6_T7_T9_mT8_P12ihipStream_tbDpT10_ENKUlT_T0_E_clISt17integral_constantIbLb1EES15_IbLb0EEEEDaS11_S12_EUlS11_E_NS1_11comp_targetILNS1_3genE2ELNS1_11target_archE906ELNS1_3gpuE6ELNS1_3repE0EEENS1_30default_config_static_selectorELNS0_4arch9wavefront6targetE1EEEvT1_.num_named_barrier, 0
	.set _ZN7rocprim17ROCPRIM_400000_NS6detail17trampoline_kernelINS0_14default_configENS1_25partition_config_selectorILNS1_17partition_subalgoE5ElNS0_10empty_typeEbEEZZNS1_14partition_implILS5_5ELb0ES3_mN6hipcub16HIPCUB_304000_NS21CountingInputIteratorIllEEPS6_NSA_22TransformInputIteratorIb7NonZeroIfEPflEENS0_5tupleIJPlS6_EEENSJ_IJSD_SD_EEES6_SK_JS6_EEE10hipError_tPvRmT3_T4_T5_T6_T7_T9_mT8_P12ihipStream_tbDpT10_ENKUlT_T0_E_clISt17integral_constantIbLb1EES15_IbLb0EEEEDaS11_S12_EUlS11_E_NS1_11comp_targetILNS1_3genE2ELNS1_11target_archE906ELNS1_3gpuE6ELNS1_3repE0EEENS1_30default_config_static_selectorELNS0_4arch9wavefront6targetE1EEEvT1_.private_seg_size, 0
	.set _ZN7rocprim17ROCPRIM_400000_NS6detail17trampoline_kernelINS0_14default_configENS1_25partition_config_selectorILNS1_17partition_subalgoE5ElNS0_10empty_typeEbEEZZNS1_14partition_implILS5_5ELb0ES3_mN6hipcub16HIPCUB_304000_NS21CountingInputIteratorIllEEPS6_NSA_22TransformInputIteratorIb7NonZeroIfEPflEENS0_5tupleIJPlS6_EEENSJ_IJSD_SD_EEES6_SK_JS6_EEE10hipError_tPvRmT3_T4_T5_T6_T7_T9_mT8_P12ihipStream_tbDpT10_ENKUlT_T0_E_clISt17integral_constantIbLb1EES15_IbLb0EEEEDaS11_S12_EUlS11_E_NS1_11comp_targetILNS1_3genE2ELNS1_11target_archE906ELNS1_3gpuE6ELNS1_3repE0EEENS1_30default_config_static_selectorELNS0_4arch9wavefront6targetE1EEEvT1_.uses_vcc, 0
	.set _ZN7rocprim17ROCPRIM_400000_NS6detail17trampoline_kernelINS0_14default_configENS1_25partition_config_selectorILNS1_17partition_subalgoE5ElNS0_10empty_typeEbEEZZNS1_14partition_implILS5_5ELb0ES3_mN6hipcub16HIPCUB_304000_NS21CountingInputIteratorIllEEPS6_NSA_22TransformInputIteratorIb7NonZeroIfEPflEENS0_5tupleIJPlS6_EEENSJ_IJSD_SD_EEES6_SK_JS6_EEE10hipError_tPvRmT3_T4_T5_T6_T7_T9_mT8_P12ihipStream_tbDpT10_ENKUlT_T0_E_clISt17integral_constantIbLb1EES15_IbLb0EEEEDaS11_S12_EUlS11_E_NS1_11comp_targetILNS1_3genE2ELNS1_11target_archE906ELNS1_3gpuE6ELNS1_3repE0EEENS1_30default_config_static_selectorELNS0_4arch9wavefront6targetE1EEEvT1_.uses_flat_scratch, 0
	.set _ZN7rocprim17ROCPRIM_400000_NS6detail17trampoline_kernelINS0_14default_configENS1_25partition_config_selectorILNS1_17partition_subalgoE5ElNS0_10empty_typeEbEEZZNS1_14partition_implILS5_5ELb0ES3_mN6hipcub16HIPCUB_304000_NS21CountingInputIteratorIllEEPS6_NSA_22TransformInputIteratorIb7NonZeroIfEPflEENS0_5tupleIJPlS6_EEENSJ_IJSD_SD_EEES6_SK_JS6_EEE10hipError_tPvRmT3_T4_T5_T6_T7_T9_mT8_P12ihipStream_tbDpT10_ENKUlT_T0_E_clISt17integral_constantIbLb1EES15_IbLb0EEEEDaS11_S12_EUlS11_E_NS1_11comp_targetILNS1_3genE2ELNS1_11target_archE906ELNS1_3gpuE6ELNS1_3repE0EEENS1_30default_config_static_selectorELNS0_4arch9wavefront6targetE1EEEvT1_.has_dyn_sized_stack, 0
	.set _ZN7rocprim17ROCPRIM_400000_NS6detail17trampoline_kernelINS0_14default_configENS1_25partition_config_selectorILNS1_17partition_subalgoE5ElNS0_10empty_typeEbEEZZNS1_14partition_implILS5_5ELb0ES3_mN6hipcub16HIPCUB_304000_NS21CountingInputIteratorIllEEPS6_NSA_22TransformInputIteratorIb7NonZeroIfEPflEENS0_5tupleIJPlS6_EEENSJ_IJSD_SD_EEES6_SK_JS6_EEE10hipError_tPvRmT3_T4_T5_T6_T7_T9_mT8_P12ihipStream_tbDpT10_ENKUlT_T0_E_clISt17integral_constantIbLb1EES15_IbLb0EEEEDaS11_S12_EUlS11_E_NS1_11comp_targetILNS1_3genE2ELNS1_11target_archE906ELNS1_3gpuE6ELNS1_3repE0EEENS1_30default_config_static_selectorELNS0_4arch9wavefront6targetE1EEEvT1_.has_recursion, 0
	.set _ZN7rocprim17ROCPRIM_400000_NS6detail17trampoline_kernelINS0_14default_configENS1_25partition_config_selectorILNS1_17partition_subalgoE5ElNS0_10empty_typeEbEEZZNS1_14partition_implILS5_5ELb0ES3_mN6hipcub16HIPCUB_304000_NS21CountingInputIteratorIllEEPS6_NSA_22TransformInputIteratorIb7NonZeroIfEPflEENS0_5tupleIJPlS6_EEENSJ_IJSD_SD_EEES6_SK_JS6_EEE10hipError_tPvRmT3_T4_T5_T6_T7_T9_mT8_P12ihipStream_tbDpT10_ENKUlT_T0_E_clISt17integral_constantIbLb1EES15_IbLb0EEEEDaS11_S12_EUlS11_E_NS1_11comp_targetILNS1_3genE2ELNS1_11target_archE906ELNS1_3gpuE6ELNS1_3repE0EEENS1_30default_config_static_selectorELNS0_4arch9wavefront6targetE1EEEvT1_.has_indirect_call, 0
	.section	.AMDGPU.csdata,"",@progbits
; Kernel info:
; codeLenInByte = 0
; TotalNumSgprs: 6
; NumVgprs: 0
; NumAgprs: 0
; TotalNumVgprs: 0
; ScratchSize: 0
; MemoryBound: 0
; FloatMode: 240
; IeeeMode: 1
; LDSByteSize: 0 bytes/workgroup (compile time only)
; SGPRBlocks: 0
; VGPRBlocks: 0
; NumSGPRsForWavesPerEU: 6
; NumVGPRsForWavesPerEU: 1
; AccumOffset: 4
; Occupancy: 8
; WaveLimiterHint : 0
; COMPUTE_PGM_RSRC2:SCRATCH_EN: 0
; COMPUTE_PGM_RSRC2:USER_SGPR: 2
; COMPUTE_PGM_RSRC2:TRAP_HANDLER: 0
; COMPUTE_PGM_RSRC2:TGID_X_EN: 1
; COMPUTE_PGM_RSRC2:TGID_Y_EN: 0
; COMPUTE_PGM_RSRC2:TGID_Z_EN: 0
; COMPUTE_PGM_RSRC2:TIDIG_COMP_CNT: 0
; COMPUTE_PGM_RSRC3_GFX90A:ACCUM_OFFSET: 0
; COMPUTE_PGM_RSRC3_GFX90A:TG_SPLIT: 0
	.section	.text._ZN7rocprim17ROCPRIM_400000_NS6detail17trampoline_kernelINS0_14default_configENS1_25partition_config_selectorILNS1_17partition_subalgoE5ElNS0_10empty_typeEbEEZZNS1_14partition_implILS5_5ELb0ES3_mN6hipcub16HIPCUB_304000_NS21CountingInputIteratorIllEEPS6_NSA_22TransformInputIteratorIb7NonZeroIfEPflEENS0_5tupleIJPlS6_EEENSJ_IJSD_SD_EEES6_SK_JS6_EEE10hipError_tPvRmT3_T4_T5_T6_T7_T9_mT8_P12ihipStream_tbDpT10_ENKUlT_T0_E_clISt17integral_constantIbLb1EES15_IbLb0EEEEDaS11_S12_EUlS11_E_NS1_11comp_targetILNS1_3genE10ELNS1_11target_archE1200ELNS1_3gpuE4ELNS1_3repE0EEENS1_30default_config_static_selectorELNS0_4arch9wavefront6targetE1EEEvT1_,"axG",@progbits,_ZN7rocprim17ROCPRIM_400000_NS6detail17trampoline_kernelINS0_14default_configENS1_25partition_config_selectorILNS1_17partition_subalgoE5ElNS0_10empty_typeEbEEZZNS1_14partition_implILS5_5ELb0ES3_mN6hipcub16HIPCUB_304000_NS21CountingInputIteratorIllEEPS6_NSA_22TransformInputIteratorIb7NonZeroIfEPflEENS0_5tupleIJPlS6_EEENSJ_IJSD_SD_EEES6_SK_JS6_EEE10hipError_tPvRmT3_T4_T5_T6_T7_T9_mT8_P12ihipStream_tbDpT10_ENKUlT_T0_E_clISt17integral_constantIbLb1EES15_IbLb0EEEEDaS11_S12_EUlS11_E_NS1_11comp_targetILNS1_3genE10ELNS1_11target_archE1200ELNS1_3gpuE4ELNS1_3repE0EEENS1_30default_config_static_selectorELNS0_4arch9wavefront6targetE1EEEvT1_,comdat
	.protected	_ZN7rocprim17ROCPRIM_400000_NS6detail17trampoline_kernelINS0_14default_configENS1_25partition_config_selectorILNS1_17partition_subalgoE5ElNS0_10empty_typeEbEEZZNS1_14partition_implILS5_5ELb0ES3_mN6hipcub16HIPCUB_304000_NS21CountingInputIteratorIllEEPS6_NSA_22TransformInputIteratorIb7NonZeroIfEPflEENS0_5tupleIJPlS6_EEENSJ_IJSD_SD_EEES6_SK_JS6_EEE10hipError_tPvRmT3_T4_T5_T6_T7_T9_mT8_P12ihipStream_tbDpT10_ENKUlT_T0_E_clISt17integral_constantIbLb1EES15_IbLb0EEEEDaS11_S12_EUlS11_E_NS1_11comp_targetILNS1_3genE10ELNS1_11target_archE1200ELNS1_3gpuE4ELNS1_3repE0EEENS1_30default_config_static_selectorELNS0_4arch9wavefront6targetE1EEEvT1_ ; -- Begin function _ZN7rocprim17ROCPRIM_400000_NS6detail17trampoline_kernelINS0_14default_configENS1_25partition_config_selectorILNS1_17partition_subalgoE5ElNS0_10empty_typeEbEEZZNS1_14partition_implILS5_5ELb0ES3_mN6hipcub16HIPCUB_304000_NS21CountingInputIteratorIllEEPS6_NSA_22TransformInputIteratorIb7NonZeroIfEPflEENS0_5tupleIJPlS6_EEENSJ_IJSD_SD_EEES6_SK_JS6_EEE10hipError_tPvRmT3_T4_T5_T6_T7_T9_mT8_P12ihipStream_tbDpT10_ENKUlT_T0_E_clISt17integral_constantIbLb1EES15_IbLb0EEEEDaS11_S12_EUlS11_E_NS1_11comp_targetILNS1_3genE10ELNS1_11target_archE1200ELNS1_3gpuE4ELNS1_3repE0EEENS1_30default_config_static_selectorELNS0_4arch9wavefront6targetE1EEEvT1_
	.globl	_ZN7rocprim17ROCPRIM_400000_NS6detail17trampoline_kernelINS0_14default_configENS1_25partition_config_selectorILNS1_17partition_subalgoE5ElNS0_10empty_typeEbEEZZNS1_14partition_implILS5_5ELb0ES3_mN6hipcub16HIPCUB_304000_NS21CountingInputIteratorIllEEPS6_NSA_22TransformInputIteratorIb7NonZeroIfEPflEENS0_5tupleIJPlS6_EEENSJ_IJSD_SD_EEES6_SK_JS6_EEE10hipError_tPvRmT3_T4_T5_T6_T7_T9_mT8_P12ihipStream_tbDpT10_ENKUlT_T0_E_clISt17integral_constantIbLb1EES15_IbLb0EEEEDaS11_S12_EUlS11_E_NS1_11comp_targetILNS1_3genE10ELNS1_11target_archE1200ELNS1_3gpuE4ELNS1_3repE0EEENS1_30default_config_static_selectorELNS0_4arch9wavefront6targetE1EEEvT1_
	.p2align	8
	.type	_ZN7rocprim17ROCPRIM_400000_NS6detail17trampoline_kernelINS0_14default_configENS1_25partition_config_selectorILNS1_17partition_subalgoE5ElNS0_10empty_typeEbEEZZNS1_14partition_implILS5_5ELb0ES3_mN6hipcub16HIPCUB_304000_NS21CountingInputIteratorIllEEPS6_NSA_22TransformInputIteratorIb7NonZeroIfEPflEENS0_5tupleIJPlS6_EEENSJ_IJSD_SD_EEES6_SK_JS6_EEE10hipError_tPvRmT3_T4_T5_T6_T7_T9_mT8_P12ihipStream_tbDpT10_ENKUlT_T0_E_clISt17integral_constantIbLb1EES15_IbLb0EEEEDaS11_S12_EUlS11_E_NS1_11comp_targetILNS1_3genE10ELNS1_11target_archE1200ELNS1_3gpuE4ELNS1_3repE0EEENS1_30default_config_static_selectorELNS0_4arch9wavefront6targetE1EEEvT1_,@function
_ZN7rocprim17ROCPRIM_400000_NS6detail17trampoline_kernelINS0_14default_configENS1_25partition_config_selectorILNS1_17partition_subalgoE5ElNS0_10empty_typeEbEEZZNS1_14partition_implILS5_5ELb0ES3_mN6hipcub16HIPCUB_304000_NS21CountingInputIteratorIllEEPS6_NSA_22TransformInputIteratorIb7NonZeroIfEPflEENS0_5tupleIJPlS6_EEENSJ_IJSD_SD_EEES6_SK_JS6_EEE10hipError_tPvRmT3_T4_T5_T6_T7_T9_mT8_P12ihipStream_tbDpT10_ENKUlT_T0_E_clISt17integral_constantIbLb1EES15_IbLb0EEEEDaS11_S12_EUlS11_E_NS1_11comp_targetILNS1_3genE10ELNS1_11target_archE1200ELNS1_3gpuE4ELNS1_3repE0EEENS1_30default_config_static_selectorELNS0_4arch9wavefront6targetE1EEEvT1_: ; @_ZN7rocprim17ROCPRIM_400000_NS6detail17trampoline_kernelINS0_14default_configENS1_25partition_config_selectorILNS1_17partition_subalgoE5ElNS0_10empty_typeEbEEZZNS1_14partition_implILS5_5ELb0ES3_mN6hipcub16HIPCUB_304000_NS21CountingInputIteratorIllEEPS6_NSA_22TransformInputIteratorIb7NonZeroIfEPflEENS0_5tupleIJPlS6_EEENSJ_IJSD_SD_EEES6_SK_JS6_EEE10hipError_tPvRmT3_T4_T5_T6_T7_T9_mT8_P12ihipStream_tbDpT10_ENKUlT_T0_E_clISt17integral_constantIbLb1EES15_IbLb0EEEEDaS11_S12_EUlS11_E_NS1_11comp_targetILNS1_3genE10ELNS1_11target_archE1200ELNS1_3gpuE4ELNS1_3repE0EEENS1_30default_config_static_selectorELNS0_4arch9wavefront6targetE1EEEvT1_
; %bb.0:
	.section	.rodata,"a",@progbits
	.p2align	6, 0x0
	.amdhsa_kernel _ZN7rocprim17ROCPRIM_400000_NS6detail17trampoline_kernelINS0_14default_configENS1_25partition_config_selectorILNS1_17partition_subalgoE5ElNS0_10empty_typeEbEEZZNS1_14partition_implILS5_5ELb0ES3_mN6hipcub16HIPCUB_304000_NS21CountingInputIteratorIllEEPS6_NSA_22TransformInputIteratorIb7NonZeroIfEPflEENS0_5tupleIJPlS6_EEENSJ_IJSD_SD_EEES6_SK_JS6_EEE10hipError_tPvRmT3_T4_T5_T6_T7_T9_mT8_P12ihipStream_tbDpT10_ENKUlT_T0_E_clISt17integral_constantIbLb1EES15_IbLb0EEEEDaS11_S12_EUlS11_E_NS1_11comp_targetILNS1_3genE10ELNS1_11target_archE1200ELNS1_3gpuE4ELNS1_3repE0EEENS1_30default_config_static_selectorELNS0_4arch9wavefront6targetE1EEEvT1_
		.amdhsa_group_segment_fixed_size 0
		.amdhsa_private_segment_fixed_size 0
		.amdhsa_kernarg_size 120
		.amdhsa_user_sgpr_count 2
		.amdhsa_user_sgpr_dispatch_ptr 0
		.amdhsa_user_sgpr_queue_ptr 0
		.amdhsa_user_sgpr_kernarg_segment_ptr 1
		.amdhsa_user_sgpr_dispatch_id 0
		.amdhsa_user_sgpr_kernarg_preload_length 0
		.amdhsa_user_sgpr_kernarg_preload_offset 0
		.amdhsa_user_sgpr_private_segment_size 0
		.amdhsa_uses_dynamic_stack 0
		.amdhsa_enable_private_segment 0
		.amdhsa_system_sgpr_workgroup_id_x 1
		.amdhsa_system_sgpr_workgroup_id_y 0
		.amdhsa_system_sgpr_workgroup_id_z 0
		.amdhsa_system_sgpr_workgroup_info 0
		.amdhsa_system_vgpr_workitem_id 0
		.amdhsa_next_free_vgpr 1
		.amdhsa_next_free_sgpr 0
		.amdhsa_accum_offset 4
		.amdhsa_reserve_vcc 0
		.amdhsa_float_round_mode_32 0
		.amdhsa_float_round_mode_16_64 0
		.amdhsa_float_denorm_mode_32 3
		.amdhsa_float_denorm_mode_16_64 3
		.amdhsa_dx10_clamp 1
		.amdhsa_ieee_mode 1
		.amdhsa_fp16_overflow 0
		.amdhsa_tg_split 0
		.amdhsa_exception_fp_ieee_invalid_op 0
		.amdhsa_exception_fp_denorm_src 0
		.amdhsa_exception_fp_ieee_div_zero 0
		.amdhsa_exception_fp_ieee_overflow 0
		.amdhsa_exception_fp_ieee_underflow 0
		.amdhsa_exception_fp_ieee_inexact 0
		.amdhsa_exception_int_div_zero 0
	.end_amdhsa_kernel
	.section	.text._ZN7rocprim17ROCPRIM_400000_NS6detail17trampoline_kernelINS0_14default_configENS1_25partition_config_selectorILNS1_17partition_subalgoE5ElNS0_10empty_typeEbEEZZNS1_14partition_implILS5_5ELb0ES3_mN6hipcub16HIPCUB_304000_NS21CountingInputIteratorIllEEPS6_NSA_22TransformInputIteratorIb7NonZeroIfEPflEENS0_5tupleIJPlS6_EEENSJ_IJSD_SD_EEES6_SK_JS6_EEE10hipError_tPvRmT3_T4_T5_T6_T7_T9_mT8_P12ihipStream_tbDpT10_ENKUlT_T0_E_clISt17integral_constantIbLb1EES15_IbLb0EEEEDaS11_S12_EUlS11_E_NS1_11comp_targetILNS1_3genE10ELNS1_11target_archE1200ELNS1_3gpuE4ELNS1_3repE0EEENS1_30default_config_static_selectorELNS0_4arch9wavefront6targetE1EEEvT1_,"axG",@progbits,_ZN7rocprim17ROCPRIM_400000_NS6detail17trampoline_kernelINS0_14default_configENS1_25partition_config_selectorILNS1_17partition_subalgoE5ElNS0_10empty_typeEbEEZZNS1_14partition_implILS5_5ELb0ES3_mN6hipcub16HIPCUB_304000_NS21CountingInputIteratorIllEEPS6_NSA_22TransformInputIteratorIb7NonZeroIfEPflEENS0_5tupleIJPlS6_EEENSJ_IJSD_SD_EEES6_SK_JS6_EEE10hipError_tPvRmT3_T4_T5_T6_T7_T9_mT8_P12ihipStream_tbDpT10_ENKUlT_T0_E_clISt17integral_constantIbLb1EES15_IbLb0EEEEDaS11_S12_EUlS11_E_NS1_11comp_targetILNS1_3genE10ELNS1_11target_archE1200ELNS1_3gpuE4ELNS1_3repE0EEENS1_30default_config_static_selectorELNS0_4arch9wavefront6targetE1EEEvT1_,comdat
.Lfunc_end274:
	.size	_ZN7rocprim17ROCPRIM_400000_NS6detail17trampoline_kernelINS0_14default_configENS1_25partition_config_selectorILNS1_17partition_subalgoE5ElNS0_10empty_typeEbEEZZNS1_14partition_implILS5_5ELb0ES3_mN6hipcub16HIPCUB_304000_NS21CountingInputIteratorIllEEPS6_NSA_22TransformInputIteratorIb7NonZeroIfEPflEENS0_5tupleIJPlS6_EEENSJ_IJSD_SD_EEES6_SK_JS6_EEE10hipError_tPvRmT3_T4_T5_T6_T7_T9_mT8_P12ihipStream_tbDpT10_ENKUlT_T0_E_clISt17integral_constantIbLb1EES15_IbLb0EEEEDaS11_S12_EUlS11_E_NS1_11comp_targetILNS1_3genE10ELNS1_11target_archE1200ELNS1_3gpuE4ELNS1_3repE0EEENS1_30default_config_static_selectorELNS0_4arch9wavefront6targetE1EEEvT1_, .Lfunc_end274-_ZN7rocprim17ROCPRIM_400000_NS6detail17trampoline_kernelINS0_14default_configENS1_25partition_config_selectorILNS1_17partition_subalgoE5ElNS0_10empty_typeEbEEZZNS1_14partition_implILS5_5ELb0ES3_mN6hipcub16HIPCUB_304000_NS21CountingInputIteratorIllEEPS6_NSA_22TransformInputIteratorIb7NonZeroIfEPflEENS0_5tupleIJPlS6_EEENSJ_IJSD_SD_EEES6_SK_JS6_EEE10hipError_tPvRmT3_T4_T5_T6_T7_T9_mT8_P12ihipStream_tbDpT10_ENKUlT_T0_E_clISt17integral_constantIbLb1EES15_IbLb0EEEEDaS11_S12_EUlS11_E_NS1_11comp_targetILNS1_3genE10ELNS1_11target_archE1200ELNS1_3gpuE4ELNS1_3repE0EEENS1_30default_config_static_selectorELNS0_4arch9wavefront6targetE1EEEvT1_
                                        ; -- End function
	.set _ZN7rocprim17ROCPRIM_400000_NS6detail17trampoline_kernelINS0_14default_configENS1_25partition_config_selectorILNS1_17partition_subalgoE5ElNS0_10empty_typeEbEEZZNS1_14partition_implILS5_5ELb0ES3_mN6hipcub16HIPCUB_304000_NS21CountingInputIteratorIllEEPS6_NSA_22TransformInputIteratorIb7NonZeroIfEPflEENS0_5tupleIJPlS6_EEENSJ_IJSD_SD_EEES6_SK_JS6_EEE10hipError_tPvRmT3_T4_T5_T6_T7_T9_mT8_P12ihipStream_tbDpT10_ENKUlT_T0_E_clISt17integral_constantIbLb1EES15_IbLb0EEEEDaS11_S12_EUlS11_E_NS1_11comp_targetILNS1_3genE10ELNS1_11target_archE1200ELNS1_3gpuE4ELNS1_3repE0EEENS1_30default_config_static_selectorELNS0_4arch9wavefront6targetE1EEEvT1_.num_vgpr, 0
	.set _ZN7rocprim17ROCPRIM_400000_NS6detail17trampoline_kernelINS0_14default_configENS1_25partition_config_selectorILNS1_17partition_subalgoE5ElNS0_10empty_typeEbEEZZNS1_14partition_implILS5_5ELb0ES3_mN6hipcub16HIPCUB_304000_NS21CountingInputIteratorIllEEPS6_NSA_22TransformInputIteratorIb7NonZeroIfEPflEENS0_5tupleIJPlS6_EEENSJ_IJSD_SD_EEES6_SK_JS6_EEE10hipError_tPvRmT3_T4_T5_T6_T7_T9_mT8_P12ihipStream_tbDpT10_ENKUlT_T0_E_clISt17integral_constantIbLb1EES15_IbLb0EEEEDaS11_S12_EUlS11_E_NS1_11comp_targetILNS1_3genE10ELNS1_11target_archE1200ELNS1_3gpuE4ELNS1_3repE0EEENS1_30default_config_static_selectorELNS0_4arch9wavefront6targetE1EEEvT1_.num_agpr, 0
	.set _ZN7rocprim17ROCPRIM_400000_NS6detail17trampoline_kernelINS0_14default_configENS1_25partition_config_selectorILNS1_17partition_subalgoE5ElNS0_10empty_typeEbEEZZNS1_14partition_implILS5_5ELb0ES3_mN6hipcub16HIPCUB_304000_NS21CountingInputIteratorIllEEPS6_NSA_22TransformInputIteratorIb7NonZeroIfEPflEENS0_5tupleIJPlS6_EEENSJ_IJSD_SD_EEES6_SK_JS6_EEE10hipError_tPvRmT3_T4_T5_T6_T7_T9_mT8_P12ihipStream_tbDpT10_ENKUlT_T0_E_clISt17integral_constantIbLb1EES15_IbLb0EEEEDaS11_S12_EUlS11_E_NS1_11comp_targetILNS1_3genE10ELNS1_11target_archE1200ELNS1_3gpuE4ELNS1_3repE0EEENS1_30default_config_static_selectorELNS0_4arch9wavefront6targetE1EEEvT1_.numbered_sgpr, 0
	.set _ZN7rocprim17ROCPRIM_400000_NS6detail17trampoline_kernelINS0_14default_configENS1_25partition_config_selectorILNS1_17partition_subalgoE5ElNS0_10empty_typeEbEEZZNS1_14partition_implILS5_5ELb0ES3_mN6hipcub16HIPCUB_304000_NS21CountingInputIteratorIllEEPS6_NSA_22TransformInputIteratorIb7NonZeroIfEPflEENS0_5tupleIJPlS6_EEENSJ_IJSD_SD_EEES6_SK_JS6_EEE10hipError_tPvRmT3_T4_T5_T6_T7_T9_mT8_P12ihipStream_tbDpT10_ENKUlT_T0_E_clISt17integral_constantIbLb1EES15_IbLb0EEEEDaS11_S12_EUlS11_E_NS1_11comp_targetILNS1_3genE10ELNS1_11target_archE1200ELNS1_3gpuE4ELNS1_3repE0EEENS1_30default_config_static_selectorELNS0_4arch9wavefront6targetE1EEEvT1_.num_named_barrier, 0
	.set _ZN7rocprim17ROCPRIM_400000_NS6detail17trampoline_kernelINS0_14default_configENS1_25partition_config_selectorILNS1_17partition_subalgoE5ElNS0_10empty_typeEbEEZZNS1_14partition_implILS5_5ELb0ES3_mN6hipcub16HIPCUB_304000_NS21CountingInputIteratorIllEEPS6_NSA_22TransformInputIteratorIb7NonZeroIfEPflEENS0_5tupleIJPlS6_EEENSJ_IJSD_SD_EEES6_SK_JS6_EEE10hipError_tPvRmT3_T4_T5_T6_T7_T9_mT8_P12ihipStream_tbDpT10_ENKUlT_T0_E_clISt17integral_constantIbLb1EES15_IbLb0EEEEDaS11_S12_EUlS11_E_NS1_11comp_targetILNS1_3genE10ELNS1_11target_archE1200ELNS1_3gpuE4ELNS1_3repE0EEENS1_30default_config_static_selectorELNS0_4arch9wavefront6targetE1EEEvT1_.private_seg_size, 0
	.set _ZN7rocprim17ROCPRIM_400000_NS6detail17trampoline_kernelINS0_14default_configENS1_25partition_config_selectorILNS1_17partition_subalgoE5ElNS0_10empty_typeEbEEZZNS1_14partition_implILS5_5ELb0ES3_mN6hipcub16HIPCUB_304000_NS21CountingInputIteratorIllEEPS6_NSA_22TransformInputIteratorIb7NonZeroIfEPflEENS0_5tupleIJPlS6_EEENSJ_IJSD_SD_EEES6_SK_JS6_EEE10hipError_tPvRmT3_T4_T5_T6_T7_T9_mT8_P12ihipStream_tbDpT10_ENKUlT_T0_E_clISt17integral_constantIbLb1EES15_IbLb0EEEEDaS11_S12_EUlS11_E_NS1_11comp_targetILNS1_3genE10ELNS1_11target_archE1200ELNS1_3gpuE4ELNS1_3repE0EEENS1_30default_config_static_selectorELNS0_4arch9wavefront6targetE1EEEvT1_.uses_vcc, 0
	.set _ZN7rocprim17ROCPRIM_400000_NS6detail17trampoline_kernelINS0_14default_configENS1_25partition_config_selectorILNS1_17partition_subalgoE5ElNS0_10empty_typeEbEEZZNS1_14partition_implILS5_5ELb0ES3_mN6hipcub16HIPCUB_304000_NS21CountingInputIteratorIllEEPS6_NSA_22TransformInputIteratorIb7NonZeroIfEPflEENS0_5tupleIJPlS6_EEENSJ_IJSD_SD_EEES6_SK_JS6_EEE10hipError_tPvRmT3_T4_T5_T6_T7_T9_mT8_P12ihipStream_tbDpT10_ENKUlT_T0_E_clISt17integral_constantIbLb1EES15_IbLb0EEEEDaS11_S12_EUlS11_E_NS1_11comp_targetILNS1_3genE10ELNS1_11target_archE1200ELNS1_3gpuE4ELNS1_3repE0EEENS1_30default_config_static_selectorELNS0_4arch9wavefront6targetE1EEEvT1_.uses_flat_scratch, 0
	.set _ZN7rocprim17ROCPRIM_400000_NS6detail17trampoline_kernelINS0_14default_configENS1_25partition_config_selectorILNS1_17partition_subalgoE5ElNS0_10empty_typeEbEEZZNS1_14partition_implILS5_5ELb0ES3_mN6hipcub16HIPCUB_304000_NS21CountingInputIteratorIllEEPS6_NSA_22TransformInputIteratorIb7NonZeroIfEPflEENS0_5tupleIJPlS6_EEENSJ_IJSD_SD_EEES6_SK_JS6_EEE10hipError_tPvRmT3_T4_T5_T6_T7_T9_mT8_P12ihipStream_tbDpT10_ENKUlT_T0_E_clISt17integral_constantIbLb1EES15_IbLb0EEEEDaS11_S12_EUlS11_E_NS1_11comp_targetILNS1_3genE10ELNS1_11target_archE1200ELNS1_3gpuE4ELNS1_3repE0EEENS1_30default_config_static_selectorELNS0_4arch9wavefront6targetE1EEEvT1_.has_dyn_sized_stack, 0
	.set _ZN7rocprim17ROCPRIM_400000_NS6detail17trampoline_kernelINS0_14default_configENS1_25partition_config_selectorILNS1_17partition_subalgoE5ElNS0_10empty_typeEbEEZZNS1_14partition_implILS5_5ELb0ES3_mN6hipcub16HIPCUB_304000_NS21CountingInputIteratorIllEEPS6_NSA_22TransformInputIteratorIb7NonZeroIfEPflEENS0_5tupleIJPlS6_EEENSJ_IJSD_SD_EEES6_SK_JS6_EEE10hipError_tPvRmT3_T4_T5_T6_T7_T9_mT8_P12ihipStream_tbDpT10_ENKUlT_T0_E_clISt17integral_constantIbLb1EES15_IbLb0EEEEDaS11_S12_EUlS11_E_NS1_11comp_targetILNS1_3genE10ELNS1_11target_archE1200ELNS1_3gpuE4ELNS1_3repE0EEENS1_30default_config_static_selectorELNS0_4arch9wavefront6targetE1EEEvT1_.has_recursion, 0
	.set _ZN7rocprim17ROCPRIM_400000_NS6detail17trampoline_kernelINS0_14default_configENS1_25partition_config_selectorILNS1_17partition_subalgoE5ElNS0_10empty_typeEbEEZZNS1_14partition_implILS5_5ELb0ES3_mN6hipcub16HIPCUB_304000_NS21CountingInputIteratorIllEEPS6_NSA_22TransformInputIteratorIb7NonZeroIfEPflEENS0_5tupleIJPlS6_EEENSJ_IJSD_SD_EEES6_SK_JS6_EEE10hipError_tPvRmT3_T4_T5_T6_T7_T9_mT8_P12ihipStream_tbDpT10_ENKUlT_T0_E_clISt17integral_constantIbLb1EES15_IbLb0EEEEDaS11_S12_EUlS11_E_NS1_11comp_targetILNS1_3genE10ELNS1_11target_archE1200ELNS1_3gpuE4ELNS1_3repE0EEENS1_30default_config_static_selectorELNS0_4arch9wavefront6targetE1EEEvT1_.has_indirect_call, 0
	.section	.AMDGPU.csdata,"",@progbits
; Kernel info:
; codeLenInByte = 0
; TotalNumSgprs: 6
; NumVgprs: 0
; NumAgprs: 0
; TotalNumVgprs: 0
; ScratchSize: 0
; MemoryBound: 0
; FloatMode: 240
; IeeeMode: 1
; LDSByteSize: 0 bytes/workgroup (compile time only)
; SGPRBlocks: 0
; VGPRBlocks: 0
; NumSGPRsForWavesPerEU: 6
; NumVGPRsForWavesPerEU: 1
; AccumOffset: 4
; Occupancy: 8
; WaveLimiterHint : 0
; COMPUTE_PGM_RSRC2:SCRATCH_EN: 0
; COMPUTE_PGM_RSRC2:USER_SGPR: 2
; COMPUTE_PGM_RSRC2:TRAP_HANDLER: 0
; COMPUTE_PGM_RSRC2:TGID_X_EN: 1
; COMPUTE_PGM_RSRC2:TGID_Y_EN: 0
; COMPUTE_PGM_RSRC2:TGID_Z_EN: 0
; COMPUTE_PGM_RSRC2:TIDIG_COMP_CNT: 0
; COMPUTE_PGM_RSRC3_GFX90A:ACCUM_OFFSET: 0
; COMPUTE_PGM_RSRC3_GFX90A:TG_SPLIT: 0
	.section	.text._ZN7rocprim17ROCPRIM_400000_NS6detail17trampoline_kernelINS0_14default_configENS1_25partition_config_selectorILNS1_17partition_subalgoE5ElNS0_10empty_typeEbEEZZNS1_14partition_implILS5_5ELb0ES3_mN6hipcub16HIPCUB_304000_NS21CountingInputIteratorIllEEPS6_NSA_22TransformInputIteratorIb7NonZeroIfEPflEENS0_5tupleIJPlS6_EEENSJ_IJSD_SD_EEES6_SK_JS6_EEE10hipError_tPvRmT3_T4_T5_T6_T7_T9_mT8_P12ihipStream_tbDpT10_ENKUlT_T0_E_clISt17integral_constantIbLb1EES15_IbLb0EEEEDaS11_S12_EUlS11_E_NS1_11comp_targetILNS1_3genE9ELNS1_11target_archE1100ELNS1_3gpuE3ELNS1_3repE0EEENS1_30default_config_static_selectorELNS0_4arch9wavefront6targetE1EEEvT1_,"axG",@progbits,_ZN7rocprim17ROCPRIM_400000_NS6detail17trampoline_kernelINS0_14default_configENS1_25partition_config_selectorILNS1_17partition_subalgoE5ElNS0_10empty_typeEbEEZZNS1_14partition_implILS5_5ELb0ES3_mN6hipcub16HIPCUB_304000_NS21CountingInputIteratorIllEEPS6_NSA_22TransformInputIteratorIb7NonZeroIfEPflEENS0_5tupleIJPlS6_EEENSJ_IJSD_SD_EEES6_SK_JS6_EEE10hipError_tPvRmT3_T4_T5_T6_T7_T9_mT8_P12ihipStream_tbDpT10_ENKUlT_T0_E_clISt17integral_constantIbLb1EES15_IbLb0EEEEDaS11_S12_EUlS11_E_NS1_11comp_targetILNS1_3genE9ELNS1_11target_archE1100ELNS1_3gpuE3ELNS1_3repE0EEENS1_30default_config_static_selectorELNS0_4arch9wavefront6targetE1EEEvT1_,comdat
	.protected	_ZN7rocprim17ROCPRIM_400000_NS6detail17trampoline_kernelINS0_14default_configENS1_25partition_config_selectorILNS1_17partition_subalgoE5ElNS0_10empty_typeEbEEZZNS1_14partition_implILS5_5ELb0ES3_mN6hipcub16HIPCUB_304000_NS21CountingInputIteratorIllEEPS6_NSA_22TransformInputIteratorIb7NonZeroIfEPflEENS0_5tupleIJPlS6_EEENSJ_IJSD_SD_EEES6_SK_JS6_EEE10hipError_tPvRmT3_T4_T5_T6_T7_T9_mT8_P12ihipStream_tbDpT10_ENKUlT_T0_E_clISt17integral_constantIbLb1EES15_IbLb0EEEEDaS11_S12_EUlS11_E_NS1_11comp_targetILNS1_3genE9ELNS1_11target_archE1100ELNS1_3gpuE3ELNS1_3repE0EEENS1_30default_config_static_selectorELNS0_4arch9wavefront6targetE1EEEvT1_ ; -- Begin function _ZN7rocprim17ROCPRIM_400000_NS6detail17trampoline_kernelINS0_14default_configENS1_25partition_config_selectorILNS1_17partition_subalgoE5ElNS0_10empty_typeEbEEZZNS1_14partition_implILS5_5ELb0ES3_mN6hipcub16HIPCUB_304000_NS21CountingInputIteratorIllEEPS6_NSA_22TransformInputIteratorIb7NonZeroIfEPflEENS0_5tupleIJPlS6_EEENSJ_IJSD_SD_EEES6_SK_JS6_EEE10hipError_tPvRmT3_T4_T5_T6_T7_T9_mT8_P12ihipStream_tbDpT10_ENKUlT_T0_E_clISt17integral_constantIbLb1EES15_IbLb0EEEEDaS11_S12_EUlS11_E_NS1_11comp_targetILNS1_3genE9ELNS1_11target_archE1100ELNS1_3gpuE3ELNS1_3repE0EEENS1_30default_config_static_selectorELNS0_4arch9wavefront6targetE1EEEvT1_
	.globl	_ZN7rocprim17ROCPRIM_400000_NS6detail17trampoline_kernelINS0_14default_configENS1_25partition_config_selectorILNS1_17partition_subalgoE5ElNS0_10empty_typeEbEEZZNS1_14partition_implILS5_5ELb0ES3_mN6hipcub16HIPCUB_304000_NS21CountingInputIteratorIllEEPS6_NSA_22TransformInputIteratorIb7NonZeroIfEPflEENS0_5tupleIJPlS6_EEENSJ_IJSD_SD_EEES6_SK_JS6_EEE10hipError_tPvRmT3_T4_T5_T6_T7_T9_mT8_P12ihipStream_tbDpT10_ENKUlT_T0_E_clISt17integral_constantIbLb1EES15_IbLb0EEEEDaS11_S12_EUlS11_E_NS1_11comp_targetILNS1_3genE9ELNS1_11target_archE1100ELNS1_3gpuE3ELNS1_3repE0EEENS1_30default_config_static_selectorELNS0_4arch9wavefront6targetE1EEEvT1_
	.p2align	8
	.type	_ZN7rocprim17ROCPRIM_400000_NS6detail17trampoline_kernelINS0_14default_configENS1_25partition_config_selectorILNS1_17partition_subalgoE5ElNS0_10empty_typeEbEEZZNS1_14partition_implILS5_5ELb0ES3_mN6hipcub16HIPCUB_304000_NS21CountingInputIteratorIllEEPS6_NSA_22TransformInputIteratorIb7NonZeroIfEPflEENS0_5tupleIJPlS6_EEENSJ_IJSD_SD_EEES6_SK_JS6_EEE10hipError_tPvRmT3_T4_T5_T6_T7_T9_mT8_P12ihipStream_tbDpT10_ENKUlT_T0_E_clISt17integral_constantIbLb1EES15_IbLb0EEEEDaS11_S12_EUlS11_E_NS1_11comp_targetILNS1_3genE9ELNS1_11target_archE1100ELNS1_3gpuE3ELNS1_3repE0EEENS1_30default_config_static_selectorELNS0_4arch9wavefront6targetE1EEEvT1_,@function
_ZN7rocprim17ROCPRIM_400000_NS6detail17trampoline_kernelINS0_14default_configENS1_25partition_config_selectorILNS1_17partition_subalgoE5ElNS0_10empty_typeEbEEZZNS1_14partition_implILS5_5ELb0ES3_mN6hipcub16HIPCUB_304000_NS21CountingInputIteratorIllEEPS6_NSA_22TransformInputIteratorIb7NonZeroIfEPflEENS0_5tupleIJPlS6_EEENSJ_IJSD_SD_EEES6_SK_JS6_EEE10hipError_tPvRmT3_T4_T5_T6_T7_T9_mT8_P12ihipStream_tbDpT10_ENKUlT_T0_E_clISt17integral_constantIbLb1EES15_IbLb0EEEEDaS11_S12_EUlS11_E_NS1_11comp_targetILNS1_3genE9ELNS1_11target_archE1100ELNS1_3gpuE3ELNS1_3repE0EEENS1_30default_config_static_selectorELNS0_4arch9wavefront6targetE1EEEvT1_: ; @_ZN7rocprim17ROCPRIM_400000_NS6detail17trampoline_kernelINS0_14default_configENS1_25partition_config_selectorILNS1_17partition_subalgoE5ElNS0_10empty_typeEbEEZZNS1_14partition_implILS5_5ELb0ES3_mN6hipcub16HIPCUB_304000_NS21CountingInputIteratorIllEEPS6_NSA_22TransformInputIteratorIb7NonZeroIfEPflEENS0_5tupleIJPlS6_EEENSJ_IJSD_SD_EEES6_SK_JS6_EEE10hipError_tPvRmT3_T4_T5_T6_T7_T9_mT8_P12ihipStream_tbDpT10_ENKUlT_T0_E_clISt17integral_constantIbLb1EES15_IbLb0EEEEDaS11_S12_EUlS11_E_NS1_11comp_targetILNS1_3genE9ELNS1_11target_archE1100ELNS1_3gpuE3ELNS1_3repE0EEENS1_30default_config_static_selectorELNS0_4arch9wavefront6targetE1EEEvT1_
; %bb.0:
	.section	.rodata,"a",@progbits
	.p2align	6, 0x0
	.amdhsa_kernel _ZN7rocprim17ROCPRIM_400000_NS6detail17trampoline_kernelINS0_14default_configENS1_25partition_config_selectorILNS1_17partition_subalgoE5ElNS0_10empty_typeEbEEZZNS1_14partition_implILS5_5ELb0ES3_mN6hipcub16HIPCUB_304000_NS21CountingInputIteratorIllEEPS6_NSA_22TransformInputIteratorIb7NonZeroIfEPflEENS0_5tupleIJPlS6_EEENSJ_IJSD_SD_EEES6_SK_JS6_EEE10hipError_tPvRmT3_T4_T5_T6_T7_T9_mT8_P12ihipStream_tbDpT10_ENKUlT_T0_E_clISt17integral_constantIbLb1EES15_IbLb0EEEEDaS11_S12_EUlS11_E_NS1_11comp_targetILNS1_3genE9ELNS1_11target_archE1100ELNS1_3gpuE3ELNS1_3repE0EEENS1_30default_config_static_selectorELNS0_4arch9wavefront6targetE1EEEvT1_
		.amdhsa_group_segment_fixed_size 0
		.amdhsa_private_segment_fixed_size 0
		.amdhsa_kernarg_size 120
		.amdhsa_user_sgpr_count 2
		.amdhsa_user_sgpr_dispatch_ptr 0
		.amdhsa_user_sgpr_queue_ptr 0
		.amdhsa_user_sgpr_kernarg_segment_ptr 1
		.amdhsa_user_sgpr_dispatch_id 0
		.amdhsa_user_sgpr_kernarg_preload_length 0
		.amdhsa_user_sgpr_kernarg_preload_offset 0
		.amdhsa_user_sgpr_private_segment_size 0
		.amdhsa_uses_dynamic_stack 0
		.amdhsa_enable_private_segment 0
		.amdhsa_system_sgpr_workgroup_id_x 1
		.amdhsa_system_sgpr_workgroup_id_y 0
		.amdhsa_system_sgpr_workgroup_id_z 0
		.amdhsa_system_sgpr_workgroup_info 0
		.amdhsa_system_vgpr_workitem_id 0
		.amdhsa_next_free_vgpr 1
		.amdhsa_next_free_sgpr 0
		.amdhsa_accum_offset 4
		.amdhsa_reserve_vcc 0
		.amdhsa_float_round_mode_32 0
		.amdhsa_float_round_mode_16_64 0
		.amdhsa_float_denorm_mode_32 3
		.amdhsa_float_denorm_mode_16_64 3
		.amdhsa_dx10_clamp 1
		.amdhsa_ieee_mode 1
		.amdhsa_fp16_overflow 0
		.amdhsa_tg_split 0
		.amdhsa_exception_fp_ieee_invalid_op 0
		.amdhsa_exception_fp_denorm_src 0
		.amdhsa_exception_fp_ieee_div_zero 0
		.amdhsa_exception_fp_ieee_overflow 0
		.amdhsa_exception_fp_ieee_underflow 0
		.amdhsa_exception_fp_ieee_inexact 0
		.amdhsa_exception_int_div_zero 0
	.end_amdhsa_kernel
	.section	.text._ZN7rocprim17ROCPRIM_400000_NS6detail17trampoline_kernelINS0_14default_configENS1_25partition_config_selectorILNS1_17partition_subalgoE5ElNS0_10empty_typeEbEEZZNS1_14partition_implILS5_5ELb0ES3_mN6hipcub16HIPCUB_304000_NS21CountingInputIteratorIllEEPS6_NSA_22TransformInputIteratorIb7NonZeroIfEPflEENS0_5tupleIJPlS6_EEENSJ_IJSD_SD_EEES6_SK_JS6_EEE10hipError_tPvRmT3_T4_T5_T6_T7_T9_mT8_P12ihipStream_tbDpT10_ENKUlT_T0_E_clISt17integral_constantIbLb1EES15_IbLb0EEEEDaS11_S12_EUlS11_E_NS1_11comp_targetILNS1_3genE9ELNS1_11target_archE1100ELNS1_3gpuE3ELNS1_3repE0EEENS1_30default_config_static_selectorELNS0_4arch9wavefront6targetE1EEEvT1_,"axG",@progbits,_ZN7rocprim17ROCPRIM_400000_NS6detail17trampoline_kernelINS0_14default_configENS1_25partition_config_selectorILNS1_17partition_subalgoE5ElNS0_10empty_typeEbEEZZNS1_14partition_implILS5_5ELb0ES3_mN6hipcub16HIPCUB_304000_NS21CountingInputIteratorIllEEPS6_NSA_22TransformInputIteratorIb7NonZeroIfEPflEENS0_5tupleIJPlS6_EEENSJ_IJSD_SD_EEES6_SK_JS6_EEE10hipError_tPvRmT3_T4_T5_T6_T7_T9_mT8_P12ihipStream_tbDpT10_ENKUlT_T0_E_clISt17integral_constantIbLb1EES15_IbLb0EEEEDaS11_S12_EUlS11_E_NS1_11comp_targetILNS1_3genE9ELNS1_11target_archE1100ELNS1_3gpuE3ELNS1_3repE0EEENS1_30default_config_static_selectorELNS0_4arch9wavefront6targetE1EEEvT1_,comdat
.Lfunc_end275:
	.size	_ZN7rocprim17ROCPRIM_400000_NS6detail17trampoline_kernelINS0_14default_configENS1_25partition_config_selectorILNS1_17partition_subalgoE5ElNS0_10empty_typeEbEEZZNS1_14partition_implILS5_5ELb0ES3_mN6hipcub16HIPCUB_304000_NS21CountingInputIteratorIllEEPS6_NSA_22TransformInputIteratorIb7NonZeroIfEPflEENS0_5tupleIJPlS6_EEENSJ_IJSD_SD_EEES6_SK_JS6_EEE10hipError_tPvRmT3_T4_T5_T6_T7_T9_mT8_P12ihipStream_tbDpT10_ENKUlT_T0_E_clISt17integral_constantIbLb1EES15_IbLb0EEEEDaS11_S12_EUlS11_E_NS1_11comp_targetILNS1_3genE9ELNS1_11target_archE1100ELNS1_3gpuE3ELNS1_3repE0EEENS1_30default_config_static_selectorELNS0_4arch9wavefront6targetE1EEEvT1_, .Lfunc_end275-_ZN7rocprim17ROCPRIM_400000_NS6detail17trampoline_kernelINS0_14default_configENS1_25partition_config_selectorILNS1_17partition_subalgoE5ElNS0_10empty_typeEbEEZZNS1_14partition_implILS5_5ELb0ES3_mN6hipcub16HIPCUB_304000_NS21CountingInputIteratorIllEEPS6_NSA_22TransformInputIteratorIb7NonZeroIfEPflEENS0_5tupleIJPlS6_EEENSJ_IJSD_SD_EEES6_SK_JS6_EEE10hipError_tPvRmT3_T4_T5_T6_T7_T9_mT8_P12ihipStream_tbDpT10_ENKUlT_T0_E_clISt17integral_constantIbLb1EES15_IbLb0EEEEDaS11_S12_EUlS11_E_NS1_11comp_targetILNS1_3genE9ELNS1_11target_archE1100ELNS1_3gpuE3ELNS1_3repE0EEENS1_30default_config_static_selectorELNS0_4arch9wavefront6targetE1EEEvT1_
                                        ; -- End function
	.set _ZN7rocprim17ROCPRIM_400000_NS6detail17trampoline_kernelINS0_14default_configENS1_25partition_config_selectorILNS1_17partition_subalgoE5ElNS0_10empty_typeEbEEZZNS1_14partition_implILS5_5ELb0ES3_mN6hipcub16HIPCUB_304000_NS21CountingInputIteratorIllEEPS6_NSA_22TransformInputIteratorIb7NonZeroIfEPflEENS0_5tupleIJPlS6_EEENSJ_IJSD_SD_EEES6_SK_JS6_EEE10hipError_tPvRmT3_T4_T5_T6_T7_T9_mT8_P12ihipStream_tbDpT10_ENKUlT_T0_E_clISt17integral_constantIbLb1EES15_IbLb0EEEEDaS11_S12_EUlS11_E_NS1_11comp_targetILNS1_3genE9ELNS1_11target_archE1100ELNS1_3gpuE3ELNS1_3repE0EEENS1_30default_config_static_selectorELNS0_4arch9wavefront6targetE1EEEvT1_.num_vgpr, 0
	.set _ZN7rocprim17ROCPRIM_400000_NS6detail17trampoline_kernelINS0_14default_configENS1_25partition_config_selectorILNS1_17partition_subalgoE5ElNS0_10empty_typeEbEEZZNS1_14partition_implILS5_5ELb0ES3_mN6hipcub16HIPCUB_304000_NS21CountingInputIteratorIllEEPS6_NSA_22TransformInputIteratorIb7NonZeroIfEPflEENS0_5tupleIJPlS6_EEENSJ_IJSD_SD_EEES6_SK_JS6_EEE10hipError_tPvRmT3_T4_T5_T6_T7_T9_mT8_P12ihipStream_tbDpT10_ENKUlT_T0_E_clISt17integral_constantIbLb1EES15_IbLb0EEEEDaS11_S12_EUlS11_E_NS1_11comp_targetILNS1_3genE9ELNS1_11target_archE1100ELNS1_3gpuE3ELNS1_3repE0EEENS1_30default_config_static_selectorELNS0_4arch9wavefront6targetE1EEEvT1_.num_agpr, 0
	.set _ZN7rocprim17ROCPRIM_400000_NS6detail17trampoline_kernelINS0_14default_configENS1_25partition_config_selectorILNS1_17partition_subalgoE5ElNS0_10empty_typeEbEEZZNS1_14partition_implILS5_5ELb0ES3_mN6hipcub16HIPCUB_304000_NS21CountingInputIteratorIllEEPS6_NSA_22TransformInputIteratorIb7NonZeroIfEPflEENS0_5tupleIJPlS6_EEENSJ_IJSD_SD_EEES6_SK_JS6_EEE10hipError_tPvRmT3_T4_T5_T6_T7_T9_mT8_P12ihipStream_tbDpT10_ENKUlT_T0_E_clISt17integral_constantIbLb1EES15_IbLb0EEEEDaS11_S12_EUlS11_E_NS1_11comp_targetILNS1_3genE9ELNS1_11target_archE1100ELNS1_3gpuE3ELNS1_3repE0EEENS1_30default_config_static_selectorELNS0_4arch9wavefront6targetE1EEEvT1_.numbered_sgpr, 0
	.set _ZN7rocprim17ROCPRIM_400000_NS6detail17trampoline_kernelINS0_14default_configENS1_25partition_config_selectorILNS1_17partition_subalgoE5ElNS0_10empty_typeEbEEZZNS1_14partition_implILS5_5ELb0ES3_mN6hipcub16HIPCUB_304000_NS21CountingInputIteratorIllEEPS6_NSA_22TransformInputIteratorIb7NonZeroIfEPflEENS0_5tupleIJPlS6_EEENSJ_IJSD_SD_EEES6_SK_JS6_EEE10hipError_tPvRmT3_T4_T5_T6_T7_T9_mT8_P12ihipStream_tbDpT10_ENKUlT_T0_E_clISt17integral_constantIbLb1EES15_IbLb0EEEEDaS11_S12_EUlS11_E_NS1_11comp_targetILNS1_3genE9ELNS1_11target_archE1100ELNS1_3gpuE3ELNS1_3repE0EEENS1_30default_config_static_selectorELNS0_4arch9wavefront6targetE1EEEvT1_.num_named_barrier, 0
	.set _ZN7rocprim17ROCPRIM_400000_NS6detail17trampoline_kernelINS0_14default_configENS1_25partition_config_selectorILNS1_17partition_subalgoE5ElNS0_10empty_typeEbEEZZNS1_14partition_implILS5_5ELb0ES3_mN6hipcub16HIPCUB_304000_NS21CountingInputIteratorIllEEPS6_NSA_22TransformInputIteratorIb7NonZeroIfEPflEENS0_5tupleIJPlS6_EEENSJ_IJSD_SD_EEES6_SK_JS6_EEE10hipError_tPvRmT3_T4_T5_T6_T7_T9_mT8_P12ihipStream_tbDpT10_ENKUlT_T0_E_clISt17integral_constantIbLb1EES15_IbLb0EEEEDaS11_S12_EUlS11_E_NS1_11comp_targetILNS1_3genE9ELNS1_11target_archE1100ELNS1_3gpuE3ELNS1_3repE0EEENS1_30default_config_static_selectorELNS0_4arch9wavefront6targetE1EEEvT1_.private_seg_size, 0
	.set _ZN7rocprim17ROCPRIM_400000_NS6detail17trampoline_kernelINS0_14default_configENS1_25partition_config_selectorILNS1_17partition_subalgoE5ElNS0_10empty_typeEbEEZZNS1_14partition_implILS5_5ELb0ES3_mN6hipcub16HIPCUB_304000_NS21CountingInputIteratorIllEEPS6_NSA_22TransformInputIteratorIb7NonZeroIfEPflEENS0_5tupleIJPlS6_EEENSJ_IJSD_SD_EEES6_SK_JS6_EEE10hipError_tPvRmT3_T4_T5_T6_T7_T9_mT8_P12ihipStream_tbDpT10_ENKUlT_T0_E_clISt17integral_constantIbLb1EES15_IbLb0EEEEDaS11_S12_EUlS11_E_NS1_11comp_targetILNS1_3genE9ELNS1_11target_archE1100ELNS1_3gpuE3ELNS1_3repE0EEENS1_30default_config_static_selectorELNS0_4arch9wavefront6targetE1EEEvT1_.uses_vcc, 0
	.set _ZN7rocprim17ROCPRIM_400000_NS6detail17trampoline_kernelINS0_14default_configENS1_25partition_config_selectorILNS1_17partition_subalgoE5ElNS0_10empty_typeEbEEZZNS1_14partition_implILS5_5ELb0ES3_mN6hipcub16HIPCUB_304000_NS21CountingInputIteratorIllEEPS6_NSA_22TransformInputIteratorIb7NonZeroIfEPflEENS0_5tupleIJPlS6_EEENSJ_IJSD_SD_EEES6_SK_JS6_EEE10hipError_tPvRmT3_T4_T5_T6_T7_T9_mT8_P12ihipStream_tbDpT10_ENKUlT_T0_E_clISt17integral_constantIbLb1EES15_IbLb0EEEEDaS11_S12_EUlS11_E_NS1_11comp_targetILNS1_3genE9ELNS1_11target_archE1100ELNS1_3gpuE3ELNS1_3repE0EEENS1_30default_config_static_selectorELNS0_4arch9wavefront6targetE1EEEvT1_.uses_flat_scratch, 0
	.set _ZN7rocprim17ROCPRIM_400000_NS6detail17trampoline_kernelINS0_14default_configENS1_25partition_config_selectorILNS1_17partition_subalgoE5ElNS0_10empty_typeEbEEZZNS1_14partition_implILS5_5ELb0ES3_mN6hipcub16HIPCUB_304000_NS21CountingInputIteratorIllEEPS6_NSA_22TransformInputIteratorIb7NonZeroIfEPflEENS0_5tupleIJPlS6_EEENSJ_IJSD_SD_EEES6_SK_JS6_EEE10hipError_tPvRmT3_T4_T5_T6_T7_T9_mT8_P12ihipStream_tbDpT10_ENKUlT_T0_E_clISt17integral_constantIbLb1EES15_IbLb0EEEEDaS11_S12_EUlS11_E_NS1_11comp_targetILNS1_3genE9ELNS1_11target_archE1100ELNS1_3gpuE3ELNS1_3repE0EEENS1_30default_config_static_selectorELNS0_4arch9wavefront6targetE1EEEvT1_.has_dyn_sized_stack, 0
	.set _ZN7rocprim17ROCPRIM_400000_NS6detail17trampoline_kernelINS0_14default_configENS1_25partition_config_selectorILNS1_17partition_subalgoE5ElNS0_10empty_typeEbEEZZNS1_14partition_implILS5_5ELb0ES3_mN6hipcub16HIPCUB_304000_NS21CountingInputIteratorIllEEPS6_NSA_22TransformInputIteratorIb7NonZeroIfEPflEENS0_5tupleIJPlS6_EEENSJ_IJSD_SD_EEES6_SK_JS6_EEE10hipError_tPvRmT3_T4_T5_T6_T7_T9_mT8_P12ihipStream_tbDpT10_ENKUlT_T0_E_clISt17integral_constantIbLb1EES15_IbLb0EEEEDaS11_S12_EUlS11_E_NS1_11comp_targetILNS1_3genE9ELNS1_11target_archE1100ELNS1_3gpuE3ELNS1_3repE0EEENS1_30default_config_static_selectorELNS0_4arch9wavefront6targetE1EEEvT1_.has_recursion, 0
	.set _ZN7rocprim17ROCPRIM_400000_NS6detail17trampoline_kernelINS0_14default_configENS1_25partition_config_selectorILNS1_17partition_subalgoE5ElNS0_10empty_typeEbEEZZNS1_14partition_implILS5_5ELb0ES3_mN6hipcub16HIPCUB_304000_NS21CountingInputIteratorIllEEPS6_NSA_22TransformInputIteratorIb7NonZeroIfEPflEENS0_5tupleIJPlS6_EEENSJ_IJSD_SD_EEES6_SK_JS6_EEE10hipError_tPvRmT3_T4_T5_T6_T7_T9_mT8_P12ihipStream_tbDpT10_ENKUlT_T0_E_clISt17integral_constantIbLb1EES15_IbLb0EEEEDaS11_S12_EUlS11_E_NS1_11comp_targetILNS1_3genE9ELNS1_11target_archE1100ELNS1_3gpuE3ELNS1_3repE0EEENS1_30default_config_static_selectorELNS0_4arch9wavefront6targetE1EEEvT1_.has_indirect_call, 0
	.section	.AMDGPU.csdata,"",@progbits
; Kernel info:
; codeLenInByte = 0
; TotalNumSgprs: 6
; NumVgprs: 0
; NumAgprs: 0
; TotalNumVgprs: 0
; ScratchSize: 0
; MemoryBound: 0
; FloatMode: 240
; IeeeMode: 1
; LDSByteSize: 0 bytes/workgroup (compile time only)
; SGPRBlocks: 0
; VGPRBlocks: 0
; NumSGPRsForWavesPerEU: 6
; NumVGPRsForWavesPerEU: 1
; AccumOffset: 4
; Occupancy: 8
; WaveLimiterHint : 0
; COMPUTE_PGM_RSRC2:SCRATCH_EN: 0
; COMPUTE_PGM_RSRC2:USER_SGPR: 2
; COMPUTE_PGM_RSRC2:TRAP_HANDLER: 0
; COMPUTE_PGM_RSRC2:TGID_X_EN: 1
; COMPUTE_PGM_RSRC2:TGID_Y_EN: 0
; COMPUTE_PGM_RSRC2:TGID_Z_EN: 0
; COMPUTE_PGM_RSRC2:TIDIG_COMP_CNT: 0
; COMPUTE_PGM_RSRC3_GFX90A:ACCUM_OFFSET: 0
; COMPUTE_PGM_RSRC3_GFX90A:TG_SPLIT: 0
	.section	.text._ZN7rocprim17ROCPRIM_400000_NS6detail17trampoline_kernelINS0_14default_configENS1_25partition_config_selectorILNS1_17partition_subalgoE5ElNS0_10empty_typeEbEEZZNS1_14partition_implILS5_5ELb0ES3_mN6hipcub16HIPCUB_304000_NS21CountingInputIteratorIllEEPS6_NSA_22TransformInputIteratorIb7NonZeroIfEPflEENS0_5tupleIJPlS6_EEENSJ_IJSD_SD_EEES6_SK_JS6_EEE10hipError_tPvRmT3_T4_T5_T6_T7_T9_mT8_P12ihipStream_tbDpT10_ENKUlT_T0_E_clISt17integral_constantIbLb1EES15_IbLb0EEEEDaS11_S12_EUlS11_E_NS1_11comp_targetILNS1_3genE8ELNS1_11target_archE1030ELNS1_3gpuE2ELNS1_3repE0EEENS1_30default_config_static_selectorELNS0_4arch9wavefront6targetE1EEEvT1_,"axG",@progbits,_ZN7rocprim17ROCPRIM_400000_NS6detail17trampoline_kernelINS0_14default_configENS1_25partition_config_selectorILNS1_17partition_subalgoE5ElNS0_10empty_typeEbEEZZNS1_14partition_implILS5_5ELb0ES3_mN6hipcub16HIPCUB_304000_NS21CountingInputIteratorIllEEPS6_NSA_22TransformInputIteratorIb7NonZeroIfEPflEENS0_5tupleIJPlS6_EEENSJ_IJSD_SD_EEES6_SK_JS6_EEE10hipError_tPvRmT3_T4_T5_T6_T7_T9_mT8_P12ihipStream_tbDpT10_ENKUlT_T0_E_clISt17integral_constantIbLb1EES15_IbLb0EEEEDaS11_S12_EUlS11_E_NS1_11comp_targetILNS1_3genE8ELNS1_11target_archE1030ELNS1_3gpuE2ELNS1_3repE0EEENS1_30default_config_static_selectorELNS0_4arch9wavefront6targetE1EEEvT1_,comdat
	.protected	_ZN7rocprim17ROCPRIM_400000_NS6detail17trampoline_kernelINS0_14default_configENS1_25partition_config_selectorILNS1_17partition_subalgoE5ElNS0_10empty_typeEbEEZZNS1_14partition_implILS5_5ELb0ES3_mN6hipcub16HIPCUB_304000_NS21CountingInputIteratorIllEEPS6_NSA_22TransformInputIteratorIb7NonZeroIfEPflEENS0_5tupleIJPlS6_EEENSJ_IJSD_SD_EEES6_SK_JS6_EEE10hipError_tPvRmT3_T4_T5_T6_T7_T9_mT8_P12ihipStream_tbDpT10_ENKUlT_T0_E_clISt17integral_constantIbLb1EES15_IbLb0EEEEDaS11_S12_EUlS11_E_NS1_11comp_targetILNS1_3genE8ELNS1_11target_archE1030ELNS1_3gpuE2ELNS1_3repE0EEENS1_30default_config_static_selectorELNS0_4arch9wavefront6targetE1EEEvT1_ ; -- Begin function _ZN7rocprim17ROCPRIM_400000_NS6detail17trampoline_kernelINS0_14default_configENS1_25partition_config_selectorILNS1_17partition_subalgoE5ElNS0_10empty_typeEbEEZZNS1_14partition_implILS5_5ELb0ES3_mN6hipcub16HIPCUB_304000_NS21CountingInputIteratorIllEEPS6_NSA_22TransformInputIteratorIb7NonZeroIfEPflEENS0_5tupleIJPlS6_EEENSJ_IJSD_SD_EEES6_SK_JS6_EEE10hipError_tPvRmT3_T4_T5_T6_T7_T9_mT8_P12ihipStream_tbDpT10_ENKUlT_T0_E_clISt17integral_constantIbLb1EES15_IbLb0EEEEDaS11_S12_EUlS11_E_NS1_11comp_targetILNS1_3genE8ELNS1_11target_archE1030ELNS1_3gpuE2ELNS1_3repE0EEENS1_30default_config_static_selectorELNS0_4arch9wavefront6targetE1EEEvT1_
	.globl	_ZN7rocprim17ROCPRIM_400000_NS6detail17trampoline_kernelINS0_14default_configENS1_25partition_config_selectorILNS1_17partition_subalgoE5ElNS0_10empty_typeEbEEZZNS1_14partition_implILS5_5ELb0ES3_mN6hipcub16HIPCUB_304000_NS21CountingInputIteratorIllEEPS6_NSA_22TransformInputIteratorIb7NonZeroIfEPflEENS0_5tupleIJPlS6_EEENSJ_IJSD_SD_EEES6_SK_JS6_EEE10hipError_tPvRmT3_T4_T5_T6_T7_T9_mT8_P12ihipStream_tbDpT10_ENKUlT_T0_E_clISt17integral_constantIbLb1EES15_IbLb0EEEEDaS11_S12_EUlS11_E_NS1_11comp_targetILNS1_3genE8ELNS1_11target_archE1030ELNS1_3gpuE2ELNS1_3repE0EEENS1_30default_config_static_selectorELNS0_4arch9wavefront6targetE1EEEvT1_
	.p2align	8
	.type	_ZN7rocprim17ROCPRIM_400000_NS6detail17trampoline_kernelINS0_14default_configENS1_25partition_config_selectorILNS1_17partition_subalgoE5ElNS0_10empty_typeEbEEZZNS1_14partition_implILS5_5ELb0ES3_mN6hipcub16HIPCUB_304000_NS21CountingInputIteratorIllEEPS6_NSA_22TransformInputIteratorIb7NonZeroIfEPflEENS0_5tupleIJPlS6_EEENSJ_IJSD_SD_EEES6_SK_JS6_EEE10hipError_tPvRmT3_T4_T5_T6_T7_T9_mT8_P12ihipStream_tbDpT10_ENKUlT_T0_E_clISt17integral_constantIbLb1EES15_IbLb0EEEEDaS11_S12_EUlS11_E_NS1_11comp_targetILNS1_3genE8ELNS1_11target_archE1030ELNS1_3gpuE2ELNS1_3repE0EEENS1_30default_config_static_selectorELNS0_4arch9wavefront6targetE1EEEvT1_,@function
_ZN7rocprim17ROCPRIM_400000_NS6detail17trampoline_kernelINS0_14default_configENS1_25partition_config_selectorILNS1_17partition_subalgoE5ElNS0_10empty_typeEbEEZZNS1_14partition_implILS5_5ELb0ES3_mN6hipcub16HIPCUB_304000_NS21CountingInputIteratorIllEEPS6_NSA_22TransformInputIteratorIb7NonZeroIfEPflEENS0_5tupleIJPlS6_EEENSJ_IJSD_SD_EEES6_SK_JS6_EEE10hipError_tPvRmT3_T4_T5_T6_T7_T9_mT8_P12ihipStream_tbDpT10_ENKUlT_T0_E_clISt17integral_constantIbLb1EES15_IbLb0EEEEDaS11_S12_EUlS11_E_NS1_11comp_targetILNS1_3genE8ELNS1_11target_archE1030ELNS1_3gpuE2ELNS1_3repE0EEENS1_30default_config_static_selectorELNS0_4arch9wavefront6targetE1EEEvT1_: ; @_ZN7rocprim17ROCPRIM_400000_NS6detail17trampoline_kernelINS0_14default_configENS1_25partition_config_selectorILNS1_17partition_subalgoE5ElNS0_10empty_typeEbEEZZNS1_14partition_implILS5_5ELb0ES3_mN6hipcub16HIPCUB_304000_NS21CountingInputIteratorIllEEPS6_NSA_22TransformInputIteratorIb7NonZeroIfEPflEENS0_5tupleIJPlS6_EEENSJ_IJSD_SD_EEES6_SK_JS6_EEE10hipError_tPvRmT3_T4_T5_T6_T7_T9_mT8_P12ihipStream_tbDpT10_ENKUlT_T0_E_clISt17integral_constantIbLb1EES15_IbLb0EEEEDaS11_S12_EUlS11_E_NS1_11comp_targetILNS1_3genE8ELNS1_11target_archE1030ELNS1_3gpuE2ELNS1_3repE0EEENS1_30default_config_static_selectorELNS0_4arch9wavefront6targetE1EEEvT1_
; %bb.0:
	.section	.rodata,"a",@progbits
	.p2align	6, 0x0
	.amdhsa_kernel _ZN7rocprim17ROCPRIM_400000_NS6detail17trampoline_kernelINS0_14default_configENS1_25partition_config_selectorILNS1_17partition_subalgoE5ElNS0_10empty_typeEbEEZZNS1_14partition_implILS5_5ELb0ES3_mN6hipcub16HIPCUB_304000_NS21CountingInputIteratorIllEEPS6_NSA_22TransformInputIteratorIb7NonZeroIfEPflEENS0_5tupleIJPlS6_EEENSJ_IJSD_SD_EEES6_SK_JS6_EEE10hipError_tPvRmT3_T4_T5_T6_T7_T9_mT8_P12ihipStream_tbDpT10_ENKUlT_T0_E_clISt17integral_constantIbLb1EES15_IbLb0EEEEDaS11_S12_EUlS11_E_NS1_11comp_targetILNS1_3genE8ELNS1_11target_archE1030ELNS1_3gpuE2ELNS1_3repE0EEENS1_30default_config_static_selectorELNS0_4arch9wavefront6targetE1EEEvT1_
		.amdhsa_group_segment_fixed_size 0
		.amdhsa_private_segment_fixed_size 0
		.amdhsa_kernarg_size 120
		.amdhsa_user_sgpr_count 2
		.amdhsa_user_sgpr_dispatch_ptr 0
		.amdhsa_user_sgpr_queue_ptr 0
		.amdhsa_user_sgpr_kernarg_segment_ptr 1
		.amdhsa_user_sgpr_dispatch_id 0
		.amdhsa_user_sgpr_kernarg_preload_length 0
		.amdhsa_user_sgpr_kernarg_preload_offset 0
		.amdhsa_user_sgpr_private_segment_size 0
		.amdhsa_uses_dynamic_stack 0
		.amdhsa_enable_private_segment 0
		.amdhsa_system_sgpr_workgroup_id_x 1
		.amdhsa_system_sgpr_workgroup_id_y 0
		.amdhsa_system_sgpr_workgroup_id_z 0
		.amdhsa_system_sgpr_workgroup_info 0
		.amdhsa_system_vgpr_workitem_id 0
		.amdhsa_next_free_vgpr 1
		.amdhsa_next_free_sgpr 0
		.amdhsa_accum_offset 4
		.amdhsa_reserve_vcc 0
		.amdhsa_float_round_mode_32 0
		.amdhsa_float_round_mode_16_64 0
		.amdhsa_float_denorm_mode_32 3
		.amdhsa_float_denorm_mode_16_64 3
		.amdhsa_dx10_clamp 1
		.amdhsa_ieee_mode 1
		.amdhsa_fp16_overflow 0
		.amdhsa_tg_split 0
		.amdhsa_exception_fp_ieee_invalid_op 0
		.amdhsa_exception_fp_denorm_src 0
		.amdhsa_exception_fp_ieee_div_zero 0
		.amdhsa_exception_fp_ieee_overflow 0
		.amdhsa_exception_fp_ieee_underflow 0
		.amdhsa_exception_fp_ieee_inexact 0
		.amdhsa_exception_int_div_zero 0
	.end_amdhsa_kernel
	.section	.text._ZN7rocprim17ROCPRIM_400000_NS6detail17trampoline_kernelINS0_14default_configENS1_25partition_config_selectorILNS1_17partition_subalgoE5ElNS0_10empty_typeEbEEZZNS1_14partition_implILS5_5ELb0ES3_mN6hipcub16HIPCUB_304000_NS21CountingInputIteratorIllEEPS6_NSA_22TransformInputIteratorIb7NonZeroIfEPflEENS0_5tupleIJPlS6_EEENSJ_IJSD_SD_EEES6_SK_JS6_EEE10hipError_tPvRmT3_T4_T5_T6_T7_T9_mT8_P12ihipStream_tbDpT10_ENKUlT_T0_E_clISt17integral_constantIbLb1EES15_IbLb0EEEEDaS11_S12_EUlS11_E_NS1_11comp_targetILNS1_3genE8ELNS1_11target_archE1030ELNS1_3gpuE2ELNS1_3repE0EEENS1_30default_config_static_selectorELNS0_4arch9wavefront6targetE1EEEvT1_,"axG",@progbits,_ZN7rocprim17ROCPRIM_400000_NS6detail17trampoline_kernelINS0_14default_configENS1_25partition_config_selectorILNS1_17partition_subalgoE5ElNS0_10empty_typeEbEEZZNS1_14partition_implILS5_5ELb0ES3_mN6hipcub16HIPCUB_304000_NS21CountingInputIteratorIllEEPS6_NSA_22TransformInputIteratorIb7NonZeroIfEPflEENS0_5tupleIJPlS6_EEENSJ_IJSD_SD_EEES6_SK_JS6_EEE10hipError_tPvRmT3_T4_T5_T6_T7_T9_mT8_P12ihipStream_tbDpT10_ENKUlT_T0_E_clISt17integral_constantIbLb1EES15_IbLb0EEEEDaS11_S12_EUlS11_E_NS1_11comp_targetILNS1_3genE8ELNS1_11target_archE1030ELNS1_3gpuE2ELNS1_3repE0EEENS1_30default_config_static_selectorELNS0_4arch9wavefront6targetE1EEEvT1_,comdat
.Lfunc_end276:
	.size	_ZN7rocprim17ROCPRIM_400000_NS6detail17trampoline_kernelINS0_14default_configENS1_25partition_config_selectorILNS1_17partition_subalgoE5ElNS0_10empty_typeEbEEZZNS1_14partition_implILS5_5ELb0ES3_mN6hipcub16HIPCUB_304000_NS21CountingInputIteratorIllEEPS6_NSA_22TransformInputIteratorIb7NonZeroIfEPflEENS0_5tupleIJPlS6_EEENSJ_IJSD_SD_EEES6_SK_JS6_EEE10hipError_tPvRmT3_T4_T5_T6_T7_T9_mT8_P12ihipStream_tbDpT10_ENKUlT_T0_E_clISt17integral_constantIbLb1EES15_IbLb0EEEEDaS11_S12_EUlS11_E_NS1_11comp_targetILNS1_3genE8ELNS1_11target_archE1030ELNS1_3gpuE2ELNS1_3repE0EEENS1_30default_config_static_selectorELNS0_4arch9wavefront6targetE1EEEvT1_, .Lfunc_end276-_ZN7rocprim17ROCPRIM_400000_NS6detail17trampoline_kernelINS0_14default_configENS1_25partition_config_selectorILNS1_17partition_subalgoE5ElNS0_10empty_typeEbEEZZNS1_14partition_implILS5_5ELb0ES3_mN6hipcub16HIPCUB_304000_NS21CountingInputIteratorIllEEPS6_NSA_22TransformInputIteratorIb7NonZeroIfEPflEENS0_5tupleIJPlS6_EEENSJ_IJSD_SD_EEES6_SK_JS6_EEE10hipError_tPvRmT3_T4_T5_T6_T7_T9_mT8_P12ihipStream_tbDpT10_ENKUlT_T0_E_clISt17integral_constantIbLb1EES15_IbLb0EEEEDaS11_S12_EUlS11_E_NS1_11comp_targetILNS1_3genE8ELNS1_11target_archE1030ELNS1_3gpuE2ELNS1_3repE0EEENS1_30default_config_static_selectorELNS0_4arch9wavefront6targetE1EEEvT1_
                                        ; -- End function
	.set _ZN7rocprim17ROCPRIM_400000_NS6detail17trampoline_kernelINS0_14default_configENS1_25partition_config_selectorILNS1_17partition_subalgoE5ElNS0_10empty_typeEbEEZZNS1_14partition_implILS5_5ELb0ES3_mN6hipcub16HIPCUB_304000_NS21CountingInputIteratorIllEEPS6_NSA_22TransformInputIteratorIb7NonZeroIfEPflEENS0_5tupleIJPlS6_EEENSJ_IJSD_SD_EEES6_SK_JS6_EEE10hipError_tPvRmT3_T4_T5_T6_T7_T9_mT8_P12ihipStream_tbDpT10_ENKUlT_T0_E_clISt17integral_constantIbLb1EES15_IbLb0EEEEDaS11_S12_EUlS11_E_NS1_11comp_targetILNS1_3genE8ELNS1_11target_archE1030ELNS1_3gpuE2ELNS1_3repE0EEENS1_30default_config_static_selectorELNS0_4arch9wavefront6targetE1EEEvT1_.num_vgpr, 0
	.set _ZN7rocprim17ROCPRIM_400000_NS6detail17trampoline_kernelINS0_14default_configENS1_25partition_config_selectorILNS1_17partition_subalgoE5ElNS0_10empty_typeEbEEZZNS1_14partition_implILS5_5ELb0ES3_mN6hipcub16HIPCUB_304000_NS21CountingInputIteratorIllEEPS6_NSA_22TransformInputIteratorIb7NonZeroIfEPflEENS0_5tupleIJPlS6_EEENSJ_IJSD_SD_EEES6_SK_JS6_EEE10hipError_tPvRmT3_T4_T5_T6_T7_T9_mT8_P12ihipStream_tbDpT10_ENKUlT_T0_E_clISt17integral_constantIbLb1EES15_IbLb0EEEEDaS11_S12_EUlS11_E_NS1_11comp_targetILNS1_3genE8ELNS1_11target_archE1030ELNS1_3gpuE2ELNS1_3repE0EEENS1_30default_config_static_selectorELNS0_4arch9wavefront6targetE1EEEvT1_.num_agpr, 0
	.set _ZN7rocprim17ROCPRIM_400000_NS6detail17trampoline_kernelINS0_14default_configENS1_25partition_config_selectorILNS1_17partition_subalgoE5ElNS0_10empty_typeEbEEZZNS1_14partition_implILS5_5ELb0ES3_mN6hipcub16HIPCUB_304000_NS21CountingInputIteratorIllEEPS6_NSA_22TransformInputIteratorIb7NonZeroIfEPflEENS0_5tupleIJPlS6_EEENSJ_IJSD_SD_EEES6_SK_JS6_EEE10hipError_tPvRmT3_T4_T5_T6_T7_T9_mT8_P12ihipStream_tbDpT10_ENKUlT_T0_E_clISt17integral_constantIbLb1EES15_IbLb0EEEEDaS11_S12_EUlS11_E_NS1_11comp_targetILNS1_3genE8ELNS1_11target_archE1030ELNS1_3gpuE2ELNS1_3repE0EEENS1_30default_config_static_selectorELNS0_4arch9wavefront6targetE1EEEvT1_.numbered_sgpr, 0
	.set _ZN7rocprim17ROCPRIM_400000_NS6detail17trampoline_kernelINS0_14default_configENS1_25partition_config_selectorILNS1_17partition_subalgoE5ElNS0_10empty_typeEbEEZZNS1_14partition_implILS5_5ELb0ES3_mN6hipcub16HIPCUB_304000_NS21CountingInputIteratorIllEEPS6_NSA_22TransformInputIteratorIb7NonZeroIfEPflEENS0_5tupleIJPlS6_EEENSJ_IJSD_SD_EEES6_SK_JS6_EEE10hipError_tPvRmT3_T4_T5_T6_T7_T9_mT8_P12ihipStream_tbDpT10_ENKUlT_T0_E_clISt17integral_constantIbLb1EES15_IbLb0EEEEDaS11_S12_EUlS11_E_NS1_11comp_targetILNS1_3genE8ELNS1_11target_archE1030ELNS1_3gpuE2ELNS1_3repE0EEENS1_30default_config_static_selectorELNS0_4arch9wavefront6targetE1EEEvT1_.num_named_barrier, 0
	.set _ZN7rocprim17ROCPRIM_400000_NS6detail17trampoline_kernelINS0_14default_configENS1_25partition_config_selectorILNS1_17partition_subalgoE5ElNS0_10empty_typeEbEEZZNS1_14partition_implILS5_5ELb0ES3_mN6hipcub16HIPCUB_304000_NS21CountingInputIteratorIllEEPS6_NSA_22TransformInputIteratorIb7NonZeroIfEPflEENS0_5tupleIJPlS6_EEENSJ_IJSD_SD_EEES6_SK_JS6_EEE10hipError_tPvRmT3_T4_T5_T6_T7_T9_mT8_P12ihipStream_tbDpT10_ENKUlT_T0_E_clISt17integral_constantIbLb1EES15_IbLb0EEEEDaS11_S12_EUlS11_E_NS1_11comp_targetILNS1_3genE8ELNS1_11target_archE1030ELNS1_3gpuE2ELNS1_3repE0EEENS1_30default_config_static_selectorELNS0_4arch9wavefront6targetE1EEEvT1_.private_seg_size, 0
	.set _ZN7rocprim17ROCPRIM_400000_NS6detail17trampoline_kernelINS0_14default_configENS1_25partition_config_selectorILNS1_17partition_subalgoE5ElNS0_10empty_typeEbEEZZNS1_14partition_implILS5_5ELb0ES3_mN6hipcub16HIPCUB_304000_NS21CountingInputIteratorIllEEPS6_NSA_22TransformInputIteratorIb7NonZeroIfEPflEENS0_5tupleIJPlS6_EEENSJ_IJSD_SD_EEES6_SK_JS6_EEE10hipError_tPvRmT3_T4_T5_T6_T7_T9_mT8_P12ihipStream_tbDpT10_ENKUlT_T0_E_clISt17integral_constantIbLb1EES15_IbLb0EEEEDaS11_S12_EUlS11_E_NS1_11comp_targetILNS1_3genE8ELNS1_11target_archE1030ELNS1_3gpuE2ELNS1_3repE0EEENS1_30default_config_static_selectorELNS0_4arch9wavefront6targetE1EEEvT1_.uses_vcc, 0
	.set _ZN7rocprim17ROCPRIM_400000_NS6detail17trampoline_kernelINS0_14default_configENS1_25partition_config_selectorILNS1_17partition_subalgoE5ElNS0_10empty_typeEbEEZZNS1_14partition_implILS5_5ELb0ES3_mN6hipcub16HIPCUB_304000_NS21CountingInputIteratorIllEEPS6_NSA_22TransformInputIteratorIb7NonZeroIfEPflEENS0_5tupleIJPlS6_EEENSJ_IJSD_SD_EEES6_SK_JS6_EEE10hipError_tPvRmT3_T4_T5_T6_T7_T9_mT8_P12ihipStream_tbDpT10_ENKUlT_T0_E_clISt17integral_constantIbLb1EES15_IbLb0EEEEDaS11_S12_EUlS11_E_NS1_11comp_targetILNS1_3genE8ELNS1_11target_archE1030ELNS1_3gpuE2ELNS1_3repE0EEENS1_30default_config_static_selectorELNS0_4arch9wavefront6targetE1EEEvT1_.uses_flat_scratch, 0
	.set _ZN7rocprim17ROCPRIM_400000_NS6detail17trampoline_kernelINS0_14default_configENS1_25partition_config_selectorILNS1_17partition_subalgoE5ElNS0_10empty_typeEbEEZZNS1_14partition_implILS5_5ELb0ES3_mN6hipcub16HIPCUB_304000_NS21CountingInputIteratorIllEEPS6_NSA_22TransformInputIteratorIb7NonZeroIfEPflEENS0_5tupleIJPlS6_EEENSJ_IJSD_SD_EEES6_SK_JS6_EEE10hipError_tPvRmT3_T4_T5_T6_T7_T9_mT8_P12ihipStream_tbDpT10_ENKUlT_T0_E_clISt17integral_constantIbLb1EES15_IbLb0EEEEDaS11_S12_EUlS11_E_NS1_11comp_targetILNS1_3genE8ELNS1_11target_archE1030ELNS1_3gpuE2ELNS1_3repE0EEENS1_30default_config_static_selectorELNS0_4arch9wavefront6targetE1EEEvT1_.has_dyn_sized_stack, 0
	.set _ZN7rocprim17ROCPRIM_400000_NS6detail17trampoline_kernelINS0_14default_configENS1_25partition_config_selectorILNS1_17partition_subalgoE5ElNS0_10empty_typeEbEEZZNS1_14partition_implILS5_5ELb0ES3_mN6hipcub16HIPCUB_304000_NS21CountingInputIteratorIllEEPS6_NSA_22TransformInputIteratorIb7NonZeroIfEPflEENS0_5tupleIJPlS6_EEENSJ_IJSD_SD_EEES6_SK_JS6_EEE10hipError_tPvRmT3_T4_T5_T6_T7_T9_mT8_P12ihipStream_tbDpT10_ENKUlT_T0_E_clISt17integral_constantIbLb1EES15_IbLb0EEEEDaS11_S12_EUlS11_E_NS1_11comp_targetILNS1_3genE8ELNS1_11target_archE1030ELNS1_3gpuE2ELNS1_3repE0EEENS1_30default_config_static_selectorELNS0_4arch9wavefront6targetE1EEEvT1_.has_recursion, 0
	.set _ZN7rocprim17ROCPRIM_400000_NS6detail17trampoline_kernelINS0_14default_configENS1_25partition_config_selectorILNS1_17partition_subalgoE5ElNS0_10empty_typeEbEEZZNS1_14partition_implILS5_5ELb0ES3_mN6hipcub16HIPCUB_304000_NS21CountingInputIteratorIllEEPS6_NSA_22TransformInputIteratorIb7NonZeroIfEPflEENS0_5tupleIJPlS6_EEENSJ_IJSD_SD_EEES6_SK_JS6_EEE10hipError_tPvRmT3_T4_T5_T6_T7_T9_mT8_P12ihipStream_tbDpT10_ENKUlT_T0_E_clISt17integral_constantIbLb1EES15_IbLb0EEEEDaS11_S12_EUlS11_E_NS1_11comp_targetILNS1_3genE8ELNS1_11target_archE1030ELNS1_3gpuE2ELNS1_3repE0EEENS1_30default_config_static_selectorELNS0_4arch9wavefront6targetE1EEEvT1_.has_indirect_call, 0
	.section	.AMDGPU.csdata,"",@progbits
; Kernel info:
; codeLenInByte = 0
; TotalNumSgprs: 6
; NumVgprs: 0
; NumAgprs: 0
; TotalNumVgprs: 0
; ScratchSize: 0
; MemoryBound: 0
; FloatMode: 240
; IeeeMode: 1
; LDSByteSize: 0 bytes/workgroup (compile time only)
; SGPRBlocks: 0
; VGPRBlocks: 0
; NumSGPRsForWavesPerEU: 6
; NumVGPRsForWavesPerEU: 1
; AccumOffset: 4
; Occupancy: 8
; WaveLimiterHint : 0
; COMPUTE_PGM_RSRC2:SCRATCH_EN: 0
; COMPUTE_PGM_RSRC2:USER_SGPR: 2
; COMPUTE_PGM_RSRC2:TRAP_HANDLER: 0
; COMPUTE_PGM_RSRC2:TGID_X_EN: 1
; COMPUTE_PGM_RSRC2:TGID_Y_EN: 0
; COMPUTE_PGM_RSRC2:TGID_Z_EN: 0
; COMPUTE_PGM_RSRC2:TIDIG_COMP_CNT: 0
; COMPUTE_PGM_RSRC3_GFX90A:ACCUM_OFFSET: 0
; COMPUTE_PGM_RSRC3_GFX90A:TG_SPLIT: 0
	.section	.text._ZN7rocprim17ROCPRIM_400000_NS6detail17trampoline_kernelINS0_14default_configENS1_25partition_config_selectorILNS1_17partition_subalgoE5ElNS0_10empty_typeEbEEZZNS1_14partition_implILS5_5ELb0ES3_mN6hipcub16HIPCUB_304000_NS21CountingInputIteratorIllEEPS6_NSA_22TransformInputIteratorIb7NonZeroIfEPflEENS0_5tupleIJPlS6_EEENSJ_IJSD_SD_EEES6_SK_JS6_EEE10hipError_tPvRmT3_T4_T5_T6_T7_T9_mT8_P12ihipStream_tbDpT10_ENKUlT_T0_E_clISt17integral_constantIbLb0EES15_IbLb1EEEEDaS11_S12_EUlS11_E_NS1_11comp_targetILNS1_3genE0ELNS1_11target_archE4294967295ELNS1_3gpuE0ELNS1_3repE0EEENS1_30default_config_static_selectorELNS0_4arch9wavefront6targetE1EEEvT1_,"axG",@progbits,_ZN7rocprim17ROCPRIM_400000_NS6detail17trampoline_kernelINS0_14default_configENS1_25partition_config_selectorILNS1_17partition_subalgoE5ElNS0_10empty_typeEbEEZZNS1_14partition_implILS5_5ELb0ES3_mN6hipcub16HIPCUB_304000_NS21CountingInputIteratorIllEEPS6_NSA_22TransformInputIteratorIb7NonZeroIfEPflEENS0_5tupleIJPlS6_EEENSJ_IJSD_SD_EEES6_SK_JS6_EEE10hipError_tPvRmT3_T4_T5_T6_T7_T9_mT8_P12ihipStream_tbDpT10_ENKUlT_T0_E_clISt17integral_constantIbLb0EES15_IbLb1EEEEDaS11_S12_EUlS11_E_NS1_11comp_targetILNS1_3genE0ELNS1_11target_archE4294967295ELNS1_3gpuE0ELNS1_3repE0EEENS1_30default_config_static_selectorELNS0_4arch9wavefront6targetE1EEEvT1_,comdat
	.protected	_ZN7rocprim17ROCPRIM_400000_NS6detail17trampoline_kernelINS0_14default_configENS1_25partition_config_selectorILNS1_17partition_subalgoE5ElNS0_10empty_typeEbEEZZNS1_14partition_implILS5_5ELb0ES3_mN6hipcub16HIPCUB_304000_NS21CountingInputIteratorIllEEPS6_NSA_22TransformInputIteratorIb7NonZeroIfEPflEENS0_5tupleIJPlS6_EEENSJ_IJSD_SD_EEES6_SK_JS6_EEE10hipError_tPvRmT3_T4_T5_T6_T7_T9_mT8_P12ihipStream_tbDpT10_ENKUlT_T0_E_clISt17integral_constantIbLb0EES15_IbLb1EEEEDaS11_S12_EUlS11_E_NS1_11comp_targetILNS1_3genE0ELNS1_11target_archE4294967295ELNS1_3gpuE0ELNS1_3repE0EEENS1_30default_config_static_selectorELNS0_4arch9wavefront6targetE1EEEvT1_ ; -- Begin function _ZN7rocprim17ROCPRIM_400000_NS6detail17trampoline_kernelINS0_14default_configENS1_25partition_config_selectorILNS1_17partition_subalgoE5ElNS0_10empty_typeEbEEZZNS1_14partition_implILS5_5ELb0ES3_mN6hipcub16HIPCUB_304000_NS21CountingInputIteratorIllEEPS6_NSA_22TransformInputIteratorIb7NonZeroIfEPflEENS0_5tupleIJPlS6_EEENSJ_IJSD_SD_EEES6_SK_JS6_EEE10hipError_tPvRmT3_T4_T5_T6_T7_T9_mT8_P12ihipStream_tbDpT10_ENKUlT_T0_E_clISt17integral_constantIbLb0EES15_IbLb1EEEEDaS11_S12_EUlS11_E_NS1_11comp_targetILNS1_3genE0ELNS1_11target_archE4294967295ELNS1_3gpuE0ELNS1_3repE0EEENS1_30default_config_static_selectorELNS0_4arch9wavefront6targetE1EEEvT1_
	.globl	_ZN7rocprim17ROCPRIM_400000_NS6detail17trampoline_kernelINS0_14default_configENS1_25partition_config_selectorILNS1_17partition_subalgoE5ElNS0_10empty_typeEbEEZZNS1_14partition_implILS5_5ELb0ES3_mN6hipcub16HIPCUB_304000_NS21CountingInputIteratorIllEEPS6_NSA_22TransformInputIteratorIb7NonZeroIfEPflEENS0_5tupleIJPlS6_EEENSJ_IJSD_SD_EEES6_SK_JS6_EEE10hipError_tPvRmT3_T4_T5_T6_T7_T9_mT8_P12ihipStream_tbDpT10_ENKUlT_T0_E_clISt17integral_constantIbLb0EES15_IbLb1EEEEDaS11_S12_EUlS11_E_NS1_11comp_targetILNS1_3genE0ELNS1_11target_archE4294967295ELNS1_3gpuE0ELNS1_3repE0EEENS1_30default_config_static_selectorELNS0_4arch9wavefront6targetE1EEEvT1_
	.p2align	8
	.type	_ZN7rocprim17ROCPRIM_400000_NS6detail17trampoline_kernelINS0_14default_configENS1_25partition_config_selectorILNS1_17partition_subalgoE5ElNS0_10empty_typeEbEEZZNS1_14partition_implILS5_5ELb0ES3_mN6hipcub16HIPCUB_304000_NS21CountingInputIteratorIllEEPS6_NSA_22TransformInputIteratorIb7NonZeroIfEPflEENS0_5tupleIJPlS6_EEENSJ_IJSD_SD_EEES6_SK_JS6_EEE10hipError_tPvRmT3_T4_T5_T6_T7_T9_mT8_P12ihipStream_tbDpT10_ENKUlT_T0_E_clISt17integral_constantIbLb0EES15_IbLb1EEEEDaS11_S12_EUlS11_E_NS1_11comp_targetILNS1_3genE0ELNS1_11target_archE4294967295ELNS1_3gpuE0ELNS1_3repE0EEENS1_30default_config_static_selectorELNS0_4arch9wavefront6targetE1EEEvT1_,@function
_ZN7rocprim17ROCPRIM_400000_NS6detail17trampoline_kernelINS0_14default_configENS1_25partition_config_selectorILNS1_17partition_subalgoE5ElNS0_10empty_typeEbEEZZNS1_14partition_implILS5_5ELb0ES3_mN6hipcub16HIPCUB_304000_NS21CountingInputIteratorIllEEPS6_NSA_22TransformInputIteratorIb7NonZeroIfEPflEENS0_5tupleIJPlS6_EEENSJ_IJSD_SD_EEES6_SK_JS6_EEE10hipError_tPvRmT3_T4_T5_T6_T7_T9_mT8_P12ihipStream_tbDpT10_ENKUlT_T0_E_clISt17integral_constantIbLb0EES15_IbLb1EEEEDaS11_S12_EUlS11_E_NS1_11comp_targetILNS1_3genE0ELNS1_11target_archE4294967295ELNS1_3gpuE0ELNS1_3repE0EEENS1_30default_config_static_selectorELNS0_4arch9wavefront6targetE1EEEvT1_: ; @_ZN7rocprim17ROCPRIM_400000_NS6detail17trampoline_kernelINS0_14default_configENS1_25partition_config_selectorILNS1_17partition_subalgoE5ElNS0_10empty_typeEbEEZZNS1_14partition_implILS5_5ELb0ES3_mN6hipcub16HIPCUB_304000_NS21CountingInputIteratorIllEEPS6_NSA_22TransformInputIteratorIb7NonZeroIfEPflEENS0_5tupleIJPlS6_EEENSJ_IJSD_SD_EEES6_SK_JS6_EEE10hipError_tPvRmT3_T4_T5_T6_T7_T9_mT8_P12ihipStream_tbDpT10_ENKUlT_T0_E_clISt17integral_constantIbLb0EES15_IbLb1EEEEDaS11_S12_EUlS11_E_NS1_11comp_targetILNS1_3genE0ELNS1_11target_archE4294967295ELNS1_3gpuE0ELNS1_3repE0EEENS1_30default_config_static_selectorELNS0_4arch9wavefront6targetE1EEEvT1_
; %bb.0:
	s_load_dwordx2 s[2:3], s[0:1], 0x20
	s_load_dwordx4 s[12:15], s[0:1], 0x48
	s_load_dwordx2 s[8:9], s[0:1], 0x58
	s_load_dwordx2 s[20:21], s[0:1], 0x68
	v_cmp_eq_u32_e64 s[10:11], 0, v0
	s_and_saveexec_b64 s[4:5], s[10:11]
	s_cbranch_execz .LBB277_4
; %bb.1:
	s_mov_b64 s[16:17], exec
	v_mbcnt_lo_u32_b32 v1, s16, 0
	v_mbcnt_hi_u32_b32 v1, s17, v1
	v_cmp_eq_u32_e32 vcc, 0, v1
                                        ; implicit-def: $vgpr2
	s_and_saveexec_b64 s[6:7], vcc
	s_cbranch_execz .LBB277_3
; %bb.2:
	s_load_dwordx2 s[18:19], s[0:1], 0x78
	s_bcnt1_i32_b64 s16, s[16:17]
	v_mov_b32_e32 v2, 0
	v_mov_b32_e32 v3, s16
	s_waitcnt lgkmcnt(0)
	global_atomic_add v2, v2, v3, s[18:19] sc0
.LBB277_3:
	s_or_b64 exec, exec, s[6:7]
	s_waitcnt vmcnt(0)
	v_readfirstlane_b32 s6, v2
	v_mov_b32_e32 v2, 0
	s_nop 0
	v_add_u32_e32 v1, s6, v1
	ds_write_b32 v2, v1
.LBB277_4:
	s_or_b64 exec, exec, s[4:5]
	v_mov_b32_e32 v1, 0
	s_load_dwordx4 s[4:7], s[0:1], 0x8
	s_load_dwordx2 s[16:17], s[0:1], 0x30
	s_load_dword s18, s[0:1], 0x70
	s_waitcnt lgkmcnt(0)
	s_barrier
	ds_read_b32 v2, v1
	s_waitcnt lgkmcnt(0)
	s_barrier
	global_load_dwordx2 v[10:11], v1, s[14:15]
	s_add_u32 s22, s6, s4
	s_mul_i32 s0, s18, 0x380
	s_addc_u32 s23, s7, s5
	s_add_i32 s1, s0, s6
	s_add_i32 s14, s18, -1
	s_sub_i32 s25, s8, s1
	s_add_u32 s0, s6, s0
	v_readfirstlane_b32 s24, v2
	s_addc_u32 s1, s7, 0
	v_mov_b64_e32 v[2:3], s[0:1]
	s_cmp_eq_u32 s24, s14
	v_cmp_le_u64_e32 vcc, s[8:9], v[2:3]
	s_cselect_b64 s[14:15], -1, 0
	s_and_b64 s[8:9], vcc, s[14:15]
	s_xor_b64 s[18:19], s[8:9], -1
	s_mul_i32 s4, s24, 0x380
	s_mov_b32 s5, 0
	s_mov_b64 s[0:1], -1
	s_and_b64 vcc, exec, s[18:19]
	s_cbranch_vccz .LBB277_6
; %bb.5:
	s_add_u32 s0, s4, s22
	s_addc_u32 s1, 0, s23
	v_lshl_add_u64 v[2:3], s[0:1], 0, v[0:1]
	s_mov_b64 s[0:1], 0x80
	v_lshl_add_u64 v[4:5], v[2:3], 0, s[0:1]
	s_mov_b64 s[0:1], 0x100
	;; [unrolled: 2-line block ×6, first 2 shown]
	v_lshlrev_b32_e32 v1, 3, v0
	v_lshl_add_u64 v[16:17], v[2:3], 0, s[0:1]
	ds_write2st64_b64 v1, v[2:3], v[4:5] offset1:2
	ds_write2st64_b64 v1, v[6:7], v[8:9] offset0:4 offset1:6
	ds_write2st64_b64 v1, v[12:13], v[14:15] offset0:8 offset1:10
	ds_write_b64 v1, v[16:17] offset:6144
	s_waitcnt lgkmcnt(0)
	s_barrier
	s_mov_b64 s[0:1], 0
.LBB277_6:
	s_add_i32 s8, s25, 0x380
	s_andn2_b64 vcc, exec, s[0:1]
	v_cmp_gt_u32_e64 s[0:1], s8, v0
	s_cbranch_vccnz .LBB277_8
; %bb.7:
	s_add_u32 s22, s22, s4
	v_mov_b32_e32 v1, 0
	s_addc_u32 s23, s23, 0
	v_or_b32_e32 v4, 0x80, v0
	v_mov_b32_e32 v5, v1
	v_lshl_add_u64 v[6:7], s[22:23], 0, v[4:5]
	v_cmp_gt_u32_e32 vcc, s8, v4
	v_lshl_add_u64 v[2:3], s[22:23], 0, v[0:1]
	v_cndmask_b32_e64 v3, 0, v3, s[0:1]
	v_cndmask_b32_e32 v5, 0, v7, vcc
	v_cndmask_b32_e32 v4, 0, v6, vcc
	v_or_b32_e32 v6, 0x100, v0
	v_mov_b32_e32 v7, v1
	v_lshl_add_u64 v[8:9], s[22:23], 0, v[6:7]
	v_cmp_gt_u32_e32 vcc, s8, v6
	v_cndmask_b32_e64 v2, 0, v2, s[0:1]
	s_nop 0
	v_cndmask_b32_e32 v7, 0, v9, vcc
	v_cndmask_b32_e32 v6, 0, v8, vcc
	v_or_b32_e32 v8, 0x180, v0
	v_mov_b32_e32 v9, v1
	v_lshl_add_u64 v[12:13], s[22:23], 0, v[8:9]
	v_cmp_gt_u32_e32 vcc, s8, v8
	s_nop 1
	v_cndmask_b32_e32 v9, 0, v13, vcc
	v_cndmask_b32_e32 v8, 0, v12, vcc
	v_or_b32_e32 v12, 0x200, v0
	v_mov_b32_e32 v13, v1
	v_lshl_add_u64 v[14:15], s[22:23], 0, v[12:13]
	v_cmp_gt_u32_e32 vcc, s8, v12
	;; [unrolled: 7-line block ×4, first 2 shown]
	v_lshlrev_b32_e32 v1, 3, v0
	s_nop 0
	v_cndmask_b32_e32 v17, 0, v19, vcc
	v_cndmask_b32_e32 v16, 0, v18, vcc
	ds_write2st64_b64 v1, v[2:3], v[4:5] offset1:2
	ds_write2st64_b64 v1, v[6:7], v[8:9] offset0:4 offset1:6
	ds_write2st64_b64 v1, v[12:13], v[14:15] offset0:8 offset1:10
	ds_write_b64 v1, v[16:17] offset:6144
	s_waitcnt lgkmcnt(0)
	s_barrier
.LBB277_8:
	v_mul_u32_u24_e32 v1, 7, v0
	v_lshlrev_b32_e32 v3, 3, v1
	ds_read2_b64 v[68:71], v3 offset1:1
	ds_read2_b64 v[64:67], v3 offset0:2 offset1:3
	ds_read2_b64 v[60:63], v3 offset0:4 offset1:5
	ds_read_b64 v[12:13], v3 offset:48
	s_lshl_b64 s[0:1], s[6:7], 2
	s_add_u32 s2, s2, s0
	s_addc_u32 s3, s3, s1
	s_lshl_b64 s[0:1], s[4:5], 2
	s_add_u32 s0, s2, s0
	s_addc_u32 s1, s3, s1
	s_mov_b64 s[2:3], -1
	s_and_b64 vcc, exec, s[18:19]
	v_lshlrev_b32_e32 v4, 2, v0
	s_waitcnt lgkmcnt(0)
	s_barrier
	s_cbranch_vccz .LBB277_10
; %bb.9:
	global_load_dword v1, v4, s[0:1]
	global_load_dword v2, v4, s[0:1] offset:512
	global_load_dword v5, v4, s[0:1] offset:1024
	;; [unrolled: 1-line block ×6, first 2 shown]
	s_mov_b64 s[2:3], 0
	s_waitcnt vmcnt(6)
	v_cmp_neq_f32_e32 vcc, 0, v1
	s_nop 1
	v_cndmask_b32_e64 v1, 0, 1, vcc
	s_waitcnt vmcnt(5)
	v_cmp_neq_f32_e32 vcc, 0, v2
	s_nop 1
	v_cndmask_b32_e64 v2, 0, 1, vcc
	s_waitcnt vmcnt(4)
	v_cmp_neq_f32_e32 vcc, 0, v5
	s_nop 1
	v_cndmask_b32_e64 v5, 0, 1, vcc
	s_waitcnt vmcnt(3)
	v_cmp_neq_f32_e32 vcc, 0, v6
	s_nop 1
	v_cndmask_b32_e64 v6, 0, 1, vcc
	s_waitcnt vmcnt(2)
	v_cmp_neq_f32_e32 vcc, 0, v7
	s_nop 1
	v_cndmask_b32_e64 v7, 0, 1, vcc
	s_waitcnt vmcnt(1)
	v_cmp_neq_f32_e32 vcc, 0, v8
	s_nop 1
	v_cndmask_b32_e64 v8, 0, 1, vcc
	s_waitcnt vmcnt(0)
	v_cmp_neq_f32_e32 vcc, 0, v9
	s_nop 1
	v_cndmask_b32_e64 v9, 0, 1, vcc
	ds_write_b8 v0, v1
	ds_write_b8 v0, v2 offset:128
	ds_write_b8 v0, v5 offset:256
	;; [unrolled: 1-line block ×6, first 2 shown]
	s_waitcnt lgkmcnt(0)
	s_barrier
.LBB277_10:
	s_andn2_b64 vcc, exec, s[2:3]
	s_cbranch_vccnz .LBB277_26
; %bb.11:
	v_mov_b32_e32 v2, 0
	v_cmp_gt_u32_e32 vcc, s8, v0
	s_mov_b32 s4, 0
	v_mov_b32_e32 v1, v2
	v_mov_b32_e32 v5, v2
	s_and_saveexec_b64 s[2:3], vcc
	s_cbranch_execz .LBB277_13
; %bb.12:
	global_load_dword v1, v4, s[0:1]
	s_waitcnt vmcnt(0)
	v_cmp_neq_f32_e32 vcc, 0, v1
	s_nop 1
	v_cndmask_b32_e64 v2, 0, 1, vcc
	v_mov_b32_e32 v1, s4
	v_mov_b32_e32 v5, v2
.LBB277_13:
	s_or_b64 exec, exec, s[2:3]
	v_or_b32_e32 v6, 0x80, v0
	v_cmp_gt_u32_e32 vcc, s8, v6
	s_and_saveexec_b64 s[2:3], vcc
	s_cbranch_execz .LBB277_15
; %bb.14:
	global_load_dword v6, v4, s[0:1] offset:512
	v_mov_b32_e32 v8, 8
	v_lshrrev_b32_e32 v7, 16, v2
	s_mov_b32 s4, 0xc0c0304
	s_movk_i32 s5, 0xff
	v_lshrrev_b32_sdwa v8, v8, v1 dst_sel:BYTE_1 dst_unused:UNUSED_PAD src0_sel:DWORD src1_sel:DWORD
	v_bfe_u32 v9, v1, 16, 8
	v_perm_b32 v7, v7, v2, s4
	v_bitop3_b16 v1, v1, v8, s5 bitop3:0xec
	v_and_b32_e32 v1, 0xffff, v1
	v_lshl_or_b32 v1, v9, 16, v1
	s_waitcnt vmcnt(0)
	v_cmp_neq_f32_e32 vcc, 0, v6
	s_nop 1
	v_cndmask_b32_e64 v6, 0, 1, vcc
	v_lshlrev_b16_e32 v6, 8, v6
	v_bitop3_b16 v2, v2, v6, s5 bitop3:0xec
	v_and_b32_e32 v2, 0xffff, v2
	v_lshl_or_b32 v2, v7, 16, v2
.LBB277_15:
	s_or_b64 exec, exec, s[2:3]
	v_or_b32_e32 v6, 0x100, v0
	v_cmp_gt_u32_e32 vcc, s8, v6
	s_and_saveexec_b64 s[2:3], vcc
	s_cbranch_execz .LBB277_17
; %bb.16:
	global_load_dword v6, v4, s[0:1] offset:1024
	v_mov_b32_e32 v8, 8
	v_lshrrev_b32_e32 v7, 24, v2
	s_movk_i32 s5, 0xff
	v_lshrrev_b32_sdwa v8, v8, v1 dst_sel:BYTE_1 dst_unused:UNUSED_PAD src0_sel:DWORD src1_sel:DWORD
	s_mov_b32 s4, 0xc0c0104
	v_bfe_u32 v9, v1, 16, 8
	v_lshlrev_b16_e32 v7, 8, v7
	v_bitop3_b16 v1, v1, v8, s5 bitop3:0xec
	v_perm_b32 v2, v2, v2, s4
	v_and_b32_e32 v1, 0xffff, v1
	v_lshl_or_b32 v1, v9, 16, v1
	s_waitcnt vmcnt(0)
	v_cmp_neq_f32_e32 vcc, 0, v6
	s_nop 1
	v_cndmask_b32_e64 v6, 0, 1, vcc
	v_or_b32_sdwa v6, v6, v7 dst_sel:WORD_1 dst_unused:UNUSED_PAD src0_sel:DWORD src1_sel:DWORD
	s_nop 0
	v_or_b32_e32 v2, v2, v6
.LBB277_17:
	s_or_b64 exec, exec, s[2:3]
	v_or_b32_e32 v6, 0x180, v0
	v_cmp_gt_u32_e32 vcc, s8, v6
	s_and_saveexec_b64 s[2:3], vcc
	s_cbranch_execz .LBB277_19
; %bb.18:
	global_load_dword v6, v4, s[0:1] offset:1536
	v_mov_b32_e32 v8, 8
	v_lshrrev_b32_e32 v7, 16, v2
	s_movk_i32 s4, 0xff
	v_lshrrev_b32_sdwa v8, v8, v1 dst_sel:BYTE_1 dst_unused:UNUSED_PAD src0_sel:DWORD src1_sel:DWORD
	s_mov_b32 s5, 0xc0c0104
	v_bfe_u32 v9, v1, 16, 8
	v_bitop3_b16 v1, v1, v8, s4 bitop3:0xec
	v_perm_b32 v2, v2, v2, s5
	v_and_b32_e32 v1, 0xffff, v1
	v_lshl_or_b32 v1, v9, 16, v1
	s_waitcnt vmcnt(0)
	v_cmp_neq_f32_e32 vcc, 0, v6
	s_nop 1
	v_cndmask_b32_e64 v6, 0, 1, vcc
	v_lshlrev_b16_e32 v6, 8, v6
	v_bitop3_b16 v6, v7, v6, s4 bitop3:0xec
	v_lshlrev_b32_e32 v6, 16, v6
	v_or_b32_e32 v2, v2, v6
.LBB277_19:
	s_or_b64 exec, exec, s[2:3]
	v_or_b32_e32 v6, 0x200, v0
	v_cmp_gt_u32_e32 vcc, s8, v6
	s_and_saveexec_b64 s[2:3], vcc
	s_cbranch_execz .LBB277_21
; %bb.20:
	global_load_dword v6, v4, s[0:1] offset:2048
	v_mov_b32_e32 v7, 8
	v_bfe_u32 v8, v1, 16, 8
	v_lshrrev_b32_sdwa v1, v7, v1 dst_sel:BYTE_1 dst_unused:UNUSED_PAD src0_sel:DWORD src1_sel:DWORD
	s_mov_b32 s4, 0x3020104
	v_perm_b32 v2, v2, v2, s4
	s_waitcnt vmcnt(0)
	v_cmp_neq_f32_e32 vcc, 0, v6
	s_nop 1
	v_cndmask_b32_e64 v6, 0, 1, vcc
	v_or_b32_e32 v1, v6, v1
	v_and_b32_e32 v1, 0xffff, v1
	v_lshl_or_b32 v1, v8, 16, v1
.LBB277_21:
	s_or_b64 exec, exec, s[2:3]
	v_or_b32_e32 v6, 0x280, v0
	v_cmp_gt_u32_e32 vcc, s8, v6
	s_and_saveexec_b64 s[2:3], vcc
	s_cbranch_execz .LBB277_23
; %bb.22:
	global_load_dword v6, v4, s[0:1] offset:2560
	s_movk_i32 s4, 0xff
	v_bfe_u32 v7, v1, 16, 8
	s_mov_b32 s5, 0x3020104
	v_perm_b32 v2, v2, v2, s5
	s_waitcnt vmcnt(0)
	v_cmp_neq_f32_e32 vcc, 0, v6
	s_nop 1
	v_cndmask_b32_e64 v6, 0, 1, vcc
	v_lshlrev_b16_e32 v6, 8, v6
	v_bitop3_b16 v1, v1, v6, s4 bitop3:0xec
	v_and_b32_e32 v1, 0xffff, v1
	v_lshl_or_b32 v1, v7, 16, v1
.LBB277_23:
	s_or_b64 exec, exec, s[2:3]
	v_or_b32_e32 v6, 0x300, v0
	v_cmp_gt_u32_e32 vcc, s8, v6
	s_and_saveexec_b64 s[2:3], vcc
	s_cbranch_execz .LBB277_25
; %bb.24:
	global_load_dword v4, v4, s[0:1] offset:3072
	v_mov_b32_e32 v6, 8
	s_movk_i32 s0, 0xff
	v_lshrrev_b32_sdwa v6, v6, v1 dst_sel:BYTE_1 dst_unused:UNUSED_PAD src0_sel:DWORD src1_sel:DWORD
	s_mov_b32 s1, 0x3020104
	v_bitop3_b16 v1, v1, v6, s0 bitop3:0xec
	v_and_b32_e32 v1, 0xffff, v1
	v_perm_b32 v2, v2, v2, s1
	s_waitcnt vmcnt(0)
	v_cmp_neq_f32_e32 vcc, 0, v4
	s_nop 1
	v_cndmask_b32_e64 v4, 0, 1, vcc
	v_lshl_or_b32 v1, v4, 16, v1
.LBB277_25:
	s_or_b64 exec, exec, s[2:3]
	v_lshrrev_b32_e32 v4, 8, v2
	ds_write_b8 v0, v5
	ds_write_b8 v0, v4 offset:128
	ds_write_b8_d16_hi v0, v2 offset:256
	v_lshrrev_b32_e32 v2, 24, v2
	ds_write_b8 v0, v2 offset:384
	ds_write_b8 v0, v1 offset:512
	v_lshrrev_b32_e32 v2, 8, v1
	ds_write_b8 v0, v2 offset:640
	ds_write_b8_d16_hi v0, v1 offset:768
	s_waitcnt lgkmcnt(0)
	s_barrier
.LBB277_26:
	s_movk_i32 s0, 0xffcf
	v_mad_i32_i24 v1, v0, s0, v3
	ds_read_u8 v2, v1
	ds_read_u8 v3, v1 offset:1
	ds_read_u8 v4, v1 offset:2
	;; [unrolled: 1-line block ×6, first 2 shown]
	s_waitcnt lgkmcnt(6)
	v_and_b32_e32 v26, 1, v2
	v_mov_b32_e32 v27, 0
	s_waitcnt lgkmcnt(5)
	v_and_b32_e32 v24, 1, v3
	s_waitcnt lgkmcnt(4)
	v_and_b32_e32 v22, 1, v4
	;; [unrolled: 2-line block ×3, first 2 shown]
	v_mov_b32_e32 v21, v27
	v_add3_u32 v2, v24, v26, v22
	v_mov_b32_e32 v3, v27
	s_waitcnt lgkmcnt(2)
	v_and_b32_e32 v18, 1, v6
	v_mov_b32_e32 v19, v27
	v_lshl_add_u64 v[2:3], v[2:3], 0, v[20:21]
	s_waitcnt lgkmcnt(1)
	v_and_b32_e32 v16, 1, v7
	v_mov_b32_e32 v17, v27
	v_lshl_add_u64 v[2:3], v[2:3], 0, v[18:19]
	;; [unrolled: 4-line block ×3, first 2 shown]
	v_lshl_add_u64 v[28:29], v[2:3], 0, v[14:15]
	v_mbcnt_lo_u32_b32 v2, -1, 0
	v_mbcnt_hi_u32_b32 v15, -1, v2
	v_and_b32_e32 v41, 15, v15
	s_cmp_lg_u32 s24, 0
	v_mov_b32_e32 v25, v27
	v_mov_b32_e32 v23, v27
	v_cmp_eq_u32_e64 s[4:5], 0, v41
	v_cmp_lt_u32_e64 s[2:3], 1, v41
	v_cmp_lt_u32_e64 s[0:1], 3, v41
	;; [unrolled: 1-line block ×3, first 2 shown]
	v_and_b32_e32 v40, 16, v15
	v_cmp_eq_u32_e64 s[6:7], 0, v15
	v_cmp_ne_u32_e32 vcc, 0, v15
	s_barrier
	s_cbranch_scc0 .LBB277_54
; %bb.27:
	v_mov_b32_dpp v2, v28 row_shr:1 row_mask:0xf bank_mask:0xf
	v_mov_b32_e32 v3, v27
	v_mov_b32_dpp v5, v27 row_shr:1 row_mask:0xf bank_mask:0xf
	v_mov_b32_e32 v4, v27
	v_lshl_add_u64 v[2:3], v[28:29], 0, v[2:3]
	v_lshl_add_u64 v[4:5], v[4:5], 0, v[2:3]
	v_cndmask_b32_e64 v6, v5, 0, s[4:5]
	v_cndmask_b32_e64 v7, v2, v28, s[4:5]
	v_cndmask_b32_e64 v3, v5, v29, s[4:5]
	v_cndmask_b32_e64 v2, v4, v28, s[4:5]
	v_mov_b32_dpp v4, v7 row_shr:2 row_mask:0xf bank_mask:0xf
	v_mov_b32_dpp v5, v6 row_shr:2 row_mask:0xf bank_mask:0xf
	v_lshl_add_u64 v[4:5], v[4:5], 0, v[2:3]
	v_cndmask_b32_e64 v6, v6, v5, s[2:3]
	v_cndmask_b32_e64 v7, v7, v4, s[2:3]
	v_cndmask_b32_e64 v3, v3, v5, s[2:3]
	v_cndmask_b32_e64 v2, v2, v4, s[2:3]
	v_mov_b32_dpp v4, v7 row_shr:4 row_mask:0xf bank_mask:0xf
	v_mov_b32_dpp v5, v6 row_shr:4 row_mask:0xf bank_mask:0xf
	v_lshl_add_u64 v[4:5], v[4:5], 0, v[2:3]
	v_cndmask_b32_e64 v6, v6, v5, s[0:1]
	v_cndmask_b32_e64 v7, v7, v4, s[0:1]
	v_cndmask_b32_e64 v3, v3, v5, s[0:1]
	v_cndmask_b32_e64 v2, v2, v4, s[0:1]
	v_mov_b32_dpp v4, v7 row_shr:8 row_mask:0xf bank_mask:0xf
	v_mov_b32_dpp v5, v6 row_shr:8 row_mask:0xf bank_mask:0xf
	v_lshl_add_u64 v[4:5], v[4:5], 0, v[2:3]
	v_cndmask_b32_e64 v8, v6, v5, s[8:9]
	v_cndmask_b32_e64 v9, v7, v4, s[8:9]
	;; [unrolled: 1-line block ×4, first 2 shown]
	v_mov_b32_dpp v2, v9 row_bcast:15 row_mask:0xf bank_mask:0xf
	v_mov_b32_dpp v3, v8 row_bcast:15 row_mask:0xf bank_mask:0xf
	v_lshl_add_u64 v[6:7], v[2:3], 0, v[4:5]
	v_cmp_eq_u32_e64 s[0:1], 0, v40
	s_nop 1
	v_cndmask_b32_e64 v2, v7, v8, s[0:1]
	v_cndmask_b32_e64 v3, v6, v9, s[0:1]
	s_nop 0
	v_mov_b32_dpp v9, v2 row_bcast:31 row_mask:0xf bank_mask:0xf
	v_mov_b32_dpp v8, v3 row_bcast:31 row_mask:0xf bank_mask:0xf
	v_mov_b64_e32 v[2:3], v[28:29]
	s_and_saveexec_b64 s[8:9], vcc
; %bb.28:
	v_cmp_lt_u32_e32 vcc, 31, v15
	v_cndmask_b32_e64 v3, v7, v5, s[0:1]
	v_cndmask_b32_e64 v2, v6, v4, s[0:1]
	v_cndmask_b32_e32 v5, 0, v9, vcc
	v_cndmask_b32_e32 v4, 0, v8, vcc
	v_lshl_add_u64 v[2:3], v[4:5], 0, v[2:3]
; %bb.29:
	s_or_b64 exec, exec, s[8:9]
	v_or_b32_e32 v5, 63, v0
	v_lshrrev_b32_e32 v4, 6, v0
	v_cmp_eq_u32_e32 vcc, v0, v5
	s_and_saveexec_b64 s[0:1], vcc
; %bb.30:
	v_lshlrev_b32_e32 v5, 3, v4
	ds_write_b64 v5, v[2:3]
; %bb.31:
	s_or_b64 exec, exec, s[0:1]
	v_cmp_gt_u32_e32 vcc, 2, v0
	s_waitcnt lgkmcnt(0)
	s_barrier
	s_and_saveexec_b64 s[0:1], vcc
	s_cbranch_execz .LBB277_33
; %bb.32:
	v_lshlrev_b32_e32 v5, 3, v0
	ds_read_b64 v[6:7], v5
	v_and_b32_e32 v8, 1, v15
	v_cmp_eq_u32_e32 vcc, 1, v8
	s_waitcnt lgkmcnt(0)
	v_mov_b32_dpp v30, v6 row_shr:1 row_mask:0xf bank_mask:0xf
	v_mov_b32_dpp v9, v7 row_shr:1 row_mask:0xf bank_mask:0xf
	v_cndmask_b32_e32 v9, 0, v9, vcc
	v_cndmask_b32_e32 v8, 0, v30, vcc
	v_lshl_add_u64 v[6:7], v[8:9], 0, v[6:7]
	ds_write_b64 v5, v[6:7]
.LBB277_33:
	s_or_b64 exec, exec, s[0:1]
	v_cmp_gt_u32_e32 vcc, 64, v0
	v_cmp_lt_u32_e64 s[0:1], 63, v0
	s_waitcnt lgkmcnt(0)
	s_barrier
                                        ; implicit-def: $vgpr30_vgpr31
	s_and_saveexec_b64 s[8:9], s[0:1]
	s_cbranch_execz .LBB277_35
; %bb.34:
	v_lshl_add_u32 v4, v4, 3, -8
	ds_read_b64 v[30:31], v4
	s_waitcnt lgkmcnt(0)
	v_lshl_add_u64 v[2:3], v[30:31], 0, v[2:3]
.LBB277_35:
	s_or_b64 exec, exec, s[8:9]
	v_add_u32_e32 v4, -1, v15
	v_and_b32_e32 v5, 64, v15
	v_cmp_lt_i32_e64 s[0:1], v4, v5
	s_nop 1
	v_cndmask_b32_e64 v4, v4, v15, s[0:1]
	v_lshlrev_b32_e32 v4, 2, v4
	ds_bpermute_b32 v42, v4, v2
	ds_bpermute_b32 v43, v4, v3
	s_and_saveexec_b64 s[22:23], vcc
	s_cbranch_execz .LBB277_59
; %bb.36:
	v_mov_b32_e32 v5, 0
	ds_read_b64 v[2:3], v5 offset:8
	s_and_saveexec_b64 s[0:1], s[6:7]
	s_cbranch_execz .LBB277_38
; %bb.37:
	s_add_i32 s8, s24, 64
	s_mov_b32 s9, 0
	s_lshl_b64 s[8:9], s[8:9], 4
	s_add_u32 s8, s20, s8
	s_addc_u32 s9, s21, s9
	v_mov_b32_e32 v4, 1
	v_mov_b64_e32 v[6:7], s[8:9]
	s_waitcnt lgkmcnt(0)
	;;#ASMSTART
	global_store_dwordx4 v[6:7], v[2:5] off sc1	
s_waitcnt vmcnt(0)
	;;#ASMEND
.LBB277_38:
	s_or_b64 exec, exec, s[0:1]
	v_xad_u32 v32, v15, -1, s24
	v_add_u32_e32 v4, 64, v32
	v_lshl_add_u64 v[34:35], v[4:5], 4, s[20:21]
	;;#ASMSTART
	global_load_dwordx4 v[6:9], v[34:35] off sc1	
s_waitcnt vmcnt(0)
	;;#ASMEND
	s_nop 0
	v_cmp_eq_u16_sdwa s[8:9], v8, v5 src0_sel:BYTE_0 src1_sel:DWORD
	s_and_saveexec_b64 s[0:1], s[8:9]
	s_cbranch_execz .LBB277_42
; %bb.39:
	s_mov_b64 s[8:9], 0
	v_mov_b32_e32 v4, 0
.LBB277_40:                             ; =>This Inner Loop Header: Depth=1
	;;#ASMSTART
	global_load_dwordx4 v[6:9], v[34:35] off sc1	
s_waitcnt vmcnt(0)
	;;#ASMEND
	s_nop 0
	v_cmp_ne_u16_sdwa s[26:27], v8, v4 src0_sel:BYTE_0 src1_sel:DWORD
	s_or_b64 s[8:9], s[26:27], s[8:9]
	s_andn2_b64 exec, exec, s[8:9]
	s_cbranch_execnz .LBB277_40
; %bb.41:
	s_or_b64 exec, exec, s[8:9]
.LBB277_42:
	s_or_b64 exec, exec, s[0:1]
	v_mov_b32_e32 v44, 2
	v_cmp_eq_u16_sdwa s[0:1], v8, v44 src0_sel:BYTE_0 src1_sel:DWORD
	v_lshlrev_b64 v[34:35], v15, -1
	v_and_b32_e32 v45, 63, v15
	v_and_b32_e32 v4, s1, v35
	v_or_b32_e32 v4, 0x80000000, v4
	v_and_b32_e32 v5, s0, v34
	v_ffbl_b32_e32 v4, v4
	v_add_u32_e32 v4, 32, v4
	v_ffbl_b32_e32 v5, v5
	v_cmp_ne_u32_e32 vcc, 63, v45
	v_min_u32_e32 v9, v5, v4
	v_mov_b32_e32 v33, 0
	v_addc_co_u32_e32 v4, vcc, 0, v15, vcc
	v_lshlrev_b32_e32 v46, 2, v4
	ds_bpermute_b32 v4, v46, v6
	ds_bpermute_b32 v37, v46, v7
	v_mov_b32_e32 v5, v33
	v_mov_b32_e32 v36, v33
	v_cmp_lt_u32_e64 s[0:1], v45, v9
	s_waitcnt lgkmcnt(1)
	v_lshl_add_u64 v[4:5], v[6:7], 0, v[4:5]
	v_cmp_gt_u32_e32 vcc, 62, v45
	s_waitcnt lgkmcnt(0)
	v_lshl_add_u64 v[36:37], v[36:37], 0, v[4:5]
	v_cndmask_b32_e64 v49, v6, v4, s[0:1]
	v_cndmask_b32_e64 v4, 0, 2, vcc
	v_cndmask_b32_e64 v5, v7, v37, s[0:1]
	v_add_lshl_u32 v47, v4, v15, 2
	ds_bpermute_b32 v38, v47, v49
	ds_bpermute_b32 v39, v47, v5
	v_cndmask_b32_e64 v4, v6, v36, s[0:1]
	v_add_u32_e32 v48, 2, v45
	v_cmp_gt_u32_e32 vcc, v48, v9
	v_cmp_gt_u32_e64 s[8:9], 60, v45
	s_waitcnt lgkmcnt(0)
	v_lshl_add_u64 v[36:37], v[38:39], 0, v[4:5]
	v_cndmask_b32_e32 v5, v37, v5, vcc
	v_cndmask_b32_e64 v37, 0, 4, s[8:9]
	v_cndmask_b32_e32 v51, v36, v49, vcc
	v_add_lshl_u32 v49, v37, v15, 2
	ds_bpermute_b32 v38, v49, v51
	ds_bpermute_b32 v39, v49, v5
	v_cndmask_b32_e32 v4, v36, v4, vcc
	v_add_u32_e32 v50, 4, v45
	v_cmp_gt_u32_e32 vcc, v50, v9
	v_cmp_gt_u32_e64 s[8:9], 56, v45
	s_waitcnt lgkmcnt(0)
	v_lshl_add_u64 v[36:37], v[38:39], 0, v[4:5]
	v_cndmask_b32_e32 v5, v37, v5, vcc
	v_cndmask_b32_e64 v37, 0, 8, s[8:9]
	v_cndmask_b32_e32 v53, v36, v51, vcc
	v_add_lshl_u32 v51, v37, v15, 2
	ds_bpermute_b32 v38, v51, v53
	ds_bpermute_b32 v39, v51, v5
	v_cndmask_b32_e32 v4, v36, v4, vcc
	v_add_u32_e32 v52, 8, v45
	v_cmp_gt_u32_e32 vcc, v52, v9
	v_cmp_gt_u32_e64 s[8:9], 48, v45
	s_waitcnt lgkmcnt(0)
	v_lshl_add_u64 v[36:37], v[38:39], 0, v[4:5]
	v_cndmask_b32_e32 v5, v37, v5, vcc
	v_cndmask_b32_e64 v37, 0, 16, s[8:9]
	v_cndmask_b32_e32 v55, v36, v53, vcc
	v_add_lshl_u32 v53, v37, v15, 2
	ds_bpermute_b32 v38, v53, v55
	ds_bpermute_b32 v39, v53, v5
	v_cndmask_b32_e32 v4, v36, v4, vcc
	v_add_u32_e32 v54, 16, v45
	v_cmp_gt_u32_e32 vcc, v54, v9
	v_add_u32_e32 v56, 32, v45
	s_waitcnt lgkmcnt(0)
	v_lshl_add_u64 v[36:37], v[38:39], 0, v[4:5]
	v_cndmask_b32_e32 v38, v36, v55, vcc
	v_mov_b32_e32 v55, 0x80
	v_cndmask_b32_e32 v39, v37, v5, vcc
	v_lshl_or_b32 v55, v15, 2, v55
	ds_bpermute_b32 v38, v55, v38
	ds_bpermute_b32 v39, v55, v39
	s_and_saveexec_b64 s[8:9], s[0:1]
	s_cbranch_execz .LBB277_44
; %bb.43:
	v_cndmask_b32_e32 v5, v37, v5, vcc
	v_cndmask_b32_e32 v4, v36, v4, vcc
	v_cmp_le_u32_e32 vcc, v56, v9
	s_waitcnt lgkmcnt(0)
	s_nop 0
	v_cndmask_b32_e32 v7, 0, v39, vcc
	v_cndmask_b32_e32 v6, 0, v38, vcc
	v_lshl_add_u64 v[6:7], v[6:7], 0, v[4:5]
.LBB277_44:
	s_or_b64 exec, exec, s[8:9]
	s_branch .LBB277_47
.LBB277_45:                             ;   in Loop: Header=BB277_47 Depth=1
	s_or_b64 exec, exec, s[8:9]
	v_subrev_u32_e32 v32, 64, v32
	v_lshl_add_u64 v[6:7], v[6:7], 0, v[4:5]
	s_mov_b64 s[0:1], 0
.LBB277_46:                             ;   in Loop: Header=BB277_47 Depth=1
	s_and_b64 vcc, exec, s[0:1]
	s_cbranch_vccnz .LBB277_55
.LBB277_47:                             ; =>This Loop Header: Depth=1
                                        ;     Child Loop BB277_50 Depth 2
	v_cmp_ne_u16_sdwa s[0:1], v8, v44 src0_sel:BYTE_0 src1_sel:DWORD
	v_mov_b64_e32 v[4:5], v[6:7]
	s_cmp_lg_u64 s[0:1], exec
	s_mov_b64 s[0:1], -1
                                        ; implicit-def: $vgpr6_vgpr7
	s_cbranch_scc1 .LBB277_46
; %bb.48:                               ;   in Loop: Header=BB277_47 Depth=1
	v_lshl_add_u64 v[36:37], v[32:33], 4, s[20:21]
	;;#ASMSTART
	global_load_dwordx4 v[6:9], v[36:37] off sc1	
s_waitcnt vmcnt(0)
	;;#ASMEND
	s_nop 0
	v_cmp_eq_u16_sdwa s[8:9], v8, v33 src0_sel:BYTE_0 src1_sel:DWORD
	s_and_saveexec_b64 s[0:1], s[8:9]
	s_cbranch_execz .LBB277_52
; %bb.49:                               ;   in Loop: Header=BB277_47 Depth=1
	s_mov_b64 s[8:9], 0
.LBB277_50:                             ;   Parent Loop BB277_47 Depth=1
                                        ; =>  This Inner Loop Header: Depth=2
	;;#ASMSTART
	global_load_dwordx4 v[6:9], v[36:37] off sc1	
s_waitcnt vmcnt(0)
	;;#ASMEND
	s_nop 0
	v_cmp_ne_u16_sdwa s[26:27], v8, v33 src0_sel:BYTE_0 src1_sel:DWORD
	s_or_b64 s[8:9], s[26:27], s[8:9]
	s_andn2_b64 exec, exec, s[8:9]
	s_cbranch_execnz .LBB277_50
; %bb.51:                               ;   in Loop: Header=BB277_47 Depth=1
	s_or_b64 exec, exec, s[8:9]
.LBB277_52:                             ;   in Loop: Header=BB277_47 Depth=1
	s_or_b64 exec, exec, s[0:1]
	v_cmp_eq_u16_sdwa s[0:1], v8, v44 src0_sel:BYTE_0 src1_sel:DWORD
	s_waitcnt lgkmcnt(0)
	ds_bpermute_b32 v39, v46, v7
	v_mov_b32_e32 v38, v33
	v_and_b32_e32 v36, s0, v34
	v_and_b32_e32 v9, s1, v35
	v_ffbl_b32_e32 v37, v36
	ds_bpermute_b32 v36, v46, v6
	v_or_b32_e32 v9, 0x80000000, v9
	v_ffbl_b32_e32 v9, v9
	v_add_u32_e32 v9, 32, v9
	v_min_u32_e32 v9, v37, v9
	v_mov_b32_e32 v37, v33
	s_waitcnt lgkmcnt(0)
	v_lshl_add_u64 v[36:37], v[6:7], 0, v[36:37]
	v_lshl_add_u64 v[38:39], v[38:39], 0, v[36:37]
	v_cmp_lt_u32_e64 s[0:1], v45, v9
	v_cmp_gt_u32_e32 vcc, v48, v9
	s_nop 0
	v_cndmask_b32_e64 v57, v6, v36, s[0:1]
	v_cndmask_b32_e64 v37, v7, v39, s[0:1]
	ds_bpermute_b32 v58, v47, v57
	ds_bpermute_b32 v59, v47, v37
	v_cndmask_b32_e64 v36, v6, v38, s[0:1]
	s_waitcnt lgkmcnt(0)
	v_lshl_add_u64 v[38:39], v[58:59], 0, v[36:37]
	v_cndmask_b32_e32 v57, v38, v57, vcc
	v_cndmask_b32_e32 v37, v39, v37, vcc
	ds_bpermute_b32 v58, v49, v57
	ds_bpermute_b32 v59, v49, v37
	v_cndmask_b32_e32 v36, v38, v36, vcc
	v_cmp_gt_u32_e32 vcc, v50, v9
	s_waitcnt lgkmcnt(0)
	v_lshl_add_u64 v[38:39], v[58:59], 0, v[36:37]
	v_cndmask_b32_e32 v57, v38, v57, vcc
	v_cndmask_b32_e32 v37, v39, v37, vcc
	ds_bpermute_b32 v58, v51, v57
	ds_bpermute_b32 v59, v51, v37
	v_cndmask_b32_e32 v36, v38, v36, vcc
	v_cmp_gt_u32_e32 vcc, v52, v9
	;; [unrolled: 8-line block ×3, first 2 shown]
	s_waitcnt lgkmcnt(0)
	v_lshl_add_u64 v[38:39], v[58:59], 0, v[36:37]
	v_cndmask_b32_e32 v58, v39, v37, vcc
	v_cndmask_b32_e32 v57, v38, v57, vcc
	ds_bpermute_b32 v57, v55, v57
	ds_bpermute_b32 v58, v55, v58
	s_and_saveexec_b64 s[8:9], s[0:1]
	s_cbranch_execz .LBB277_45
; %bb.53:                               ;   in Loop: Header=BB277_47 Depth=1
	v_cndmask_b32_e32 v7, v39, v37, vcc
	v_cndmask_b32_e32 v6, v38, v36, vcc
	v_cmp_le_u32_e32 vcc, v56, v9
	s_waitcnt lgkmcnt(0)
	s_nop 0
	v_cndmask_b32_e32 v37, 0, v58, vcc
	v_cndmask_b32_e32 v36, 0, v57, vcc
	v_lshl_add_u64 v[6:7], v[36:37], 0, v[6:7]
	s_branch .LBB277_45
.LBB277_54:
                                        ; implicit-def: $vgpr6_vgpr7
                                        ; implicit-def: $vgpr8_vgpr9
                                        ; implicit-def: $vgpr30_vgpr31
                                        ; implicit-def: $vgpr32_vgpr33
                                        ; implicit-def: $vgpr34_vgpr35
                                        ; implicit-def: $vgpr36_vgpr37
                                        ; implicit-def: $vgpr38_vgpr39
                                        ; implicit-def: $vgpr4_vgpr5
	s_cbranch_execnz .LBB277_60
	s_branch .LBB277_71
.LBB277_55:
	s_and_saveexec_b64 s[0:1], s[6:7]
	s_cbranch_execz .LBB277_57
; %bb.56:
	s_add_i32 s8, s24, 64
	s_mov_b32 s9, 0
	s_lshl_b64 s[8:9], s[8:9], 4
	s_add_u32 s8, s20, s8
	s_addc_u32 s9, s21, s9
	v_lshl_add_u64 v[6:7], v[4:5], 0, v[2:3]
	v_mov_b32_e32 v8, 2
	v_mov_b32_e32 v9, 0
	v_mov_b64_e32 v[32:33], s[8:9]
	;;#ASMSTART
	global_store_dwordx4 v[32:33], v[6:9] off sc1	
s_waitcnt vmcnt(0)
	;;#ASMEND
	ds_write_b128 v9, v[2:5] offset:7168
.LBB277_57:
	s_or_b64 exec, exec, s[0:1]
	s_and_b64 exec, exec, s[10:11]
; %bb.58:
	v_mov_b32_e32 v2, 0
	ds_write_b64 v2, v[4:5] offset:8
.LBB277_59:
	s_or_b64 exec, exec, s[22:23]
	v_mov_b32_e32 v6, 0
	s_waitcnt lgkmcnt(0)
	s_barrier
	ds_read_b64 v[2:3], v6 offset:8
	v_cndmask_b32_e64 v4, v42, v30, s[6:7]
	v_cndmask_b32_e64 v5, v43, v31, s[6:7]
	;; [unrolled: 1-line block ×4, first 2 shown]
	s_waitcnt lgkmcnt(0)
	v_lshl_add_u64 v[38:39], v[2:3], 0, v[4:5]
	v_lshl_add_u64 v[36:37], v[38:39], 0, v[26:27]
	;; [unrolled: 1-line block ×3, first 2 shown]
	s_barrier
	ds_read_b128 v[2:5], v6 offset:7168
	v_lshl_add_u64 v[32:33], v[34:35], 0, v[22:23]
	v_lshl_add_u64 v[30:31], v[32:33], 0, v[20:21]
	;; [unrolled: 1-line block ×4, first 2 shown]
	s_branch .LBB277_71
.LBB277_60:
	s_waitcnt lgkmcnt(0)
	v_mov_b32_e32 v4, 0
	v_mov_b32_dpp v2, v28 row_shr:1 row_mask:0xf bank_mask:0xf
	v_mov_b32_e32 v3, v4
	v_mov_b32_dpp v5, v4 row_shr:1 row_mask:0xf bank_mask:0xf
	v_lshl_add_u64 v[2:3], v[28:29], 0, v[2:3]
	v_lshl_add_u64 v[4:5], v[4:5], 0, v[2:3]
	v_cndmask_b32_e64 v6, v5, 0, s[4:5]
	v_cndmask_b32_e64 v7, v2, v28, s[4:5]
	;; [unrolled: 1-line block ×4, first 2 shown]
	v_mov_b32_dpp v4, v7 row_shr:2 row_mask:0xf bank_mask:0xf
	v_mov_b32_dpp v5, v6 row_shr:2 row_mask:0xf bank_mask:0xf
	v_lshl_add_u64 v[4:5], v[4:5], 0, v[2:3]
	v_cndmask_b32_e64 v6, v6, v5, s[2:3]
	v_cndmask_b32_e64 v7, v7, v4, s[2:3]
	;; [unrolled: 1-line block ×4, first 2 shown]
	v_mov_b32_dpp v4, v7 row_shr:4 row_mask:0xf bank_mask:0xf
	v_mov_b32_dpp v5, v6 row_shr:4 row_mask:0xf bank_mask:0xf
	v_lshl_add_u64 v[4:5], v[4:5], 0, v[2:3]
	v_cmp_lt_u32_e32 vcc, 3, v41
	v_cmp_eq_u32_e64 s[0:1], 0, v40
	v_cmp_ne_u32_e64 s[2:3], 0, v15
	v_cndmask_b32_e32 v6, v6, v5, vcc
	v_cndmask_b32_e32 v7, v7, v4, vcc
	;; [unrolled: 1-line block ×4, first 2 shown]
	v_mov_b32_dpp v4, v7 row_shr:8 row_mask:0xf bank_mask:0xf
	v_mov_b32_dpp v5, v6 row_shr:8 row_mask:0xf bank_mask:0xf
	v_lshl_add_u64 v[4:5], v[4:5], 0, v[2:3]
	v_cmp_lt_u32_e32 vcc, 7, v41
	s_nop 1
	v_cndmask_b32_e32 v6, v6, v5, vcc
	v_cndmask_b32_e32 v7, v7, v4, vcc
	;; [unrolled: 1-line block ×4, first 2 shown]
	v_mov_b32_dpp v4, v7 row_bcast:15 row_mask:0xf bank_mask:0xf
	v_mov_b32_dpp v5, v6 row_bcast:15 row_mask:0xf bank_mask:0xf
	v_lshl_add_u64 v[4:5], v[4:5], 0, v[2:3]
	v_cndmask_b32_e64 v8, v5, v6, s[0:1]
	v_cndmask_b32_e64 v6, v4, v7, s[0:1]
	v_cmp_eq_u32_e32 vcc, 0, v15
	v_mov_b32_dpp v7, v8 row_bcast:31 row_mask:0xf bank_mask:0xf
	v_mov_b32_dpp v6, v6 row_bcast:31 row_mask:0xf bank_mask:0xf
	s_and_saveexec_b64 s[4:5], s[2:3]
; %bb.61:
	v_cndmask_b32_e64 v3, v5, v3, s[0:1]
	v_cndmask_b32_e64 v2, v4, v2, s[0:1]
	v_cmp_lt_u32_e64 s[0:1], 31, v15
	s_nop 1
	v_cndmask_b32_e64 v5, 0, v7, s[0:1]
	v_cndmask_b32_e64 v4, 0, v6, s[0:1]
	v_lshl_add_u64 v[28:29], v[4:5], 0, v[2:3]
; %bb.62:
	s_or_b64 exec, exec, s[4:5]
	v_or_b32_e32 v3, 63, v0
	v_lshrrev_b32_e32 v2, 6, v0
	v_cmp_eq_u32_e64 s[0:1], v0, v3
	s_and_saveexec_b64 s[2:3], s[0:1]
; %bb.63:
	v_lshlrev_b32_e32 v3, 3, v2
	ds_write_b64 v3, v[28:29]
; %bb.64:
	s_or_b64 exec, exec, s[2:3]
	v_cmp_gt_u32_e64 s[0:1], 2, v0
	s_waitcnt lgkmcnt(0)
	s_barrier
	s_and_saveexec_b64 s[2:3], s[0:1]
	s_cbranch_execz .LBB277_66
; %bb.65:
	v_add_u32_e32 v1, v1, v0
	ds_read_b64 v[4:5], v1
	v_and_b32_e32 v3, 1, v15
	v_cmp_eq_u32_e64 s[0:1], 1, v3
	s_waitcnt lgkmcnt(0)
	v_mov_b32_dpp v6, v4 row_shr:1 row_mask:0xf bank_mask:0xf
	v_mov_b32_dpp v7, v5 row_shr:1 row_mask:0xf bank_mask:0xf
	v_cndmask_b32_e64 v7, 0, v7, s[0:1]
	v_cndmask_b32_e64 v6, 0, v6, s[0:1]
	v_lshl_add_u64 v[4:5], v[6:7], 0, v[4:5]
	ds_write_b64 v1, v[4:5]
.LBB277_66:
	s_or_b64 exec, exec, s[2:3]
	v_cmp_lt_u32_e64 s[0:1], 63, v0
	v_mov_b64_e32 v[6:7], 0
	s_waitcnt lgkmcnt(0)
	s_barrier
	s_and_saveexec_b64 s[2:3], s[0:1]
; %bb.67:
	v_lshl_add_u32 v1, v2, 3, -8
	ds_read_b64 v[6:7], v1
; %bb.68:
	s_or_b64 exec, exec, s[2:3]
	v_add_u32_e32 v1, -1, v15
	v_and_b32_e32 v4, 64, v15
	v_cmp_lt_i32_e64 s[0:1], v1, v4
	s_waitcnt lgkmcnt(0)
	v_lshl_add_u64 v[2:3], v[6:7], 0, v[28:29]
	v_mov_b32_e32 v5, 0
	v_cndmask_b32_e64 v1, v1, v15, s[0:1]
	v_lshlrev_b32_e32 v4, 2, v1
	ds_bpermute_b32 v1, v4, v2
	ds_bpermute_b32 v8, v4, v3
	ds_read_b64 v[2:3], v5 offset:8
	s_and_saveexec_b64 s[0:1], s[10:11]
	s_cbranch_execz .LBB277_70
; %bb.69:
	s_add_u32 s2, s20, 0x400
	s_addc_u32 s3, s21, 0
	v_mov_b32_e32 v4, 2
	v_mov_b64_e32 v[28:29], s[2:3]
	s_waitcnt lgkmcnt(0)
	;;#ASMSTART
	global_store_dwordx4 v[28:29], v[2:5] off sc1	
s_waitcnt vmcnt(0)
	;;#ASMEND
.LBB277_70:
	s_or_b64 exec, exec, s[0:1]
	s_waitcnt lgkmcnt(2)
	v_cndmask_b32_e32 v1, v1, v6, vcc
	s_waitcnt lgkmcnt(1)
	v_cndmask_b32_e32 v4, v8, v7, vcc
	v_cndmask_b32_e64 v39, v4, 0, s[10:11]
	v_cndmask_b32_e64 v38, v1, 0, s[10:11]
	v_lshl_add_u64 v[36:37], v[38:39], 0, v[26:27]
	v_lshl_add_u64 v[34:35], v[36:37], 0, v[24:25]
	;; [unrolled: 1-line block ×6, first 2 shown]
	s_waitcnt lgkmcnt(0)
	s_barrier
	v_mov_b64_e32 v[4:5], 0
.LBB277_71:
	s_mov_b64 s[0:1], 0x81
	s_waitcnt lgkmcnt(0)
	v_cmp_gt_u64_e32 vcc, s[0:1], v[2:3]
	s_mov_b64 s[2:3], -1
	v_lshl_add_u64 v[28:29], v[4:5], 0, v[2:3]
	v_cmp_eq_u32_e64 s[0:1], 1, v26
	s_cbranch_vccnz .LBB277_75
; %bb.72:
	s_and_b64 vcc, exec, s[2:3]
	s_cbranch_vccnz .LBB277_90
.LBB277_73:
	s_and_b64 s[0:1], s[10:11], s[14:15]
	s_and_saveexec_b64 s[2:3], s[0:1]
	s_cbranch_execnz .LBB277_101
.LBB277_74:
	s_endpgm
.LBB277_75:
	v_cmp_lt_u64_e32 vcc, v[38:39], v[28:29]
	s_or_b64 s[2:3], s[18:19], vcc
	s_and_b64 s[2:3], s[2:3], s[0:1]
	s_and_saveexec_b64 s[0:1], s[2:3]
	s_cbranch_execz .LBB277_77
; %bb.76:
	s_waitcnt vmcnt(0)
	v_lshlrev_b64 v[40:41], 3, v[10:11]
	v_lshl_add_u64 v[40:41], s[16:17], 0, v[40:41]
	v_lshl_add_u64 v[40:41], v[38:39], 3, v[40:41]
	global_store_dwordx2 v[40:41], v[68:69], off
.LBB277_77:
	s_or_b64 exec, exec, s[0:1]
	v_cmp_lt_u64_e32 vcc, v[36:37], v[28:29]
	s_or_b64 s[0:1], s[18:19], vcc
	v_cmp_eq_u32_e32 vcc, 1, v24
	s_and_b64 s[2:3], s[0:1], vcc
	s_and_saveexec_b64 s[0:1], s[2:3]
	s_cbranch_execz .LBB277_79
; %bb.78:
	s_waitcnt vmcnt(0)
	v_lshlrev_b64 v[40:41], 3, v[10:11]
	v_lshl_add_u64 v[40:41], s[16:17], 0, v[40:41]
	v_lshl_add_u64 v[40:41], v[36:37], 3, v[40:41]
	global_store_dwordx2 v[40:41], v[70:71], off
.LBB277_79:
	s_or_b64 exec, exec, s[0:1]
	v_cmp_lt_u64_e32 vcc, v[34:35], v[28:29]
	s_or_b64 s[0:1], s[18:19], vcc
	v_cmp_eq_u32_e32 vcc, 1, v22
	s_and_b64 s[2:3], s[0:1], vcc
	;; [unrolled: 14-line block ×6, first 2 shown]
	s_and_saveexec_b64 s[0:1], s[2:3]
	s_cbranch_execz .LBB277_89
; %bb.88:
	s_waitcnt vmcnt(0)
	v_lshlrev_b64 v[40:41], 3, v[10:11]
	v_lshl_add_u64 v[40:41], s[16:17], 0, v[40:41]
	v_lshl_add_u64 v[40:41], v[6:7], 3, v[40:41]
	global_store_dwordx2 v[40:41], v[12:13], off
.LBB277_89:
	s_or_b64 exec, exec, s[0:1]
	s_branch .LBB277_73
.LBB277_90:
	v_cmp_eq_u32_e32 vcc, 1, v26
	s_and_saveexec_b64 s[0:1], vcc
	s_cbranch_execnz .LBB277_102
; %bb.91:
	s_or_b64 exec, exec, s[0:1]
	v_cmp_eq_u32_e32 vcc, 1, v24
	s_and_saveexec_b64 s[0:1], vcc
	s_cbranch_execnz .LBB277_103
.LBB277_92:
	s_or_b64 exec, exec, s[0:1]
	v_cmp_eq_u32_e32 vcc, 1, v22
	s_and_saveexec_b64 s[0:1], vcc
	s_cbranch_execnz .LBB277_104
.LBB277_93:
	s_or_b64 exec, exec, s[0:1]
	v_cmp_eq_u32_e32 vcc, 1, v20
	s_and_saveexec_b64 s[0:1], vcc
	s_cbranch_execnz .LBB277_105
.LBB277_94:
	s_or_b64 exec, exec, s[0:1]
	v_cmp_eq_u32_e32 vcc, 1, v18
	s_and_saveexec_b64 s[0:1], vcc
	s_cbranch_execnz .LBB277_106
.LBB277_95:
	s_or_b64 exec, exec, s[0:1]
	v_cmp_eq_u32_e32 vcc, 1, v16
	s_and_saveexec_b64 s[0:1], vcc
	s_cbranch_execnz .LBB277_107
.LBB277_96:
	s_or_b64 exec, exec, s[0:1]
	v_cmp_eq_u32_e32 vcc, 1, v14
	s_and_saveexec_b64 s[0:1], vcc
.LBB277_97:
	v_sub_u32_e32 v1, v6, v4
	v_lshlrev_b32_e32 v1, 3, v1
	ds_write_b64 v1, v[12:13]
.LBB277_98:
	s_or_b64 exec, exec, s[0:1]
	v_lshlrev_b64 v[4:5], 3, v[4:5]
	v_mov_b32_e32 v1, 0
	v_lshl_add_u64 v[4:5], s[16:17], 0, v[4:5]
	s_waitcnt vmcnt(0)
	v_lshlrev_b64 v[8:9], 3, v[10:11]
	v_mov_b64_e32 v[6:7], v[0:1]
	v_lshl_add_u64 v[4:5], v[4:5], 0, v[8:9]
	v_or_b32_e32 v0, 0x80, v0
	s_mov_b64 s[0:1], 0
	s_waitcnt lgkmcnt(0)
	s_barrier
.LBB277_99:                             ; =>This Inner Loop Header: Depth=1
	v_lshlrev_b32_e32 v12, 3, v6
	ds_read_b64 v[12:13], v12
	v_cmp_le_u64_e32 vcc, v[2:3], v[0:1]
	v_lshl_add_u64 v[8:9], v[6:7], 3, v[4:5]
	v_mov_b64_e32 v[6:7], v[0:1]
	v_add_u32_e32 v0, 0x80, v0
	s_or_b64 s[0:1], vcc, s[0:1]
	s_waitcnt lgkmcnt(0)
	global_store_dwordx2 v[8:9], v[12:13], off
	s_andn2_b64 exec, exec, s[0:1]
	s_cbranch_execnz .LBB277_99
; %bb.100:
	s_or_b64 exec, exec, s[0:1]
	s_and_b64 s[0:1], s[10:11], s[14:15]
	s_and_saveexec_b64 s[2:3], s[0:1]
	s_cbranch_execz .LBB277_74
.LBB277_101:
	v_mov_b32_e32 v2, 0
	s_waitcnt vmcnt(0)
	v_lshl_add_u64 v[0:1], v[28:29], 0, v[10:11]
	global_store_dwordx2 v2, v[0:1], s[12:13]
	s_endpgm
.LBB277_102:
	v_sub_u32_e32 v1, v38, v4
	v_lshlrev_b32_e32 v1, 3, v1
	ds_write_b64 v1, v[68:69]
	s_or_b64 exec, exec, s[0:1]
	v_cmp_eq_u32_e32 vcc, 1, v24
	s_and_saveexec_b64 s[0:1], vcc
	s_cbranch_execz .LBB277_92
.LBB277_103:
	v_sub_u32_e32 v1, v36, v4
	v_lshlrev_b32_e32 v1, 3, v1
	ds_write_b64 v1, v[70:71]
	s_or_b64 exec, exec, s[0:1]
	v_cmp_eq_u32_e32 vcc, 1, v22
	s_and_saveexec_b64 s[0:1], vcc
	s_cbranch_execz .LBB277_93
.LBB277_104:
	v_sub_u32_e32 v1, v34, v4
	v_lshlrev_b32_e32 v1, 3, v1
	ds_write_b64 v1, v[64:65]
	s_or_b64 exec, exec, s[0:1]
	v_cmp_eq_u32_e32 vcc, 1, v20
	s_and_saveexec_b64 s[0:1], vcc
	s_cbranch_execz .LBB277_94
.LBB277_105:
	v_sub_u32_e32 v1, v32, v4
	v_lshlrev_b32_e32 v1, 3, v1
	ds_write_b64 v1, v[66:67]
	s_or_b64 exec, exec, s[0:1]
	v_cmp_eq_u32_e32 vcc, 1, v18
	s_and_saveexec_b64 s[0:1], vcc
	s_cbranch_execz .LBB277_95
.LBB277_106:
	v_sub_u32_e32 v1, v30, v4
	v_lshlrev_b32_e32 v1, 3, v1
	ds_write_b64 v1, v[60:61]
	s_or_b64 exec, exec, s[0:1]
	v_cmp_eq_u32_e32 vcc, 1, v16
	s_and_saveexec_b64 s[0:1], vcc
	s_cbranch_execz .LBB277_96
.LBB277_107:
	v_sub_u32_e32 v1, v8, v4
	v_lshlrev_b32_e32 v1, 3, v1
	ds_write_b64 v1, v[62:63]
	s_or_b64 exec, exec, s[0:1]
	v_cmp_eq_u32_e32 vcc, 1, v14
	s_and_saveexec_b64 s[0:1], vcc
	s_cbranch_execnz .LBB277_97
	s_branch .LBB277_98
	.section	.rodata,"a",@progbits
	.p2align	6, 0x0
	.amdhsa_kernel _ZN7rocprim17ROCPRIM_400000_NS6detail17trampoline_kernelINS0_14default_configENS1_25partition_config_selectorILNS1_17partition_subalgoE5ElNS0_10empty_typeEbEEZZNS1_14partition_implILS5_5ELb0ES3_mN6hipcub16HIPCUB_304000_NS21CountingInputIteratorIllEEPS6_NSA_22TransformInputIteratorIb7NonZeroIfEPflEENS0_5tupleIJPlS6_EEENSJ_IJSD_SD_EEES6_SK_JS6_EEE10hipError_tPvRmT3_T4_T5_T6_T7_T9_mT8_P12ihipStream_tbDpT10_ENKUlT_T0_E_clISt17integral_constantIbLb0EES15_IbLb1EEEEDaS11_S12_EUlS11_E_NS1_11comp_targetILNS1_3genE0ELNS1_11target_archE4294967295ELNS1_3gpuE0ELNS1_3repE0EEENS1_30default_config_static_selectorELNS0_4arch9wavefront6targetE1EEEvT1_
		.amdhsa_group_segment_fixed_size 7184
		.amdhsa_private_segment_fixed_size 0
		.amdhsa_kernarg_size 136
		.amdhsa_user_sgpr_count 2
		.amdhsa_user_sgpr_dispatch_ptr 0
		.amdhsa_user_sgpr_queue_ptr 0
		.amdhsa_user_sgpr_kernarg_segment_ptr 1
		.amdhsa_user_sgpr_dispatch_id 0
		.amdhsa_user_sgpr_kernarg_preload_length 0
		.amdhsa_user_sgpr_kernarg_preload_offset 0
		.amdhsa_user_sgpr_private_segment_size 0
		.amdhsa_uses_dynamic_stack 0
		.amdhsa_enable_private_segment 0
		.amdhsa_system_sgpr_workgroup_id_x 1
		.amdhsa_system_sgpr_workgroup_id_y 0
		.amdhsa_system_sgpr_workgroup_id_z 0
		.amdhsa_system_sgpr_workgroup_info 0
		.amdhsa_system_vgpr_workitem_id 0
		.amdhsa_next_free_vgpr 72
		.amdhsa_next_free_sgpr 28
		.amdhsa_accum_offset 72
		.amdhsa_reserve_vcc 1
		.amdhsa_float_round_mode_32 0
		.amdhsa_float_round_mode_16_64 0
		.amdhsa_float_denorm_mode_32 3
		.amdhsa_float_denorm_mode_16_64 3
		.amdhsa_dx10_clamp 1
		.amdhsa_ieee_mode 1
		.amdhsa_fp16_overflow 0
		.amdhsa_tg_split 0
		.amdhsa_exception_fp_ieee_invalid_op 0
		.amdhsa_exception_fp_denorm_src 0
		.amdhsa_exception_fp_ieee_div_zero 0
		.amdhsa_exception_fp_ieee_overflow 0
		.amdhsa_exception_fp_ieee_underflow 0
		.amdhsa_exception_fp_ieee_inexact 0
		.amdhsa_exception_int_div_zero 0
	.end_amdhsa_kernel
	.section	.text._ZN7rocprim17ROCPRIM_400000_NS6detail17trampoline_kernelINS0_14default_configENS1_25partition_config_selectorILNS1_17partition_subalgoE5ElNS0_10empty_typeEbEEZZNS1_14partition_implILS5_5ELb0ES3_mN6hipcub16HIPCUB_304000_NS21CountingInputIteratorIllEEPS6_NSA_22TransformInputIteratorIb7NonZeroIfEPflEENS0_5tupleIJPlS6_EEENSJ_IJSD_SD_EEES6_SK_JS6_EEE10hipError_tPvRmT3_T4_T5_T6_T7_T9_mT8_P12ihipStream_tbDpT10_ENKUlT_T0_E_clISt17integral_constantIbLb0EES15_IbLb1EEEEDaS11_S12_EUlS11_E_NS1_11comp_targetILNS1_3genE0ELNS1_11target_archE4294967295ELNS1_3gpuE0ELNS1_3repE0EEENS1_30default_config_static_selectorELNS0_4arch9wavefront6targetE1EEEvT1_,"axG",@progbits,_ZN7rocprim17ROCPRIM_400000_NS6detail17trampoline_kernelINS0_14default_configENS1_25partition_config_selectorILNS1_17partition_subalgoE5ElNS0_10empty_typeEbEEZZNS1_14partition_implILS5_5ELb0ES3_mN6hipcub16HIPCUB_304000_NS21CountingInputIteratorIllEEPS6_NSA_22TransformInputIteratorIb7NonZeroIfEPflEENS0_5tupleIJPlS6_EEENSJ_IJSD_SD_EEES6_SK_JS6_EEE10hipError_tPvRmT3_T4_T5_T6_T7_T9_mT8_P12ihipStream_tbDpT10_ENKUlT_T0_E_clISt17integral_constantIbLb0EES15_IbLb1EEEEDaS11_S12_EUlS11_E_NS1_11comp_targetILNS1_3genE0ELNS1_11target_archE4294967295ELNS1_3gpuE0ELNS1_3repE0EEENS1_30default_config_static_selectorELNS0_4arch9wavefront6targetE1EEEvT1_,comdat
.Lfunc_end277:
	.size	_ZN7rocprim17ROCPRIM_400000_NS6detail17trampoline_kernelINS0_14default_configENS1_25partition_config_selectorILNS1_17partition_subalgoE5ElNS0_10empty_typeEbEEZZNS1_14partition_implILS5_5ELb0ES3_mN6hipcub16HIPCUB_304000_NS21CountingInputIteratorIllEEPS6_NSA_22TransformInputIteratorIb7NonZeroIfEPflEENS0_5tupleIJPlS6_EEENSJ_IJSD_SD_EEES6_SK_JS6_EEE10hipError_tPvRmT3_T4_T5_T6_T7_T9_mT8_P12ihipStream_tbDpT10_ENKUlT_T0_E_clISt17integral_constantIbLb0EES15_IbLb1EEEEDaS11_S12_EUlS11_E_NS1_11comp_targetILNS1_3genE0ELNS1_11target_archE4294967295ELNS1_3gpuE0ELNS1_3repE0EEENS1_30default_config_static_selectorELNS0_4arch9wavefront6targetE1EEEvT1_, .Lfunc_end277-_ZN7rocprim17ROCPRIM_400000_NS6detail17trampoline_kernelINS0_14default_configENS1_25partition_config_selectorILNS1_17partition_subalgoE5ElNS0_10empty_typeEbEEZZNS1_14partition_implILS5_5ELb0ES3_mN6hipcub16HIPCUB_304000_NS21CountingInputIteratorIllEEPS6_NSA_22TransformInputIteratorIb7NonZeroIfEPflEENS0_5tupleIJPlS6_EEENSJ_IJSD_SD_EEES6_SK_JS6_EEE10hipError_tPvRmT3_T4_T5_T6_T7_T9_mT8_P12ihipStream_tbDpT10_ENKUlT_T0_E_clISt17integral_constantIbLb0EES15_IbLb1EEEEDaS11_S12_EUlS11_E_NS1_11comp_targetILNS1_3genE0ELNS1_11target_archE4294967295ELNS1_3gpuE0ELNS1_3repE0EEENS1_30default_config_static_selectorELNS0_4arch9wavefront6targetE1EEEvT1_
                                        ; -- End function
	.set _ZN7rocprim17ROCPRIM_400000_NS6detail17trampoline_kernelINS0_14default_configENS1_25partition_config_selectorILNS1_17partition_subalgoE5ElNS0_10empty_typeEbEEZZNS1_14partition_implILS5_5ELb0ES3_mN6hipcub16HIPCUB_304000_NS21CountingInputIteratorIllEEPS6_NSA_22TransformInputIteratorIb7NonZeroIfEPflEENS0_5tupleIJPlS6_EEENSJ_IJSD_SD_EEES6_SK_JS6_EEE10hipError_tPvRmT3_T4_T5_T6_T7_T9_mT8_P12ihipStream_tbDpT10_ENKUlT_T0_E_clISt17integral_constantIbLb0EES15_IbLb1EEEEDaS11_S12_EUlS11_E_NS1_11comp_targetILNS1_3genE0ELNS1_11target_archE4294967295ELNS1_3gpuE0ELNS1_3repE0EEENS1_30default_config_static_selectorELNS0_4arch9wavefront6targetE1EEEvT1_.num_vgpr, 72
	.set _ZN7rocprim17ROCPRIM_400000_NS6detail17trampoline_kernelINS0_14default_configENS1_25partition_config_selectorILNS1_17partition_subalgoE5ElNS0_10empty_typeEbEEZZNS1_14partition_implILS5_5ELb0ES3_mN6hipcub16HIPCUB_304000_NS21CountingInputIteratorIllEEPS6_NSA_22TransformInputIteratorIb7NonZeroIfEPflEENS0_5tupleIJPlS6_EEENSJ_IJSD_SD_EEES6_SK_JS6_EEE10hipError_tPvRmT3_T4_T5_T6_T7_T9_mT8_P12ihipStream_tbDpT10_ENKUlT_T0_E_clISt17integral_constantIbLb0EES15_IbLb1EEEEDaS11_S12_EUlS11_E_NS1_11comp_targetILNS1_3genE0ELNS1_11target_archE4294967295ELNS1_3gpuE0ELNS1_3repE0EEENS1_30default_config_static_selectorELNS0_4arch9wavefront6targetE1EEEvT1_.num_agpr, 0
	.set _ZN7rocprim17ROCPRIM_400000_NS6detail17trampoline_kernelINS0_14default_configENS1_25partition_config_selectorILNS1_17partition_subalgoE5ElNS0_10empty_typeEbEEZZNS1_14partition_implILS5_5ELb0ES3_mN6hipcub16HIPCUB_304000_NS21CountingInputIteratorIllEEPS6_NSA_22TransformInputIteratorIb7NonZeroIfEPflEENS0_5tupleIJPlS6_EEENSJ_IJSD_SD_EEES6_SK_JS6_EEE10hipError_tPvRmT3_T4_T5_T6_T7_T9_mT8_P12ihipStream_tbDpT10_ENKUlT_T0_E_clISt17integral_constantIbLb0EES15_IbLb1EEEEDaS11_S12_EUlS11_E_NS1_11comp_targetILNS1_3genE0ELNS1_11target_archE4294967295ELNS1_3gpuE0ELNS1_3repE0EEENS1_30default_config_static_selectorELNS0_4arch9wavefront6targetE1EEEvT1_.numbered_sgpr, 28
	.set _ZN7rocprim17ROCPRIM_400000_NS6detail17trampoline_kernelINS0_14default_configENS1_25partition_config_selectorILNS1_17partition_subalgoE5ElNS0_10empty_typeEbEEZZNS1_14partition_implILS5_5ELb0ES3_mN6hipcub16HIPCUB_304000_NS21CountingInputIteratorIllEEPS6_NSA_22TransformInputIteratorIb7NonZeroIfEPflEENS0_5tupleIJPlS6_EEENSJ_IJSD_SD_EEES6_SK_JS6_EEE10hipError_tPvRmT3_T4_T5_T6_T7_T9_mT8_P12ihipStream_tbDpT10_ENKUlT_T0_E_clISt17integral_constantIbLb0EES15_IbLb1EEEEDaS11_S12_EUlS11_E_NS1_11comp_targetILNS1_3genE0ELNS1_11target_archE4294967295ELNS1_3gpuE0ELNS1_3repE0EEENS1_30default_config_static_selectorELNS0_4arch9wavefront6targetE1EEEvT1_.num_named_barrier, 0
	.set _ZN7rocprim17ROCPRIM_400000_NS6detail17trampoline_kernelINS0_14default_configENS1_25partition_config_selectorILNS1_17partition_subalgoE5ElNS0_10empty_typeEbEEZZNS1_14partition_implILS5_5ELb0ES3_mN6hipcub16HIPCUB_304000_NS21CountingInputIteratorIllEEPS6_NSA_22TransformInputIteratorIb7NonZeroIfEPflEENS0_5tupleIJPlS6_EEENSJ_IJSD_SD_EEES6_SK_JS6_EEE10hipError_tPvRmT3_T4_T5_T6_T7_T9_mT8_P12ihipStream_tbDpT10_ENKUlT_T0_E_clISt17integral_constantIbLb0EES15_IbLb1EEEEDaS11_S12_EUlS11_E_NS1_11comp_targetILNS1_3genE0ELNS1_11target_archE4294967295ELNS1_3gpuE0ELNS1_3repE0EEENS1_30default_config_static_selectorELNS0_4arch9wavefront6targetE1EEEvT1_.private_seg_size, 0
	.set _ZN7rocprim17ROCPRIM_400000_NS6detail17trampoline_kernelINS0_14default_configENS1_25partition_config_selectorILNS1_17partition_subalgoE5ElNS0_10empty_typeEbEEZZNS1_14partition_implILS5_5ELb0ES3_mN6hipcub16HIPCUB_304000_NS21CountingInputIteratorIllEEPS6_NSA_22TransformInputIteratorIb7NonZeroIfEPflEENS0_5tupleIJPlS6_EEENSJ_IJSD_SD_EEES6_SK_JS6_EEE10hipError_tPvRmT3_T4_T5_T6_T7_T9_mT8_P12ihipStream_tbDpT10_ENKUlT_T0_E_clISt17integral_constantIbLb0EES15_IbLb1EEEEDaS11_S12_EUlS11_E_NS1_11comp_targetILNS1_3genE0ELNS1_11target_archE4294967295ELNS1_3gpuE0ELNS1_3repE0EEENS1_30default_config_static_selectorELNS0_4arch9wavefront6targetE1EEEvT1_.uses_vcc, 1
	.set _ZN7rocprim17ROCPRIM_400000_NS6detail17trampoline_kernelINS0_14default_configENS1_25partition_config_selectorILNS1_17partition_subalgoE5ElNS0_10empty_typeEbEEZZNS1_14partition_implILS5_5ELb0ES3_mN6hipcub16HIPCUB_304000_NS21CountingInputIteratorIllEEPS6_NSA_22TransformInputIteratorIb7NonZeroIfEPflEENS0_5tupleIJPlS6_EEENSJ_IJSD_SD_EEES6_SK_JS6_EEE10hipError_tPvRmT3_T4_T5_T6_T7_T9_mT8_P12ihipStream_tbDpT10_ENKUlT_T0_E_clISt17integral_constantIbLb0EES15_IbLb1EEEEDaS11_S12_EUlS11_E_NS1_11comp_targetILNS1_3genE0ELNS1_11target_archE4294967295ELNS1_3gpuE0ELNS1_3repE0EEENS1_30default_config_static_selectorELNS0_4arch9wavefront6targetE1EEEvT1_.uses_flat_scratch, 0
	.set _ZN7rocprim17ROCPRIM_400000_NS6detail17trampoline_kernelINS0_14default_configENS1_25partition_config_selectorILNS1_17partition_subalgoE5ElNS0_10empty_typeEbEEZZNS1_14partition_implILS5_5ELb0ES3_mN6hipcub16HIPCUB_304000_NS21CountingInputIteratorIllEEPS6_NSA_22TransformInputIteratorIb7NonZeroIfEPflEENS0_5tupleIJPlS6_EEENSJ_IJSD_SD_EEES6_SK_JS6_EEE10hipError_tPvRmT3_T4_T5_T6_T7_T9_mT8_P12ihipStream_tbDpT10_ENKUlT_T0_E_clISt17integral_constantIbLb0EES15_IbLb1EEEEDaS11_S12_EUlS11_E_NS1_11comp_targetILNS1_3genE0ELNS1_11target_archE4294967295ELNS1_3gpuE0ELNS1_3repE0EEENS1_30default_config_static_selectorELNS0_4arch9wavefront6targetE1EEEvT1_.has_dyn_sized_stack, 0
	.set _ZN7rocprim17ROCPRIM_400000_NS6detail17trampoline_kernelINS0_14default_configENS1_25partition_config_selectorILNS1_17partition_subalgoE5ElNS0_10empty_typeEbEEZZNS1_14partition_implILS5_5ELb0ES3_mN6hipcub16HIPCUB_304000_NS21CountingInputIteratorIllEEPS6_NSA_22TransformInputIteratorIb7NonZeroIfEPflEENS0_5tupleIJPlS6_EEENSJ_IJSD_SD_EEES6_SK_JS6_EEE10hipError_tPvRmT3_T4_T5_T6_T7_T9_mT8_P12ihipStream_tbDpT10_ENKUlT_T0_E_clISt17integral_constantIbLb0EES15_IbLb1EEEEDaS11_S12_EUlS11_E_NS1_11comp_targetILNS1_3genE0ELNS1_11target_archE4294967295ELNS1_3gpuE0ELNS1_3repE0EEENS1_30default_config_static_selectorELNS0_4arch9wavefront6targetE1EEEvT1_.has_recursion, 0
	.set _ZN7rocprim17ROCPRIM_400000_NS6detail17trampoline_kernelINS0_14default_configENS1_25partition_config_selectorILNS1_17partition_subalgoE5ElNS0_10empty_typeEbEEZZNS1_14partition_implILS5_5ELb0ES3_mN6hipcub16HIPCUB_304000_NS21CountingInputIteratorIllEEPS6_NSA_22TransformInputIteratorIb7NonZeroIfEPflEENS0_5tupleIJPlS6_EEENSJ_IJSD_SD_EEES6_SK_JS6_EEE10hipError_tPvRmT3_T4_T5_T6_T7_T9_mT8_P12ihipStream_tbDpT10_ENKUlT_T0_E_clISt17integral_constantIbLb0EES15_IbLb1EEEEDaS11_S12_EUlS11_E_NS1_11comp_targetILNS1_3genE0ELNS1_11target_archE4294967295ELNS1_3gpuE0ELNS1_3repE0EEENS1_30default_config_static_selectorELNS0_4arch9wavefront6targetE1EEEvT1_.has_indirect_call, 0
	.section	.AMDGPU.csdata,"",@progbits
; Kernel info:
; codeLenInByte = 6212
; TotalNumSgprs: 34
; NumVgprs: 72
; NumAgprs: 0
; TotalNumVgprs: 72
; ScratchSize: 0
; MemoryBound: 0
; FloatMode: 240
; IeeeMode: 1
; LDSByteSize: 7184 bytes/workgroup (compile time only)
; SGPRBlocks: 4
; VGPRBlocks: 8
; NumSGPRsForWavesPerEU: 34
; NumVGPRsForWavesPerEU: 72
; AccumOffset: 72
; Occupancy: 7
; WaveLimiterHint : 1
; COMPUTE_PGM_RSRC2:SCRATCH_EN: 0
; COMPUTE_PGM_RSRC2:USER_SGPR: 2
; COMPUTE_PGM_RSRC2:TRAP_HANDLER: 0
; COMPUTE_PGM_RSRC2:TGID_X_EN: 1
; COMPUTE_PGM_RSRC2:TGID_Y_EN: 0
; COMPUTE_PGM_RSRC2:TGID_Z_EN: 0
; COMPUTE_PGM_RSRC2:TIDIG_COMP_CNT: 0
; COMPUTE_PGM_RSRC3_GFX90A:ACCUM_OFFSET: 17
; COMPUTE_PGM_RSRC3_GFX90A:TG_SPLIT: 0
	.section	.text._ZN7rocprim17ROCPRIM_400000_NS6detail17trampoline_kernelINS0_14default_configENS1_25partition_config_selectorILNS1_17partition_subalgoE5ElNS0_10empty_typeEbEEZZNS1_14partition_implILS5_5ELb0ES3_mN6hipcub16HIPCUB_304000_NS21CountingInputIteratorIllEEPS6_NSA_22TransformInputIteratorIb7NonZeroIfEPflEENS0_5tupleIJPlS6_EEENSJ_IJSD_SD_EEES6_SK_JS6_EEE10hipError_tPvRmT3_T4_T5_T6_T7_T9_mT8_P12ihipStream_tbDpT10_ENKUlT_T0_E_clISt17integral_constantIbLb0EES15_IbLb1EEEEDaS11_S12_EUlS11_E_NS1_11comp_targetILNS1_3genE5ELNS1_11target_archE942ELNS1_3gpuE9ELNS1_3repE0EEENS1_30default_config_static_selectorELNS0_4arch9wavefront6targetE1EEEvT1_,"axG",@progbits,_ZN7rocprim17ROCPRIM_400000_NS6detail17trampoline_kernelINS0_14default_configENS1_25partition_config_selectorILNS1_17partition_subalgoE5ElNS0_10empty_typeEbEEZZNS1_14partition_implILS5_5ELb0ES3_mN6hipcub16HIPCUB_304000_NS21CountingInputIteratorIllEEPS6_NSA_22TransformInputIteratorIb7NonZeroIfEPflEENS0_5tupleIJPlS6_EEENSJ_IJSD_SD_EEES6_SK_JS6_EEE10hipError_tPvRmT3_T4_T5_T6_T7_T9_mT8_P12ihipStream_tbDpT10_ENKUlT_T0_E_clISt17integral_constantIbLb0EES15_IbLb1EEEEDaS11_S12_EUlS11_E_NS1_11comp_targetILNS1_3genE5ELNS1_11target_archE942ELNS1_3gpuE9ELNS1_3repE0EEENS1_30default_config_static_selectorELNS0_4arch9wavefront6targetE1EEEvT1_,comdat
	.protected	_ZN7rocprim17ROCPRIM_400000_NS6detail17trampoline_kernelINS0_14default_configENS1_25partition_config_selectorILNS1_17partition_subalgoE5ElNS0_10empty_typeEbEEZZNS1_14partition_implILS5_5ELb0ES3_mN6hipcub16HIPCUB_304000_NS21CountingInputIteratorIllEEPS6_NSA_22TransformInputIteratorIb7NonZeroIfEPflEENS0_5tupleIJPlS6_EEENSJ_IJSD_SD_EEES6_SK_JS6_EEE10hipError_tPvRmT3_T4_T5_T6_T7_T9_mT8_P12ihipStream_tbDpT10_ENKUlT_T0_E_clISt17integral_constantIbLb0EES15_IbLb1EEEEDaS11_S12_EUlS11_E_NS1_11comp_targetILNS1_3genE5ELNS1_11target_archE942ELNS1_3gpuE9ELNS1_3repE0EEENS1_30default_config_static_selectorELNS0_4arch9wavefront6targetE1EEEvT1_ ; -- Begin function _ZN7rocprim17ROCPRIM_400000_NS6detail17trampoline_kernelINS0_14default_configENS1_25partition_config_selectorILNS1_17partition_subalgoE5ElNS0_10empty_typeEbEEZZNS1_14partition_implILS5_5ELb0ES3_mN6hipcub16HIPCUB_304000_NS21CountingInputIteratorIllEEPS6_NSA_22TransformInputIteratorIb7NonZeroIfEPflEENS0_5tupleIJPlS6_EEENSJ_IJSD_SD_EEES6_SK_JS6_EEE10hipError_tPvRmT3_T4_T5_T6_T7_T9_mT8_P12ihipStream_tbDpT10_ENKUlT_T0_E_clISt17integral_constantIbLb0EES15_IbLb1EEEEDaS11_S12_EUlS11_E_NS1_11comp_targetILNS1_3genE5ELNS1_11target_archE942ELNS1_3gpuE9ELNS1_3repE0EEENS1_30default_config_static_selectorELNS0_4arch9wavefront6targetE1EEEvT1_
	.globl	_ZN7rocprim17ROCPRIM_400000_NS6detail17trampoline_kernelINS0_14default_configENS1_25partition_config_selectorILNS1_17partition_subalgoE5ElNS0_10empty_typeEbEEZZNS1_14partition_implILS5_5ELb0ES3_mN6hipcub16HIPCUB_304000_NS21CountingInputIteratorIllEEPS6_NSA_22TransformInputIteratorIb7NonZeroIfEPflEENS0_5tupleIJPlS6_EEENSJ_IJSD_SD_EEES6_SK_JS6_EEE10hipError_tPvRmT3_T4_T5_T6_T7_T9_mT8_P12ihipStream_tbDpT10_ENKUlT_T0_E_clISt17integral_constantIbLb0EES15_IbLb1EEEEDaS11_S12_EUlS11_E_NS1_11comp_targetILNS1_3genE5ELNS1_11target_archE942ELNS1_3gpuE9ELNS1_3repE0EEENS1_30default_config_static_selectorELNS0_4arch9wavefront6targetE1EEEvT1_
	.p2align	8
	.type	_ZN7rocprim17ROCPRIM_400000_NS6detail17trampoline_kernelINS0_14default_configENS1_25partition_config_selectorILNS1_17partition_subalgoE5ElNS0_10empty_typeEbEEZZNS1_14partition_implILS5_5ELb0ES3_mN6hipcub16HIPCUB_304000_NS21CountingInputIteratorIllEEPS6_NSA_22TransformInputIteratorIb7NonZeroIfEPflEENS0_5tupleIJPlS6_EEENSJ_IJSD_SD_EEES6_SK_JS6_EEE10hipError_tPvRmT3_T4_T5_T6_T7_T9_mT8_P12ihipStream_tbDpT10_ENKUlT_T0_E_clISt17integral_constantIbLb0EES15_IbLb1EEEEDaS11_S12_EUlS11_E_NS1_11comp_targetILNS1_3genE5ELNS1_11target_archE942ELNS1_3gpuE9ELNS1_3repE0EEENS1_30default_config_static_selectorELNS0_4arch9wavefront6targetE1EEEvT1_,@function
_ZN7rocprim17ROCPRIM_400000_NS6detail17trampoline_kernelINS0_14default_configENS1_25partition_config_selectorILNS1_17partition_subalgoE5ElNS0_10empty_typeEbEEZZNS1_14partition_implILS5_5ELb0ES3_mN6hipcub16HIPCUB_304000_NS21CountingInputIteratorIllEEPS6_NSA_22TransformInputIteratorIb7NonZeroIfEPflEENS0_5tupleIJPlS6_EEENSJ_IJSD_SD_EEES6_SK_JS6_EEE10hipError_tPvRmT3_T4_T5_T6_T7_T9_mT8_P12ihipStream_tbDpT10_ENKUlT_T0_E_clISt17integral_constantIbLb0EES15_IbLb1EEEEDaS11_S12_EUlS11_E_NS1_11comp_targetILNS1_3genE5ELNS1_11target_archE942ELNS1_3gpuE9ELNS1_3repE0EEENS1_30default_config_static_selectorELNS0_4arch9wavefront6targetE1EEEvT1_: ; @_ZN7rocprim17ROCPRIM_400000_NS6detail17trampoline_kernelINS0_14default_configENS1_25partition_config_selectorILNS1_17partition_subalgoE5ElNS0_10empty_typeEbEEZZNS1_14partition_implILS5_5ELb0ES3_mN6hipcub16HIPCUB_304000_NS21CountingInputIteratorIllEEPS6_NSA_22TransformInputIteratorIb7NonZeroIfEPflEENS0_5tupleIJPlS6_EEENSJ_IJSD_SD_EEES6_SK_JS6_EEE10hipError_tPvRmT3_T4_T5_T6_T7_T9_mT8_P12ihipStream_tbDpT10_ENKUlT_T0_E_clISt17integral_constantIbLb0EES15_IbLb1EEEEDaS11_S12_EUlS11_E_NS1_11comp_targetILNS1_3genE5ELNS1_11target_archE942ELNS1_3gpuE9ELNS1_3repE0EEENS1_30default_config_static_selectorELNS0_4arch9wavefront6targetE1EEEvT1_
; %bb.0:
	.section	.rodata,"a",@progbits
	.p2align	6, 0x0
	.amdhsa_kernel _ZN7rocprim17ROCPRIM_400000_NS6detail17trampoline_kernelINS0_14default_configENS1_25partition_config_selectorILNS1_17partition_subalgoE5ElNS0_10empty_typeEbEEZZNS1_14partition_implILS5_5ELb0ES3_mN6hipcub16HIPCUB_304000_NS21CountingInputIteratorIllEEPS6_NSA_22TransformInputIteratorIb7NonZeroIfEPflEENS0_5tupleIJPlS6_EEENSJ_IJSD_SD_EEES6_SK_JS6_EEE10hipError_tPvRmT3_T4_T5_T6_T7_T9_mT8_P12ihipStream_tbDpT10_ENKUlT_T0_E_clISt17integral_constantIbLb0EES15_IbLb1EEEEDaS11_S12_EUlS11_E_NS1_11comp_targetILNS1_3genE5ELNS1_11target_archE942ELNS1_3gpuE9ELNS1_3repE0EEENS1_30default_config_static_selectorELNS0_4arch9wavefront6targetE1EEEvT1_
		.amdhsa_group_segment_fixed_size 0
		.amdhsa_private_segment_fixed_size 0
		.amdhsa_kernarg_size 136
		.amdhsa_user_sgpr_count 2
		.amdhsa_user_sgpr_dispatch_ptr 0
		.amdhsa_user_sgpr_queue_ptr 0
		.amdhsa_user_sgpr_kernarg_segment_ptr 1
		.amdhsa_user_sgpr_dispatch_id 0
		.amdhsa_user_sgpr_kernarg_preload_length 0
		.amdhsa_user_sgpr_kernarg_preload_offset 0
		.amdhsa_user_sgpr_private_segment_size 0
		.amdhsa_uses_dynamic_stack 0
		.amdhsa_enable_private_segment 0
		.amdhsa_system_sgpr_workgroup_id_x 1
		.amdhsa_system_sgpr_workgroup_id_y 0
		.amdhsa_system_sgpr_workgroup_id_z 0
		.amdhsa_system_sgpr_workgroup_info 0
		.amdhsa_system_vgpr_workitem_id 0
		.amdhsa_next_free_vgpr 1
		.amdhsa_next_free_sgpr 0
		.amdhsa_accum_offset 4
		.amdhsa_reserve_vcc 0
		.amdhsa_float_round_mode_32 0
		.amdhsa_float_round_mode_16_64 0
		.amdhsa_float_denorm_mode_32 3
		.amdhsa_float_denorm_mode_16_64 3
		.amdhsa_dx10_clamp 1
		.amdhsa_ieee_mode 1
		.amdhsa_fp16_overflow 0
		.amdhsa_tg_split 0
		.amdhsa_exception_fp_ieee_invalid_op 0
		.amdhsa_exception_fp_denorm_src 0
		.amdhsa_exception_fp_ieee_div_zero 0
		.amdhsa_exception_fp_ieee_overflow 0
		.amdhsa_exception_fp_ieee_underflow 0
		.amdhsa_exception_fp_ieee_inexact 0
		.amdhsa_exception_int_div_zero 0
	.end_amdhsa_kernel
	.section	.text._ZN7rocprim17ROCPRIM_400000_NS6detail17trampoline_kernelINS0_14default_configENS1_25partition_config_selectorILNS1_17partition_subalgoE5ElNS0_10empty_typeEbEEZZNS1_14partition_implILS5_5ELb0ES3_mN6hipcub16HIPCUB_304000_NS21CountingInputIteratorIllEEPS6_NSA_22TransformInputIteratorIb7NonZeroIfEPflEENS0_5tupleIJPlS6_EEENSJ_IJSD_SD_EEES6_SK_JS6_EEE10hipError_tPvRmT3_T4_T5_T6_T7_T9_mT8_P12ihipStream_tbDpT10_ENKUlT_T0_E_clISt17integral_constantIbLb0EES15_IbLb1EEEEDaS11_S12_EUlS11_E_NS1_11comp_targetILNS1_3genE5ELNS1_11target_archE942ELNS1_3gpuE9ELNS1_3repE0EEENS1_30default_config_static_selectorELNS0_4arch9wavefront6targetE1EEEvT1_,"axG",@progbits,_ZN7rocprim17ROCPRIM_400000_NS6detail17trampoline_kernelINS0_14default_configENS1_25partition_config_selectorILNS1_17partition_subalgoE5ElNS0_10empty_typeEbEEZZNS1_14partition_implILS5_5ELb0ES3_mN6hipcub16HIPCUB_304000_NS21CountingInputIteratorIllEEPS6_NSA_22TransformInputIteratorIb7NonZeroIfEPflEENS0_5tupleIJPlS6_EEENSJ_IJSD_SD_EEES6_SK_JS6_EEE10hipError_tPvRmT3_T4_T5_T6_T7_T9_mT8_P12ihipStream_tbDpT10_ENKUlT_T0_E_clISt17integral_constantIbLb0EES15_IbLb1EEEEDaS11_S12_EUlS11_E_NS1_11comp_targetILNS1_3genE5ELNS1_11target_archE942ELNS1_3gpuE9ELNS1_3repE0EEENS1_30default_config_static_selectorELNS0_4arch9wavefront6targetE1EEEvT1_,comdat
.Lfunc_end278:
	.size	_ZN7rocprim17ROCPRIM_400000_NS6detail17trampoline_kernelINS0_14default_configENS1_25partition_config_selectorILNS1_17partition_subalgoE5ElNS0_10empty_typeEbEEZZNS1_14partition_implILS5_5ELb0ES3_mN6hipcub16HIPCUB_304000_NS21CountingInputIteratorIllEEPS6_NSA_22TransformInputIteratorIb7NonZeroIfEPflEENS0_5tupleIJPlS6_EEENSJ_IJSD_SD_EEES6_SK_JS6_EEE10hipError_tPvRmT3_T4_T5_T6_T7_T9_mT8_P12ihipStream_tbDpT10_ENKUlT_T0_E_clISt17integral_constantIbLb0EES15_IbLb1EEEEDaS11_S12_EUlS11_E_NS1_11comp_targetILNS1_3genE5ELNS1_11target_archE942ELNS1_3gpuE9ELNS1_3repE0EEENS1_30default_config_static_selectorELNS0_4arch9wavefront6targetE1EEEvT1_, .Lfunc_end278-_ZN7rocprim17ROCPRIM_400000_NS6detail17trampoline_kernelINS0_14default_configENS1_25partition_config_selectorILNS1_17partition_subalgoE5ElNS0_10empty_typeEbEEZZNS1_14partition_implILS5_5ELb0ES3_mN6hipcub16HIPCUB_304000_NS21CountingInputIteratorIllEEPS6_NSA_22TransformInputIteratorIb7NonZeroIfEPflEENS0_5tupleIJPlS6_EEENSJ_IJSD_SD_EEES6_SK_JS6_EEE10hipError_tPvRmT3_T4_T5_T6_T7_T9_mT8_P12ihipStream_tbDpT10_ENKUlT_T0_E_clISt17integral_constantIbLb0EES15_IbLb1EEEEDaS11_S12_EUlS11_E_NS1_11comp_targetILNS1_3genE5ELNS1_11target_archE942ELNS1_3gpuE9ELNS1_3repE0EEENS1_30default_config_static_selectorELNS0_4arch9wavefront6targetE1EEEvT1_
                                        ; -- End function
	.set _ZN7rocprim17ROCPRIM_400000_NS6detail17trampoline_kernelINS0_14default_configENS1_25partition_config_selectorILNS1_17partition_subalgoE5ElNS0_10empty_typeEbEEZZNS1_14partition_implILS5_5ELb0ES3_mN6hipcub16HIPCUB_304000_NS21CountingInputIteratorIllEEPS6_NSA_22TransformInputIteratorIb7NonZeroIfEPflEENS0_5tupleIJPlS6_EEENSJ_IJSD_SD_EEES6_SK_JS6_EEE10hipError_tPvRmT3_T4_T5_T6_T7_T9_mT8_P12ihipStream_tbDpT10_ENKUlT_T0_E_clISt17integral_constantIbLb0EES15_IbLb1EEEEDaS11_S12_EUlS11_E_NS1_11comp_targetILNS1_3genE5ELNS1_11target_archE942ELNS1_3gpuE9ELNS1_3repE0EEENS1_30default_config_static_selectorELNS0_4arch9wavefront6targetE1EEEvT1_.num_vgpr, 0
	.set _ZN7rocprim17ROCPRIM_400000_NS6detail17trampoline_kernelINS0_14default_configENS1_25partition_config_selectorILNS1_17partition_subalgoE5ElNS0_10empty_typeEbEEZZNS1_14partition_implILS5_5ELb0ES3_mN6hipcub16HIPCUB_304000_NS21CountingInputIteratorIllEEPS6_NSA_22TransformInputIteratorIb7NonZeroIfEPflEENS0_5tupleIJPlS6_EEENSJ_IJSD_SD_EEES6_SK_JS6_EEE10hipError_tPvRmT3_T4_T5_T6_T7_T9_mT8_P12ihipStream_tbDpT10_ENKUlT_T0_E_clISt17integral_constantIbLb0EES15_IbLb1EEEEDaS11_S12_EUlS11_E_NS1_11comp_targetILNS1_3genE5ELNS1_11target_archE942ELNS1_3gpuE9ELNS1_3repE0EEENS1_30default_config_static_selectorELNS0_4arch9wavefront6targetE1EEEvT1_.num_agpr, 0
	.set _ZN7rocprim17ROCPRIM_400000_NS6detail17trampoline_kernelINS0_14default_configENS1_25partition_config_selectorILNS1_17partition_subalgoE5ElNS0_10empty_typeEbEEZZNS1_14partition_implILS5_5ELb0ES3_mN6hipcub16HIPCUB_304000_NS21CountingInputIteratorIllEEPS6_NSA_22TransformInputIteratorIb7NonZeroIfEPflEENS0_5tupleIJPlS6_EEENSJ_IJSD_SD_EEES6_SK_JS6_EEE10hipError_tPvRmT3_T4_T5_T6_T7_T9_mT8_P12ihipStream_tbDpT10_ENKUlT_T0_E_clISt17integral_constantIbLb0EES15_IbLb1EEEEDaS11_S12_EUlS11_E_NS1_11comp_targetILNS1_3genE5ELNS1_11target_archE942ELNS1_3gpuE9ELNS1_3repE0EEENS1_30default_config_static_selectorELNS0_4arch9wavefront6targetE1EEEvT1_.numbered_sgpr, 0
	.set _ZN7rocprim17ROCPRIM_400000_NS6detail17trampoline_kernelINS0_14default_configENS1_25partition_config_selectorILNS1_17partition_subalgoE5ElNS0_10empty_typeEbEEZZNS1_14partition_implILS5_5ELb0ES3_mN6hipcub16HIPCUB_304000_NS21CountingInputIteratorIllEEPS6_NSA_22TransformInputIteratorIb7NonZeroIfEPflEENS0_5tupleIJPlS6_EEENSJ_IJSD_SD_EEES6_SK_JS6_EEE10hipError_tPvRmT3_T4_T5_T6_T7_T9_mT8_P12ihipStream_tbDpT10_ENKUlT_T0_E_clISt17integral_constantIbLb0EES15_IbLb1EEEEDaS11_S12_EUlS11_E_NS1_11comp_targetILNS1_3genE5ELNS1_11target_archE942ELNS1_3gpuE9ELNS1_3repE0EEENS1_30default_config_static_selectorELNS0_4arch9wavefront6targetE1EEEvT1_.num_named_barrier, 0
	.set _ZN7rocprim17ROCPRIM_400000_NS6detail17trampoline_kernelINS0_14default_configENS1_25partition_config_selectorILNS1_17partition_subalgoE5ElNS0_10empty_typeEbEEZZNS1_14partition_implILS5_5ELb0ES3_mN6hipcub16HIPCUB_304000_NS21CountingInputIteratorIllEEPS6_NSA_22TransformInputIteratorIb7NonZeroIfEPflEENS0_5tupleIJPlS6_EEENSJ_IJSD_SD_EEES6_SK_JS6_EEE10hipError_tPvRmT3_T4_T5_T6_T7_T9_mT8_P12ihipStream_tbDpT10_ENKUlT_T0_E_clISt17integral_constantIbLb0EES15_IbLb1EEEEDaS11_S12_EUlS11_E_NS1_11comp_targetILNS1_3genE5ELNS1_11target_archE942ELNS1_3gpuE9ELNS1_3repE0EEENS1_30default_config_static_selectorELNS0_4arch9wavefront6targetE1EEEvT1_.private_seg_size, 0
	.set _ZN7rocprim17ROCPRIM_400000_NS6detail17trampoline_kernelINS0_14default_configENS1_25partition_config_selectorILNS1_17partition_subalgoE5ElNS0_10empty_typeEbEEZZNS1_14partition_implILS5_5ELb0ES3_mN6hipcub16HIPCUB_304000_NS21CountingInputIteratorIllEEPS6_NSA_22TransformInputIteratorIb7NonZeroIfEPflEENS0_5tupleIJPlS6_EEENSJ_IJSD_SD_EEES6_SK_JS6_EEE10hipError_tPvRmT3_T4_T5_T6_T7_T9_mT8_P12ihipStream_tbDpT10_ENKUlT_T0_E_clISt17integral_constantIbLb0EES15_IbLb1EEEEDaS11_S12_EUlS11_E_NS1_11comp_targetILNS1_3genE5ELNS1_11target_archE942ELNS1_3gpuE9ELNS1_3repE0EEENS1_30default_config_static_selectorELNS0_4arch9wavefront6targetE1EEEvT1_.uses_vcc, 0
	.set _ZN7rocprim17ROCPRIM_400000_NS6detail17trampoline_kernelINS0_14default_configENS1_25partition_config_selectorILNS1_17partition_subalgoE5ElNS0_10empty_typeEbEEZZNS1_14partition_implILS5_5ELb0ES3_mN6hipcub16HIPCUB_304000_NS21CountingInputIteratorIllEEPS6_NSA_22TransformInputIteratorIb7NonZeroIfEPflEENS0_5tupleIJPlS6_EEENSJ_IJSD_SD_EEES6_SK_JS6_EEE10hipError_tPvRmT3_T4_T5_T6_T7_T9_mT8_P12ihipStream_tbDpT10_ENKUlT_T0_E_clISt17integral_constantIbLb0EES15_IbLb1EEEEDaS11_S12_EUlS11_E_NS1_11comp_targetILNS1_3genE5ELNS1_11target_archE942ELNS1_3gpuE9ELNS1_3repE0EEENS1_30default_config_static_selectorELNS0_4arch9wavefront6targetE1EEEvT1_.uses_flat_scratch, 0
	.set _ZN7rocprim17ROCPRIM_400000_NS6detail17trampoline_kernelINS0_14default_configENS1_25partition_config_selectorILNS1_17partition_subalgoE5ElNS0_10empty_typeEbEEZZNS1_14partition_implILS5_5ELb0ES3_mN6hipcub16HIPCUB_304000_NS21CountingInputIteratorIllEEPS6_NSA_22TransformInputIteratorIb7NonZeroIfEPflEENS0_5tupleIJPlS6_EEENSJ_IJSD_SD_EEES6_SK_JS6_EEE10hipError_tPvRmT3_T4_T5_T6_T7_T9_mT8_P12ihipStream_tbDpT10_ENKUlT_T0_E_clISt17integral_constantIbLb0EES15_IbLb1EEEEDaS11_S12_EUlS11_E_NS1_11comp_targetILNS1_3genE5ELNS1_11target_archE942ELNS1_3gpuE9ELNS1_3repE0EEENS1_30default_config_static_selectorELNS0_4arch9wavefront6targetE1EEEvT1_.has_dyn_sized_stack, 0
	.set _ZN7rocprim17ROCPRIM_400000_NS6detail17trampoline_kernelINS0_14default_configENS1_25partition_config_selectorILNS1_17partition_subalgoE5ElNS0_10empty_typeEbEEZZNS1_14partition_implILS5_5ELb0ES3_mN6hipcub16HIPCUB_304000_NS21CountingInputIteratorIllEEPS6_NSA_22TransformInputIteratorIb7NonZeroIfEPflEENS0_5tupleIJPlS6_EEENSJ_IJSD_SD_EEES6_SK_JS6_EEE10hipError_tPvRmT3_T4_T5_T6_T7_T9_mT8_P12ihipStream_tbDpT10_ENKUlT_T0_E_clISt17integral_constantIbLb0EES15_IbLb1EEEEDaS11_S12_EUlS11_E_NS1_11comp_targetILNS1_3genE5ELNS1_11target_archE942ELNS1_3gpuE9ELNS1_3repE0EEENS1_30default_config_static_selectorELNS0_4arch9wavefront6targetE1EEEvT1_.has_recursion, 0
	.set _ZN7rocprim17ROCPRIM_400000_NS6detail17trampoline_kernelINS0_14default_configENS1_25partition_config_selectorILNS1_17partition_subalgoE5ElNS0_10empty_typeEbEEZZNS1_14partition_implILS5_5ELb0ES3_mN6hipcub16HIPCUB_304000_NS21CountingInputIteratorIllEEPS6_NSA_22TransformInputIteratorIb7NonZeroIfEPflEENS0_5tupleIJPlS6_EEENSJ_IJSD_SD_EEES6_SK_JS6_EEE10hipError_tPvRmT3_T4_T5_T6_T7_T9_mT8_P12ihipStream_tbDpT10_ENKUlT_T0_E_clISt17integral_constantIbLb0EES15_IbLb1EEEEDaS11_S12_EUlS11_E_NS1_11comp_targetILNS1_3genE5ELNS1_11target_archE942ELNS1_3gpuE9ELNS1_3repE0EEENS1_30default_config_static_selectorELNS0_4arch9wavefront6targetE1EEEvT1_.has_indirect_call, 0
	.section	.AMDGPU.csdata,"",@progbits
; Kernel info:
; codeLenInByte = 0
; TotalNumSgprs: 6
; NumVgprs: 0
; NumAgprs: 0
; TotalNumVgprs: 0
; ScratchSize: 0
; MemoryBound: 0
; FloatMode: 240
; IeeeMode: 1
; LDSByteSize: 0 bytes/workgroup (compile time only)
; SGPRBlocks: 0
; VGPRBlocks: 0
; NumSGPRsForWavesPerEU: 6
; NumVGPRsForWavesPerEU: 1
; AccumOffset: 4
; Occupancy: 8
; WaveLimiterHint : 0
; COMPUTE_PGM_RSRC2:SCRATCH_EN: 0
; COMPUTE_PGM_RSRC2:USER_SGPR: 2
; COMPUTE_PGM_RSRC2:TRAP_HANDLER: 0
; COMPUTE_PGM_RSRC2:TGID_X_EN: 1
; COMPUTE_PGM_RSRC2:TGID_Y_EN: 0
; COMPUTE_PGM_RSRC2:TGID_Z_EN: 0
; COMPUTE_PGM_RSRC2:TIDIG_COMP_CNT: 0
; COMPUTE_PGM_RSRC3_GFX90A:ACCUM_OFFSET: 0
; COMPUTE_PGM_RSRC3_GFX90A:TG_SPLIT: 0
	.section	.text._ZN7rocprim17ROCPRIM_400000_NS6detail17trampoline_kernelINS0_14default_configENS1_25partition_config_selectorILNS1_17partition_subalgoE5ElNS0_10empty_typeEbEEZZNS1_14partition_implILS5_5ELb0ES3_mN6hipcub16HIPCUB_304000_NS21CountingInputIteratorIllEEPS6_NSA_22TransformInputIteratorIb7NonZeroIfEPflEENS0_5tupleIJPlS6_EEENSJ_IJSD_SD_EEES6_SK_JS6_EEE10hipError_tPvRmT3_T4_T5_T6_T7_T9_mT8_P12ihipStream_tbDpT10_ENKUlT_T0_E_clISt17integral_constantIbLb0EES15_IbLb1EEEEDaS11_S12_EUlS11_E_NS1_11comp_targetILNS1_3genE4ELNS1_11target_archE910ELNS1_3gpuE8ELNS1_3repE0EEENS1_30default_config_static_selectorELNS0_4arch9wavefront6targetE1EEEvT1_,"axG",@progbits,_ZN7rocprim17ROCPRIM_400000_NS6detail17trampoline_kernelINS0_14default_configENS1_25partition_config_selectorILNS1_17partition_subalgoE5ElNS0_10empty_typeEbEEZZNS1_14partition_implILS5_5ELb0ES3_mN6hipcub16HIPCUB_304000_NS21CountingInputIteratorIllEEPS6_NSA_22TransformInputIteratorIb7NonZeroIfEPflEENS0_5tupleIJPlS6_EEENSJ_IJSD_SD_EEES6_SK_JS6_EEE10hipError_tPvRmT3_T4_T5_T6_T7_T9_mT8_P12ihipStream_tbDpT10_ENKUlT_T0_E_clISt17integral_constantIbLb0EES15_IbLb1EEEEDaS11_S12_EUlS11_E_NS1_11comp_targetILNS1_3genE4ELNS1_11target_archE910ELNS1_3gpuE8ELNS1_3repE0EEENS1_30default_config_static_selectorELNS0_4arch9wavefront6targetE1EEEvT1_,comdat
	.protected	_ZN7rocprim17ROCPRIM_400000_NS6detail17trampoline_kernelINS0_14default_configENS1_25partition_config_selectorILNS1_17partition_subalgoE5ElNS0_10empty_typeEbEEZZNS1_14partition_implILS5_5ELb0ES3_mN6hipcub16HIPCUB_304000_NS21CountingInputIteratorIllEEPS6_NSA_22TransformInputIteratorIb7NonZeroIfEPflEENS0_5tupleIJPlS6_EEENSJ_IJSD_SD_EEES6_SK_JS6_EEE10hipError_tPvRmT3_T4_T5_T6_T7_T9_mT8_P12ihipStream_tbDpT10_ENKUlT_T0_E_clISt17integral_constantIbLb0EES15_IbLb1EEEEDaS11_S12_EUlS11_E_NS1_11comp_targetILNS1_3genE4ELNS1_11target_archE910ELNS1_3gpuE8ELNS1_3repE0EEENS1_30default_config_static_selectorELNS0_4arch9wavefront6targetE1EEEvT1_ ; -- Begin function _ZN7rocprim17ROCPRIM_400000_NS6detail17trampoline_kernelINS0_14default_configENS1_25partition_config_selectorILNS1_17partition_subalgoE5ElNS0_10empty_typeEbEEZZNS1_14partition_implILS5_5ELb0ES3_mN6hipcub16HIPCUB_304000_NS21CountingInputIteratorIllEEPS6_NSA_22TransformInputIteratorIb7NonZeroIfEPflEENS0_5tupleIJPlS6_EEENSJ_IJSD_SD_EEES6_SK_JS6_EEE10hipError_tPvRmT3_T4_T5_T6_T7_T9_mT8_P12ihipStream_tbDpT10_ENKUlT_T0_E_clISt17integral_constantIbLb0EES15_IbLb1EEEEDaS11_S12_EUlS11_E_NS1_11comp_targetILNS1_3genE4ELNS1_11target_archE910ELNS1_3gpuE8ELNS1_3repE0EEENS1_30default_config_static_selectorELNS0_4arch9wavefront6targetE1EEEvT1_
	.globl	_ZN7rocprim17ROCPRIM_400000_NS6detail17trampoline_kernelINS0_14default_configENS1_25partition_config_selectorILNS1_17partition_subalgoE5ElNS0_10empty_typeEbEEZZNS1_14partition_implILS5_5ELb0ES3_mN6hipcub16HIPCUB_304000_NS21CountingInputIteratorIllEEPS6_NSA_22TransformInputIteratorIb7NonZeroIfEPflEENS0_5tupleIJPlS6_EEENSJ_IJSD_SD_EEES6_SK_JS6_EEE10hipError_tPvRmT3_T4_T5_T6_T7_T9_mT8_P12ihipStream_tbDpT10_ENKUlT_T0_E_clISt17integral_constantIbLb0EES15_IbLb1EEEEDaS11_S12_EUlS11_E_NS1_11comp_targetILNS1_3genE4ELNS1_11target_archE910ELNS1_3gpuE8ELNS1_3repE0EEENS1_30default_config_static_selectorELNS0_4arch9wavefront6targetE1EEEvT1_
	.p2align	8
	.type	_ZN7rocprim17ROCPRIM_400000_NS6detail17trampoline_kernelINS0_14default_configENS1_25partition_config_selectorILNS1_17partition_subalgoE5ElNS0_10empty_typeEbEEZZNS1_14partition_implILS5_5ELb0ES3_mN6hipcub16HIPCUB_304000_NS21CountingInputIteratorIllEEPS6_NSA_22TransformInputIteratorIb7NonZeroIfEPflEENS0_5tupleIJPlS6_EEENSJ_IJSD_SD_EEES6_SK_JS6_EEE10hipError_tPvRmT3_T4_T5_T6_T7_T9_mT8_P12ihipStream_tbDpT10_ENKUlT_T0_E_clISt17integral_constantIbLb0EES15_IbLb1EEEEDaS11_S12_EUlS11_E_NS1_11comp_targetILNS1_3genE4ELNS1_11target_archE910ELNS1_3gpuE8ELNS1_3repE0EEENS1_30default_config_static_selectorELNS0_4arch9wavefront6targetE1EEEvT1_,@function
_ZN7rocprim17ROCPRIM_400000_NS6detail17trampoline_kernelINS0_14default_configENS1_25partition_config_selectorILNS1_17partition_subalgoE5ElNS0_10empty_typeEbEEZZNS1_14partition_implILS5_5ELb0ES3_mN6hipcub16HIPCUB_304000_NS21CountingInputIteratorIllEEPS6_NSA_22TransformInputIteratorIb7NonZeroIfEPflEENS0_5tupleIJPlS6_EEENSJ_IJSD_SD_EEES6_SK_JS6_EEE10hipError_tPvRmT3_T4_T5_T6_T7_T9_mT8_P12ihipStream_tbDpT10_ENKUlT_T0_E_clISt17integral_constantIbLb0EES15_IbLb1EEEEDaS11_S12_EUlS11_E_NS1_11comp_targetILNS1_3genE4ELNS1_11target_archE910ELNS1_3gpuE8ELNS1_3repE0EEENS1_30default_config_static_selectorELNS0_4arch9wavefront6targetE1EEEvT1_: ; @_ZN7rocprim17ROCPRIM_400000_NS6detail17trampoline_kernelINS0_14default_configENS1_25partition_config_selectorILNS1_17partition_subalgoE5ElNS0_10empty_typeEbEEZZNS1_14partition_implILS5_5ELb0ES3_mN6hipcub16HIPCUB_304000_NS21CountingInputIteratorIllEEPS6_NSA_22TransformInputIteratorIb7NonZeroIfEPflEENS0_5tupleIJPlS6_EEENSJ_IJSD_SD_EEES6_SK_JS6_EEE10hipError_tPvRmT3_T4_T5_T6_T7_T9_mT8_P12ihipStream_tbDpT10_ENKUlT_T0_E_clISt17integral_constantIbLb0EES15_IbLb1EEEEDaS11_S12_EUlS11_E_NS1_11comp_targetILNS1_3genE4ELNS1_11target_archE910ELNS1_3gpuE8ELNS1_3repE0EEENS1_30default_config_static_selectorELNS0_4arch9wavefront6targetE1EEEvT1_
; %bb.0:
	.section	.rodata,"a",@progbits
	.p2align	6, 0x0
	.amdhsa_kernel _ZN7rocprim17ROCPRIM_400000_NS6detail17trampoline_kernelINS0_14default_configENS1_25partition_config_selectorILNS1_17partition_subalgoE5ElNS0_10empty_typeEbEEZZNS1_14partition_implILS5_5ELb0ES3_mN6hipcub16HIPCUB_304000_NS21CountingInputIteratorIllEEPS6_NSA_22TransformInputIteratorIb7NonZeroIfEPflEENS0_5tupleIJPlS6_EEENSJ_IJSD_SD_EEES6_SK_JS6_EEE10hipError_tPvRmT3_T4_T5_T6_T7_T9_mT8_P12ihipStream_tbDpT10_ENKUlT_T0_E_clISt17integral_constantIbLb0EES15_IbLb1EEEEDaS11_S12_EUlS11_E_NS1_11comp_targetILNS1_3genE4ELNS1_11target_archE910ELNS1_3gpuE8ELNS1_3repE0EEENS1_30default_config_static_selectorELNS0_4arch9wavefront6targetE1EEEvT1_
		.amdhsa_group_segment_fixed_size 0
		.amdhsa_private_segment_fixed_size 0
		.amdhsa_kernarg_size 136
		.amdhsa_user_sgpr_count 2
		.amdhsa_user_sgpr_dispatch_ptr 0
		.amdhsa_user_sgpr_queue_ptr 0
		.amdhsa_user_sgpr_kernarg_segment_ptr 1
		.amdhsa_user_sgpr_dispatch_id 0
		.amdhsa_user_sgpr_kernarg_preload_length 0
		.amdhsa_user_sgpr_kernarg_preload_offset 0
		.amdhsa_user_sgpr_private_segment_size 0
		.amdhsa_uses_dynamic_stack 0
		.amdhsa_enable_private_segment 0
		.amdhsa_system_sgpr_workgroup_id_x 1
		.amdhsa_system_sgpr_workgroup_id_y 0
		.amdhsa_system_sgpr_workgroup_id_z 0
		.amdhsa_system_sgpr_workgroup_info 0
		.amdhsa_system_vgpr_workitem_id 0
		.amdhsa_next_free_vgpr 1
		.amdhsa_next_free_sgpr 0
		.amdhsa_accum_offset 4
		.amdhsa_reserve_vcc 0
		.amdhsa_float_round_mode_32 0
		.amdhsa_float_round_mode_16_64 0
		.amdhsa_float_denorm_mode_32 3
		.amdhsa_float_denorm_mode_16_64 3
		.amdhsa_dx10_clamp 1
		.amdhsa_ieee_mode 1
		.amdhsa_fp16_overflow 0
		.amdhsa_tg_split 0
		.amdhsa_exception_fp_ieee_invalid_op 0
		.amdhsa_exception_fp_denorm_src 0
		.amdhsa_exception_fp_ieee_div_zero 0
		.amdhsa_exception_fp_ieee_overflow 0
		.amdhsa_exception_fp_ieee_underflow 0
		.amdhsa_exception_fp_ieee_inexact 0
		.amdhsa_exception_int_div_zero 0
	.end_amdhsa_kernel
	.section	.text._ZN7rocprim17ROCPRIM_400000_NS6detail17trampoline_kernelINS0_14default_configENS1_25partition_config_selectorILNS1_17partition_subalgoE5ElNS0_10empty_typeEbEEZZNS1_14partition_implILS5_5ELb0ES3_mN6hipcub16HIPCUB_304000_NS21CountingInputIteratorIllEEPS6_NSA_22TransformInputIteratorIb7NonZeroIfEPflEENS0_5tupleIJPlS6_EEENSJ_IJSD_SD_EEES6_SK_JS6_EEE10hipError_tPvRmT3_T4_T5_T6_T7_T9_mT8_P12ihipStream_tbDpT10_ENKUlT_T0_E_clISt17integral_constantIbLb0EES15_IbLb1EEEEDaS11_S12_EUlS11_E_NS1_11comp_targetILNS1_3genE4ELNS1_11target_archE910ELNS1_3gpuE8ELNS1_3repE0EEENS1_30default_config_static_selectorELNS0_4arch9wavefront6targetE1EEEvT1_,"axG",@progbits,_ZN7rocprim17ROCPRIM_400000_NS6detail17trampoline_kernelINS0_14default_configENS1_25partition_config_selectorILNS1_17partition_subalgoE5ElNS0_10empty_typeEbEEZZNS1_14partition_implILS5_5ELb0ES3_mN6hipcub16HIPCUB_304000_NS21CountingInputIteratorIllEEPS6_NSA_22TransformInputIteratorIb7NonZeroIfEPflEENS0_5tupleIJPlS6_EEENSJ_IJSD_SD_EEES6_SK_JS6_EEE10hipError_tPvRmT3_T4_T5_T6_T7_T9_mT8_P12ihipStream_tbDpT10_ENKUlT_T0_E_clISt17integral_constantIbLb0EES15_IbLb1EEEEDaS11_S12_EUlS11_E_NS1_11comp_targetILNS1_3genE4ELNS1_11target_archE910ELNS1_3gpuE8ELNS1_3repE0EEENS1_30default_config_static_selectorELNS0_4arch9wavefront6targetE1EEEvT1_,comdat
.Lfunc_end279:
	.size	_ZN7rocprim17ROCPRIM_400000_NS6detail17trampoline_kernelINS0_14default_configENS1_25partition_config_selectorILNS1_17partition_subalgoE5ElNS0_10empty_typeEbEEZZNS1_14partition_implILS5_5ELb0ES3_mN6hipcub16HIPCUB_304000_NS21CountingInputIteratorIllEEPS6_NSA_22TransformInputIteratorIb7NonZeroIfEPflEENS0_5tupleIJPlS6_EEENSJ_IJSD_SD_EEES6_SK_JS6_EEE10hipError_tPvRmT3_T4_T5_T6_T7_T9_mT8_P12ihipStream_tbDpT10_ENKUlT_T0_E_clISt17integral_constantIbLb0EES15_IbLb1EEEEDaS11_S12_EUlS11_E_NS1_11comp_targetILNS1_3genE4ELNS1_11target_archE910ELNS1_3gpuE8ELNS1_3repE0EEENS1_30default_config_static_selectorELNS0_4arch9wavefront6targetE1EEEvT1_, .Lfunc_end279-_ZN7rocprim17ROCPRIM_400000_NS6detail17trampoline_kernelINS0_14default_configENS1_25partition_config_selectorILNS1_17partition_subalgoE5ElNS0_10empty_typeEbEEZZNS1_14partition_implILS5_5ELb0ES3_mN6hipcub16HIPCUB_304000_NS21CountingInputIteratorIllEEPS6_NSA_22TransformInputIteratorIb7NonZeroIfEPflEENS0_5tupleIJPlS6_EEENSJ_IJSD_SD_EEES6_SK_JS6_EEE10hipError_tPvRmT3_T4_T5_T6_T7_T9_mT8_P12ihipStream_tbDpT10_ENKUlT_T0_E_clISt17integral_constantIbLb0EES15_IbLb1EEEEDaS11_S12_EUlS11_E_NS1_11comp_targetILNS1_3genE4ELNS1_11target_archE910ELNS1_3gpuE8ELNS1_3repE0EEENS1_30default_config_static_selectorELNS0_4arch9wavefront6targetE1EEEvT1_
                                        ; -- End function
	.set _ZN7rocprim17ROCPRIM_400000_NS6detail17trampoline_kernelINS0_14default_configENS1_25partition_config_selectorILNS1_17partition_subalgoE5ElNS0_10empty_typeEbEEZZNS1_14partition_implILS5_5ELb0ES3_mN6hipcub16HIPCUB_304000_NS21CountingInputIteratorIllEEPS6_NSA_22TransformInputIteratorIb7NonZeroIfEPflEENS0_5tupleIJPlS6_EEENSJ_IJSD_SD_EEES6_SK_JS6_EEE10hipError_tPvRmT3_T4_T5_T6_T7_T9_mT8_P12ihipStream_tbDpT10_ENKUlT_T0_E_clISt17integral_constantIbLb0EES15_IbLb1EEEEDaS11_S12_EUlS11_E_NS1_11comp_targetILNS1_3genE4ELNS1_11target_archE910ELNS1_3gpuE8ELNS1_3repE0EEENS1_30default_config_static_selectorELNS0_4arch9wavefront6targetE1EEEvT1_.num_vgpr, 0
	.set _ZN7rocprim17ROCPRIM_400000_NS6detail17trampoline_kernelINS0_14default_configENS1_25partition_config_selectorILNS1_17partition_subalgoE5ElNS0_10empty_typeEbEEZZNS1_14partition_implILS5_5ELb0ES3_mN6hipcub16HIPCUB_304000_NS21CountingInputIteratorIllEEPS6_NSA_22TransformInputIteratorIb7NonZeroIfEPflEENS0_5tupleIJPlS6_EEENSJ_IJSD_SD_EEES6_SK_JS6_EEE10hipError_tPvRmT3_T4_T5_T6_T7_T9_mT8_P12ihipStream_tbDpT10_ENKUlT_T0_E_clISt17integral_constantIbLb0EES15_IbLb1EEEEDaS11_S12_EUlS11_E_NS1_11comp_targetILNS1_3genE4ELNS1_11target_archE910ELNS1_3gpuE8ELNS1_3repE0EEENS1_30default_config_static_selectorELNS0_4arch9wavefront6targetE1EEEvT1_.num_agpr, 0
	.set _ZN7rocprim17ROCPRIM_400000_NS6detail17trampoline_kernelINS0_14default_configENS1_25partition_config_selectorILNS1_17partition_subalgoE5ElNS0_10empty_typeEbEEZZNS1_14partition_implILS5_5ELb0ES3_mN6hipcub16HIPCUB_304000_NS21CountingInputIteratorIllEEPS6_NSA_22TransformInputIteratorIb7NonZeroIfEPflEENS0_5tupleIJPlS6_EEENSJ_IJSD_SD_EEES6_SK_JS6_EEE10hipError_tPvRmT3_T4_T5_T6_T7_T9_mT8_P12ihipStream_tbDpT10_ENKUlT_T0_E_clISt17integral_constantIbLb0EES15_IbLb1EEEEDaS11_S12_EUlS11_E_NS1_11comp_targetILNS1_3genE4ELNS1_11target_archE910ELNS1_3gpuE8ELNS1_3repE0EEENS1_30default_config_static_selectorELNS0_4arch9wavefront6targetE1EEEvT1_.numbered_sgpr, 0
	.set _ZN7rocprim17ROCPRIM_400000_NS6detail17trampoline_kernelINS0_14default_configENS1_25partition_config_selectorILNS1_17partition_subalgoE5ElNS0_10empty_typeEbEEZZNS1_14partition_implILS5_5ELb0ES3_mN6hipcub16HIPCUB_304000_NS21CountingInputIteratorIllEEPS6_NSA_22TransformInputIteratorIb7NonZeroIfEPflEENS0_5tupleIJPlS6_EEENSJ_IJSD_SD_EEES6_SK_JS6_EEE10hipError_tPvRmT3_T4_T5_T6_T7_T9_mT8_P12ihipStream_tbDpT10_ENKUlT_T0_E_clISt17integral_constantIbLb0EES15_IbLb1EEEEDaS11_S12_EUlS11_E_NS1_11comp_targetILNS1_3genE4ELNS1_11target_archE910ELNS1_3gpuE8ELNS1_3repE0EEENS1_30default_config_static_selectorELNS0_4arch9wavefront6targetE1EEEvT1_.num_named_barrier, 0
	.set _ZN7rocprim17ROCPRIM_400000_NS6detail17trampoline_kernelINS0_14default_configENS1_25partition_config_selectorILNS1_17partition_subalgoE5ElNS0_10empty_typeEbEEZZNS1_14partition_implILS5_5ELb0ES3_mN6hipcub16HIPCUB_304000_NS21CountingInputIteratorIllEEPS6_NSA_22TransformInputIteratorIb7NonZeroIfEPflEENS0_5tupleIJPlS6_EEENSJ_IJSD_SD_EEES6_SK_JS6_EEE10hipError_tPvRmT3_T4_T5_T6_T7_T9_mT8_P12ihipStream_tbDpT10_ENKUlT_T0_E_clISt17integral_constantIbLb0EES15_IbLb1EEEEDaS11_S12_EUlS11_E_NS1_11comp_targetILNS1_3genE4ELNS1_11target_archE910ELNS1_3gpuE8ELNS1_3repE0EEENS1_30default_config_static_selectorELNS0_4arch9wavefront6targetE1EEEvT1_.private_seg_size, 0
	.set _ZN7rocprim17ROCPRIM_400000_NS6detail17trampoline_kernelINS0_14default_configENS1_25partition_config_selectorILNS1_17partition_subalgoE5ElNS0_10empty_typeEbEEZZNS1_14partition_implILS5_5ELb0ES3_mN6hipcub16HIPCUB_304000_NS21CountingInputIteratorIllEEPS6_NSA_22TransformInputIteratorIb7NonZeroIfEPflEENS0_5tupleIJPlS6_EEENSJ_IJSD_SD_EEES6_SK_JS6_EEE10hipError_tPvRmT3_T4_T5_T6_T7_T9_mT8_P12ihipStream_tbDpT10_ENKUlT_T0_E_clISt17integral_constantIbLb0EES15_IbLb1EEEEDaS11_S12_EUlS11_E_NS1_11comp_targetILNS1_3genE4ELNS1_11target_archE910ELNS1_3gpuE8ELNS1_3repE0EEENS1_30default_config_static_selectorELNS0_4arch9wavefront6targetE1EEEvT1_.uses_vcc, 0
	.set _ZN7rocprim17ROCPRIM_400000_NS6detail17trampoline_kernelINS0_14default_configENS1_25partition_config_selectorILNS1_17partition_subalgoE5ElNS0_10empty_typeEbEEZZNS1_14partition_implILS5_5ELb0ES3_mN6hipcub16HIPCUB_304000_NS21CountingInputIteratorIllEEPS6_NSA_22TransformInputIteratorIb7NonZeroIfEPflEENS0_5tupleIJPlS6_EEENSJ_IJSD_SD_EEES6_SK_JS6_EEE10hipError_tPvRmT3_T4_T5_T6_T7_T9_mT8_P12ihipStream_tbDpT10_ENKUlT_T0_E_clISt17integral_constantIbLb0EES15_IbLb1EEEEDaS11_S12_EUlS11_E_NS1_11comp_targetILNS1_3genE4ELNS1_11target_archE910ELNS1_3gpuE8ELNS1_3repE0EEENS1_30default_config_static_selectorELNS0_4arch9wavefront6targetE1EEEvT1_.uses_flat_scratch, 0
	.set _ZN7rocprim17ROCPRIM_400000_NS6detail17trampoline_kernelINS0_14default_configENS1_25partition_config_selectorILNS1_17partition_subalgoE5ElNS0_10empty_typeEbEEZZNS1_14partition_implILS5_5ELb0ES3_mN6hipcub16HIPCUB_304000_NS21CountingInputIteratorIllEEPS6_NSA_22TransformInputIteratorIb7NonZeroIfEPflEENS0_5tupleIJPlS6_EEENSJ_IJSD_SD_EEES6_SK_JS6_EEE10hipError_tPvRmT3_T4_T5_T6_T7_T9_mT8_P12ihipStream_tbDpT10_ENKUlT_T0_E_clISt17integral_constantIbLb0EES15_IbLb1EEEEDaS11_S12_EUlS11_E_NS1_11comp_targetILNS1_3genE4ELNS1_11target_archE910ELNS1_3gpuE8ELNS1_3repE0EEENS1_30default_config_static_selectorELNS0_4arch9wavefront6targetE1EEEvT1_.has_dyn_sized_stack, 0
	.set _ZN7rocprim17ROCPRIM_400000_NS6detail17trampoline_kernelINS0_14default_configENS1_25partition_config_selectorILNS1_17partition_subalgoE5ElNS0_10empty_typeEbEEZZNS1_14partition_implILS5_5ELb0ES3_mN6hipcub16HIPCUB_304000_NS21CountingInputIteratorIllEEPS6_NSA_22TransformInputIteratorIb7NonZeroIfEPflEENS0_5tupleIJPlS6_EEENSJ_IJSD_SD_EEES6_SK_JS6_EEE10hipError_tPvRmT3_T4_T5_T6_T7_T9_mT8_P12ihipStream_tbDpT10_ENKUlT_T0_E_clISt17integral_constantIbLb0EES15_IbLb1EEEEDaS11_S12_EUlS11_E_NS1_11comp_targetILNS1_3genE4ELNS1_11target_archE910ELNS1_3gpuE8ELNS1_3repE0EEENS1_30default_config_static_selectorELNS0_4arch9wavefront6targetE1EEEvT1_.has_recursion, 0
	.set _ZN7rocprim17ROCPRIM_400000_NS6detail17trampoline_kernelINS0_14default_configENS1_25partition_config_selectorILNS1_17partition_subalgoE5ElNS0_10empty_typeEbEEZZNS1_14partition_implILS5_5ELb0ES3_mN6hipcub16HIPCUB_304000_NS21CountingInputIteratorIllEEPS6_NSA_22TransformInputIteratorIb7NonZeroIfEPflEENS0_5tupleIJPlS6_EEENSJ_IJSD_SD_EEES6_SK_JS6_EEE10hipError_tPvRmT3_T4_T5_T6_T7_T9_mT8_P12ihipStream_tbDpT10_ENKUlT_T0_E_clISt17integral_constantIbLb0EES15_IbLb1EEEEDaS11_S12_EUlS11_E_NS1_11comp_targetILNS1_3genE4ELNS1_11target_archE910ELNS1_3gpuE8ELNS1_3repE0EEENS1_30default_config_static_selectorELNS0_4arch9wavefront6targetE1EEEvT1_.has_indirect_call, 0
	.section	.AMDGPU.csdata,"",@progbits
; Kernel info:
; codeLenInByte = 0
; TotalNumSgprs: 6
; NumVgprs: 0
; NumAgprs: 0
; TotalNumVgprs: 0
; ScratchSize: 0
; MemoryBound: 0
; FloatMode: 240
; IeeeMode: 1
; LDSByteSize: 0 bytes/workgroup (compile time only)
; SGPRBlocks: 0
; VGPRBlocks: 0
; NumSGPRsForWavesPerEU: 6
; NumVGPRsForWavesPerEU: 1
; AccumOffset: 4
; Occupancy: 8
; WaveLimiterHint : 0
; COMPUTE_PGM_RSRC2:SCRATCH_EN: 0
; COMPUTE_PGM_RSRC2:USER_SGPR: 2
; COMPUTE_PGM_RSRC2:TRAP_HANDLER: 0
; COMPUTE_PGM_RSRC2:TGID_X_EN: 1
; COMPUTE_PGM_RSRC2:TGID_Y_EN: 0
; COMPUTE_PGM_RSRC2:TGID_Z_EN: 0
; COMPUTE_PGM_RSRC2:TIDIG_COMP_CNT: 0
; COMPUTE_PGM_RSRC3_GFX90A:ACCUM_OFFSET: 0
; COMPUTE_PGM_RSRC3_GFX90A:TG_SPLIT: 0
	.section	.text._ZN7rocprim17ROCPRIM_400000_NS6detail17trampoline_kernelINS0_14default_configENS1_25partition_config_selectorILNS1_17partition_subalgoE5ElNS0_10empty_typeEbEEZZNS1_14partition_implILS5_5ELb0ES3_mN6hipcub16HIPCUB_304000_NS21CountingInputIteratorIllEEPS6_NSA_22TransformInputIteratorIb7NonZeroIfEPflEENS0_5tupleIJPlS6_EEENSJ_IJSD_SD_EEES6_SK_JS6_EEE10hipError_tPvRmT3_T4_T5_T6_T7_T9_mT8_P12ihipStream_tbDpT10_ENKUlT_T0_E_clISt17integral_constantIbLb0EES15_IbLb1EEEEDaS11_S12_EUlS11_E_NS1_11comp_targetILNS1_3genE3ELNS1_11target_archE908ELNS1_3gpuE7ELNS1_3repE0EEENS1_30default_config_static_selectorELNS0_4arch9wavefront6targetE1EEEvT1_,"axG",@progbits,_ZN7rocprim17ROCPRIM_400000_NS6detail17trampoline_kernelINS0_14default_configENS1_25partition_config_selectorILNS1_17partition_subalgoE5ElNS0_10empty_typeEbEEZZNS1_14partition_implILS5_5ELb0ES3_mN6hipcub16HIPCUB_304000_NS21CountingInputIteratorIllEEPS6_NSA_22TransformInputIteratorIb7NonZeroIfEPflEENS0_5tupleIJPlS6_EEENSJ_IJSD_SD_EEES6_SK_JS6_EEE10hipError_tPvRmT3_T4_T5_T6_T7_T9_mT8_P12ihipStream_tbDpT10_ENKUlT_T0_E_clISt17integral_constantIbLb0EES15_IbLb1EEEEDaS11_S12_EUlS11_E_NS1_11comp_targetILNS1_3genE3ELNS1_11target_archE908ELNS1_3gpuE7ELNS1_3repE0EEENS1_30default_config_static_selectorELNS0_4arch9wavefront6targetE1EEEvT1_,comdat
	.protected	_ZN7rocprim17ROCPRIM_400000_NS6detail17trampoline_kernelINS0_14default_configENS1_25partition_config_selectorILNS1_17partition_subalgoE5ElNS0_10empty_typeEbEEZZNS1_14partition_implILS5_5ELb0ES3_mN6hipcub16HIPCUB_304000_NS21CountingInputIteratorIllEEPS6_NSA_22TransformInputIteratorIb7NonZeroIfEPflEENS0_5tupleIJPlS6_EEENSJ_IJSD_SD_EEES6_SK_JS6_EEE10hipError_tPvRmT3_T4_T5_T6_T7_T9_mT8_P12ihipStream_tbDpT10_ENKUlT_T0_E_clISt17integral_constantIbLb0EES15_IbLb1EEEEDaS11_S12_EUlS11_E_NS1_11comp_targetILNS1_3genE3ELNS1_11target_archE908ELNS1_3gpuE7ELNS1_3repE0EEENS1_30default_config_static_selectorELNS0_4arch9wavefront6targetE1EEEvT1_ ; -- Begin function _ZN7rocprim17ROCPRIM_400000_NS6detail17trampoline_kernelINS0_14default_configENS1_25partition_config_selectorILNS1_17partition_subalgoE5ElNS0_10empty_typeEbEEZZNS1_14partition_implILS5_5ELb0ES3_mN6hipcub16HIPCUB_304000_NS21CountingInputIteratorIllEEPS6_NSA_22TransformInputIteratorIb7NonZeroIfEPflEENS0_5tupleIJPlS6_EEENSJ_IJSD_SD_EEES6_SK_JS6_EEE10hipError_tPvRmT3_T4_T5_T6_T7_T9_mT8_P12ihipStream_tbDpT10_ENKUlT_T0_E_clISt17integral_constantIbLb0EES15_IbLb1EEEEDaS11_S12_EUlS11_E_NS1_11comp_targetILNS1_3genE3ELNS1_11target_archE908ELNS1_3gpuE7ELNS1_3repE0EEENS1_30default_config_static_selectorELNS0_4arch9wavefront6targetE1EEEvT1_
	.globl	_ZN7rocprim17ROCPRIM_400000_NS6detail17trampoline_kernelINS0_14default_configENS1_25partition_config_selectorILNS1_17partition_subalgoE5ElNS0_10empty_typeEbEEZZNS1_14partition_implILS5_5ELb0ES3_mN6hipcub16HIPCUB_304000_NS21CountingInputIteratorIllEEPS6_NSA_22TransformInputIteratorIb7NonZeroIfEPflEENS0_5tupleIJPlS6_EEENSJ_IJSD_SD_EEES6_SK_JS6_EEE10hipError_tPvRmT3_T4_T5_T6_T7_T9_mT8_P12ihipStream_tbDpT10_ENKUlT_T0_E_clISt17integral_constantIbLb0EES15_IbLb1EEEEDaS11_S12_EUlS11_E_NS1_11comp_targetILNS1_3genE3ELNS1_11target_archE908ELNS1_3gpuE7ELNS1_3repE0EEENS1_30default_config_static_selectorELNS0_4arch9wavefront6targetE1EEEvT1_
	.p2align	8
	.type	_ZN7rocprim17ROCPRIM_400000_NS6detail17trampoline_kernelINS0_14default_configENS1_25partition_config_selectorILNS1_17partition_subalgoE5ElNS0_10empty_typeEbEEZZNS1_14partition_implILS5_5ELb0ES3_mN6hipcub16HIPCUB_304000_NS21CountingInputIteratorIllEEPS6_NSA_22TransformInputIteratorIb7NonZeroIfEPflEENS0_5tupleIJPlS6_EEENSJ_IJSD_SD_EEES6_SK_JS6_EEE10hipError_tPvRmT3_T4_T5_T6_T7_T9_mT8_P12ihipStream_tbDpT10_ENKUlT_T0_E_clISt17integral_constantIbLb0EES15_IbLb1EEEEDaS11_S12_EUlS11_E_NS1_11comp_targetILNS1_3genE3ELNS1_11target_archE908ELNS1_3gpuE7ELNS1_3repE0EEENS1_30default_config_static_selectorELNS0_4arch9wavefront6targetE1EEEvT1_,@function
_ZN7rocprim17ROCPRIM_400000_NS6detail17trampoline_kernelINS0_14default_configENS1_25partition_config_selectorILNS1_17partition_subalgoE5ElNS0_10empty_typeEbEEZZNS1_14partition_implILS5_5ELb0ES3_mN6hipcub16HIPCUB_304000_NS21CountingInputIteratorIllEEPS6_NSA_22TransformInputIteratorIb7NonZeroIfEPflEENS0_5tupleIJPlS6_EEENSJ_IJSD_SD_EEES6_SK_JS6_EEE10hipError_tPvRmT3_T4_T5_T6_T7_T9_mT8_P12ihipStream_tbDpT10_ENKUlT_T0_E_clISt17integral_constantIbLb0EES15_IbLb1EEEEDaS11_S12_EUlS11_E_NS1_11comp_targetILNS1_3genE3ELNS1_11target_archE908ELNS1_3gpuE7ELNS1_3repE0EEENS1_30default_config_static_selectorELNS0_4arch9wavefront6targetE1EEEvT1_: ; @_ZN7rocprim17ROCPRIM_400000_NS6detail17trampoline_kernelINS0_14default_configENS1_25partition_config_selectorILNS1_17partition_subalgoE5ElNS0_10empty_typeEbEEZZNS1_14partition_implILS5_5ELb0ES3_mN6hipcub16HIPCUB_304000_NS21CountingInputIteratorIllEEPS6_NSA_22TransformInputIteratorIb7NonZeroIfEPflEENS0_5tupleIJPlS6_EEENSJ_IJSD_SD_EEES6_SK_JS6_EEE10hipError_tPvRmT3_T4_T5_T6_T7_T9_mT8_P12ihipStream_tbDpT10_ENKUlT_T0_E_clISt17integral_constantIbLb0EES15_IbLb1EEEEDaS11_S12_EUlS11_E_NS1_11comp_targetILNS1_3genE3ELNS1_11target_archE908ELNS1_3gpuE7ELNS1_3repE0EEENS1_30default_config_static_selectorELNS0_4arch9wavefront6targetE1EEEvT1_
; %bb.0:
	.section	.rodata,"a",@progbits
	.p2align	6, 0x0
	.amdhsa_kernel _ZN7rocprim17ROCPRIM_400000_NS6detail17trampoline_kernelINS0_14default_configENS1_25partition_config_selectorILNS1_17partition_subalgoE5ElNS0_10empty_typeEbEEZZNS1_14partition_implILS5_5ELb0ES3_mN6hipcub16HIPCUB_304000_NS21CountingInputIteratorIllEEPS6_NSA_22TransformInputIteratorIb7NonZeroIfEPflEENS0_5tupleIJPlS6_EEENSJ_IJSD_SD_EEES6_SK_JS6_EEE10hipError_tPvRmT3_T4_T5_T6_T7_T9_mT8_P12ihipStream_tbDpT10_ENKUlT_T0_E_clISt17integral_constantIbLb0EES15_IbLb1EEEEDaS11_S12_EUlS11_E_NS1_11comp_targetILNS1_3genE3ELNS1_11target_archE908ELNS1_3gpuE7ELNS1_3repE0EEENS1_30default_config_static_selectorELNS0_4arch9wavefront6targetE1EEEvT1_
		.amdhsa_group_segment_fixed_size 0
		.amdhsa_private_segment_fixed_size 0
		.amdhsa_kernarg_size 136
		.amdhsa_user_sgpr_count 2
		.amdhsa_user_sgpr_dispatch_ptr 0
		.amdhsa_user_sgpr_queue_ptr 0
		.amdhsa_user_sgpr_kernarg_segment_ptr 1
		.amdhsa_user_sgpr_dispatch_id 0
		.amdhsa_user_sgpr_kernarg_preload_length 0
		.amdhsa_user_sgpr_kernarg_preload_offset 0
		.amdhsa_user_sgpr_private_segment_size 0
		.amdhsa_uses_dynamic_stack 0
		.amdhsa_enable_private_segment 0
		.amdhsa_system_sgpr_workgroup_id_x 1
		.amdhsa_system_sgpr_workgroup_id_y 0
		.amdhsa_system_sgpr_workgroup_id_z 0
		.amdhsa_system_sgpr_workgroup_info 0
		.amdhsa_system_vgpr_workitem_id 0
		.amdhsa_next_free_vgpr 1
		.amdhsa_next_free_sgpr 0
		.amdhsa_accum_offset 4
		.amdhsa_reserve_vcc 0
		.amdhsa_float_round_mode_32 0
		.amdhsa_float_round_mode_16_64 0
		.amdhsa_float_denorm_mode_32 3
		.amdhsa_float_denorm_mode_16_64 3
		.amdhsa_dx10_clamp 1
		.amdhsa_ieee_mode 1
		.amdhsa_fp16_overflow 0
		.amdhsa_tg_split 0
		.amdhsa_exception_fp_ieee_invalid_op 0
		.amdhsa_exception_fp_denorm_src 0
		.amdhsa_exception_fp_ieee_div_zero 0
		.amdhsa_exception_fp_ieee_overflow 0
		.amdhsa_exception_fp_ieee_underflow 0
		.amdhsa_exception_fp_ieee_inexact 0
		.amdhsa_exception_int_div_zero 0
	.end_amdhsa_kernel
	.section	.text._ZN7rocprim17ROCPRIM_400000_NS6detail17trampoline_kernelINS0_14default_configENS1_25partition_config_selectorILNS1_17partition_subalgoE5ElNS0_10empty_typeEbEEZZNS1_14partition_implILS5_5ELb0ES3_mN6hipcub16HIPCUB_304000_NS21CountingInputIteratorIllEEPS6_NSA_22TransformInputIteratorIb7NonZeroIfEPflEENS0_5tupleIJPlS6_EEENSJ_IJSD_SD_EEES6_SK_JS6_EEE10hipError_tPvRmT3_T4_T5_T6_T7_T9_mT8_P12ihipStream_tbDpT10_ENKUlT_T0_E_clISt17integral_constantIbLb0EES15_IbLb1EEEEDaS11_S12_EUlS11_E_NS1_11comp_targetILNS1_3genE3ELNS1_11target_archE908ELNS1_3gpuE7ELNS1_3repE0EEENS1_30default_config_static_selectorELNS0_4arch9wavefront6targetE1EEEvT1_,"axG",@progbits,_ZN7rocprim17ROCPRIM_400000_NS6detail17trampoline_kernelINS0_14default_configENS1_25partition_config_selectorILNS1_17partition_subalgoE5ElNS0_10empty_typeEbEEZZNS1_14partition_implILS5_5ELb0ES3_mN6hipcub16HIPCUB_304000_NS21CountingInputIteratorIllEEPS6_NSA_22TransformInputIteratorIb7NonZeroIfEPflEENS0_5tupleIJPlS6_EEENSJ_IJSD_SD_EEES6_SK_JS6_EEE10hipError_tPvRmT3_T4_T5_T6_T7_T9_mT8_P12ihipStream_tbDpT10_ENKUlT_T0_E_clISt17integral_constantIbLb0EES15_IbLb1EEEEDaS11_S12_EUlS11_E_NS1_11comp_targetILNS1_3genE3ELNS1_11target_archE908ELNS1_3gpuE7ELNS1_3repE0EEENS1_30default_config_static_selectorELNS0_4arch9wavefront6targetE1EEEvT1_,comdat
.Lfunc_end280:
	.size	_ZN7rocprim17ROCPRIM_400000_NS6detail17trampoline_kernelINS0_14default_configENS1_25partition_config_selectorILNS1_17partition_subalgoE5ElNS0_10empty_typeEbEEZZNS1_14partition_implILS5_5ELb0ES3_mN6hipcub16HIPCUB_304000_NS21CountingInputIteratorIllEEPS6_NSA_22TransformInputIteratorIb7NonZeroIfEPflEENS0_5tupleIJPlS6_EEENSJ_IJSD_SD_EEES6_SK_JS6_EEE10hipError_tPvRmT3_T4_T5_T6_T7_T9_mT8_P12ihipStream_tbDpT10_ENKUlT_T0_E_clISt17integral_constantIbLb0EES15_IbLb1EEEEDaS11_S12_EUlS11_E_NS1_11comp_targetILNS1_3genE3ELNS1_11target_archE908ELNS1_3gpuE7ELNS1_3repE0EEENS1_30default_config_static_selectorELNS0_4arch9wavefront6targetE1EEEvT1_, .Lfunc_end280-_ZN7rocprim17ROCPRIM_400000_NS6detail17trampoline_kernelINS0_14default_configENS1_25partition_config_selectorILNS1_17partition_subalgoE5ElNS0_10empty_typeEbEEZZNS1_14partition_implILS5_5ELb0ES3_mN6hipcub16HIPCUB_304000_NS21CountingInputIteratorIllEEPS6_NSA_22TransformInputIteratorIb7NonZeroIfEPflEENS0_5tupleIJPlS6_EEENSJ_IJSD_SD_EEES6_SK_JS6_EEE10hipError_tPvRmT3_T4_T5_T6_T7_T9_mT8_P12ihipStream_tbDpT10_ENKUlT_T0_E_clISt17integral_constantIbLb0EES15_IbLb1EEEEDaS11_S12_EUlS11_E_NS1_11comp_targetILNS1_3genE3ELNS1_11target_archE908ELNS1_3gpuE7ELNS1_3repE0EEENS1_30default_config_static_selectorELNS0_4arch9wavefront6targetE1EEEvT1_
                                        ; -- End function
	.set _ZN7rocprim17ROCPRIM_400000_NS6detail17trampoline_kernelINS0_14default_configENS1_25partition_config_selectorILNS1_17partition_subalgoE5ElNS0_10empty_typeEbEEZZNS1_14partition_implILS5_5ELb0ES3_mN6hipcub16HIPCUB_304000_NS21CountingInputIteratorIllEEPS6_NSA_22TransformInputIteratorIb7NonZeroIfEPflEENS0_5tupleIJPlS6_EEENSJ_IJSD_SD_EEES6_SK_JS6_EEE10hipError_tPvRmT3_T4_T5_T6_T7_T9_mT8_P12ihipStream_tbDpT10_ENKUlT_T0_E_clISt17integral_constantIbLb0EES15_IbLb1EEEEDaS11_S12_EUlS11_E_NS1_11comp_targetILNS1_3genE3ELNS1_11target_archE908ELNS1_3gpuE7ELNS1_3repE0EEENS1_30default_config_static_selectorELNS0_4arch9wavefront6targetE1EEEvT1_.num_vgpr, 0
	.set _ZN7rocprim17ROCPRIM_400000_NS6detail17trampoline_kernelINS0_14default_configENS1_25partition_config_selectorILNS1_17partition_subalgoE5ElNS0_10empty_typeEbEEZZNS1_14partition_implILS5_5ELb0ES3_mN6hipcub16HIPCUB_304000_NS21CountingInputIteratorIllEEPS6_NSA_22TransformInputIteratorIb7NonZeroIfEPflEENS0_5tupleIJPlS6_EEENSJ_IJSD_SD_EEES6_SK_JS6_EEE10hipError_tPvRmT3_T4_T5_T6_T7_T9_mT8_P12ihipStream_tbDpT10_ENKUlT_T0_E_clISt17integral_constantIbLb0EES15_IbLb1EEEEDaS11_S12_EUlS11_E_NS1_11comp_targetILNS1_3genE3ELNS1_11target_archE908ELNS1_3gpuE7ELNS1_3repE0EEENS1_30default_config_static_selectorELNS0_4arch9wavefront6targetE1EEEvT1_.num_agpr, 0
	.set _ZN7rocprim17ROCPRIM_400000_NS6detail17trampoline_kernelINS0_14default_configENS1_25partition_config_selectorILNS1_17partition_subalgoE5ElNS0_10empty_typeEbEEZZNS1_14partition_implILS5_5ELb0ES3_mN6hipcub16HIPCUB_304000_NS21CountingInputIteratorIllEEPS6_NSA_22TransformInputIteratorIb7NonZeroIfEPflEENS0_5tupleIJPlS6_EEENSJ_IJSD_SD_EEES6_SK_JS6_EEE10hipError_tPvRmT3_T4_T5_T6_T7_T9_mT8_P12ihipStream_tbDpT10_ENKUlT_T0_E_clISt17integral_constantIbLb0EES15_IbLb1EEEEDaS11_S12_EUlS11_E_NS1_11comp_targetILNS1_3genE3ELNS1_11target_archE908ELNS1_3gpuE7ELNS1_3repE0EEENS1_30default_config_static_selectorELNS0_4arch9wavefront6targetE1EEEvT1_.numbered_sgpr, 0
	.set _ZN7rocprim17ROCPRIM_400000_NS6detail17trampoline_kernelINS0_14default_configENS1_25partition_config_selectorILNS1_17partition_subalgoE5ElNS0_10empty_typeEbEEZZNS1_14partition_implILS5_5ELb0ES3_mN6hipcub16HIPCUB_304000_NS21CountingInputIteratorIllEEPS6_NSA_22TransformInputIteratorIb7NonZeroIfEPflEENS0_5tupleIJPlS6_EEENSJ_IJSD_SD_EEES6_SK_JS6_EEE10hipError_tPvRmT3_T4_T5_T6_T7_T9_mT8_P12ihipStream_tbDpT10_ENKUlT_T0_E_clISt17integral_constantIbLb0EES15_IbLb1EEEEDaS11_S12_EUlS11_E_NS1_11comp_targetILNS1_3genE3ELNS1_11target_archE908ELNS1_3gpuE7ELNS1_3repE0EEENS1_30default_config_static_selectorELNS0_4arch9wavefront6targetE1EEEvT1_.num_named_barrier, 0
	.set _ZN7rocprim17ROCPRIM_400000_NS6detail17trampoline_kernelINS0_14default_configENS1_25partition_config_selectorILNS1_17partition_subalgoE5ElNS0_10empty_typeEbEEZZNS1_14partition_implILS5_5ELb0ES3_mN6hipcub16HIPCUB_304000_NS21CountingInputIteratorIllEEPS6_NSA_22TransformInputIteratorIb7NonZeroIfEPflEENS0_5tupleIJPlS6_EEENSJ_IJSD_SD_EEES6_SK_JS6_EEE10hipError_tPvRmT3_T4_T5_T6_T7_T9_mT8_P12ihipStream_tbDpT10_ENKUlT_T0_E_clISt17integral_constantIbLb0EES15_IbLb1EEEEDaS11_S12_EUlS11_E_NS1_11comp_targetILNS1_3genE3ELNS1_11target_archE908ELNS1_3gpuE7ELNS1_3repE0EEENS1_30default_config_static_selectorELNS0_4arch9wavefront6targetE1EEEvT1_.private_seg_size, 0
	.set _ZN7rocprim17ROCPRIM_400000_NS6detail17trampoline_kernelINS0_14default_configENS1_25partition_config_selectorILNS1_17partition_subalgoE5ElNS0_10empty_typeEbEEZZNS1_14partition_implILS5_5ELb0ES3_mN6hipcub16HIPCUB_304000_NS21CountingInputIteratorIllEEPS6_NSA_22TransformInputIteratorIb7NonZeroIfEPflEENS0_5tupleIJPlS6_EEENSJ_IJSD_SD_EEES6_SK_JS6_EEE10hipError_tPvRmT3_T4_T5_T6_T7_T9_mT8_P12ihipStream_tbDpT10_ENKUlT_T0_E_clISt17integral_constantIbLb0EES15_IbLb1EEEEDaS11_S12_EUlS11_E_NS1_11comp_targetILNS1_3genE3ELNS1_11target_archE908ELNS1_3gpuE7ELNS1_3repE0EEENS1_30default_config_static_selectorELNS0_4arch9wavefront6targetE1EEEvT1_.uses_vcc, 0
	.set _ZN7rocprim17ROCPRIM_400000_NS6detail17trampoline_kernelINS0_14default_configENS1_25partition_config_selectorILNS1_17partition_subalgoE5ElNS0_10empty_typeEbEEZZNS1_14partition_implILS5_5ELb0ES3_mN6hipcub16HIPCUB_304000_NS21CountingInputIteratorIllEEPS6_NSA_22TransformInputIteratorIb7NonZeroIfEPflEENS0_5tupleIJPlS6_EEENSJ_IJSD_SD_EEES6_SK_JS6_EEE10hipError_tPvRmT3_T4_T5_T6_T7_T9_mT8_P12ihipStream_tbDpT10_ENKUlT_T0_E_clISt17integral_constantIbLb0EES15_IbLb1EEEEDaS11_S12_EUlS11_E_NS1_11comp_targetILNS1_3genE3ELNS1_11target_archE908ELNS1_3gpuE7ELNS1_3repE0EEENS1_30default_config_static_selectorELNS0_4arch9wavefront6targetE1EEEvT1_.uses_flat_scratch, 0
	.set _ZN7rocprim17ROCPRIM_400000_NS6detail17trampoline_kernelINS0_14default_configENS1_25partition_config_selectorILNS1_17partition_subalgoE5ElNS0_10empty_typeEbEEZZNS1_14partition_implILS5_5ELb0ES3_mN6hipcub16HIPCUB_304000_NS21CountingInputIteratorIllEEPS6_NSA_22TransformInputIteratorIb7NonZeroIfEPflEENS0_5tupleIJPlS6_EEENSJ_IJSD_SD_EEES6_SK_JS6_EEE10hipError_tPvRmT3_T4_T5_T6_T7_T9_mT8_P12ihipStream_tbDpT10_ENKUlT_T0_E_clISt17integral_constantIbLb0EES15_IbLb1EEEEDaS11_S12_EUlS11_E_NS1_11comp_targetILNS1_3genE3ELNS1_11target_archE908ELNS1_3gpuE7ELNS1_3repE0EEENS1_30default_config_static_selectorELNS0_4arch9wavefront6targetE1EEEvT1_.has_dyn_sized_stack, 0
	.set _ZN7rocprim17ROCPRIM_400000_NS6detail17trampoline_kernelINS0_14default_configENS1_25partition_config_selectorILNS1_17partition_subalgoE5ElNS0_10empty_typeEbEEZZNS1_14partition_implILS5_5ELb0ES3_mN6hipcub16HIPCUB_304000_NS21CountingInputIteratorIllEEPS6_NSA_22TransformInputIteratorIb7NonZeroIfEPflEENS0_5tupleIJPlS6_EEENSJ_IJSD_SD_EEES6_SK_JS6_EEE10hipError_tPvRmT3_T4_T5_T6_T7_T9_mT8_P12ihipStream_tbDpT10_ENKUlT_T0_E_clISt17integral_constantIbLb0EES15_IbLb1EEEEDaS11_S12_EUlS11_E_NS1_11comp_targetILNS1_3genE3ELNS1_11target_archE908ELNS1_3gpuE7ELNS1_3repE0EEENS1_30default_config_static_selectorELNS0_4arch9wavefront6targetE1EEEvT1_.has_recursion, 0
	.set _ZN7rocprim17ROCPRIM_400000_NS6detail17trampoline_kernelINS0_14default_configENS1_25partition_config_selectorILNS1_17partition_subalgoE5ElNS0_10empty_typeEbEEZZNS1_14partition_implILS5_5ELb0ES3_mN6hipcub16HIPCUB_304000_NS21CountingInputIteratorIllEEPS6_NSA_22TransformInputIteratorIb7NonZeroIfEPflEENS0_5tupleIJPlS6_EEENSJ_IJSD_SD_EEES6_SK_JS6_EEE10hipError_tPvRmT3_T4_T5_T6_T7_T9_mT8_P12ihipStream_tbDpT10_ENKUlT_T0_E_clISt17integral_constantIbLb0EES15_IbLb1EEEEDaS11_S12_EUlS11_E_NS1_11comp_targetILNS1_3genE3ELNS1_11target_archE908ELNS1_3gpuE7ELNS1_3repE0EEENS1_30default_config_static_selectorELNS0_4arch9wavefront6targetE1EEEvT1_.has_indirect_call, 0
	.section	.AMDGPU.csdata,"",@progbits
; Kernel info:
; codeLenInByte = 0
; TotalNumSgprs: 6
; NumVgprs: 0
; NumAgprs: 0
; TotalNumVgprs: 0
; ScratchSize: 0
; MemoryBound: 0
; FloatMode: 240
; IeeeMode: 1
; LDSByteSize: 0 bytes/workgroup (compile time only)
; SGPRBlocks: 0
; VGPRBlocks: 0
; NumSGPRsForWavesPerEU: 6
; NumVGPRsForWavesPerEU: 1
; AccumOffset: 4
; Occupancy: 8
; WaveLimiterHint : 0
; COMPUTE_PGM_RSRC2:SCRATCH_EN: 0
; COMPUTE_PGM_RSRC2:USER_SGPR: 2
; COMPUTE_PGM_RSRC2:TRAP_HANDLER: 0
; COMPUTE_PGM_RSRC2:TGID_X_EN: 1
; COMPUTE_PGM_RSRC2:TGID_Y_EN: 0
; COMPUTE_PGM_RSRC2:TGID_Z_EN: 0
; COMPUTE_PGM_RSRC2:TIDIG_COMP_CNT: 0
; COMPUTE_PGM_RSRC3_GFX90A:ACCUM_OFFSET: 0
; COMPUTE_PGM_RSRC3_GFX90A:TG_SPLIT: 0
	.section	.text._ZN7rocprim17ROCPRIM_400000_NS6detail17trampoline_kernelINS0_14default_configENS1_25partition_config_selectorILNS1_17partition_subalgoE5ElNS0_10empty_typeEbEEZZNS1_14partition_implILS5_5ELb0ES3_mN6hipcub16HIPCUB_304000_NS21CountingInputIteratorIllEEPS6_NSA_22TransformInputIteratorIb7NonZeroIfEPflEENS0_5tupleIJPlS6_EEENSJ_IJSD_SD_EEES6_SK_JS6_EEE10hipError_tPvRmT3_T4_T5_T6_T7_T9_mT8_P12ihipStream_tbDpT10_ENKUlT_T0_E_clISt17integral_constantIbLb0EES15_IbLb1EEEEDaS11_S12_EUlS11_E_NS1_11comp_targetILNS1_3genE2ELNS1_11target_archE906ELNS1_3gpuE6ELNS1_3repE0EEENS1_30default_config_static_selectorELNS0_4arch9wavefront6targetE1EEEvT1_,"axG",@progbits,_ZN7rocprim17ROCPRIM_400000_NS6detail17trampoline_kernelINS0_14default_configENS1_25partition_config_selectorILNS1_17partition_subalgoE5ElNS0_10empty_typeEbEEZZNS1_14partition_implILS5_5ELb0ES3_mN6hipcub16HIPCUB_304000_NS21CountingInputIteratorIllEEPS6_NSA_22TransformInputIteratorIb7NonZeroIfEPflEENS0_5tupleIJPlS6_EEENSJ_IJSD_SD_EEES6_SK_JS6_EEE10hipError_tPvRmT3_T4_T5_T6_T7_T9_mT8_P12ihipStream_tbDpT10_ENKUlT_T0_E_clISt17integral_constantIbLb0EES15_IbLb1EEEEDaS11_S12_EUlS11_E_NS1_11comp_targetILNS1_3genE2ELNS1_11target_archE906ELNS1_3gpuE6ELNS1_3repE0EEENS1_30default_config_static_selectorELNS0_4arch9wavefront6targetE1EEEvT1_,comdat
	.protected	_ZN7rocprim17ROCPRIM_400000_NS6detail17trampoline_kernelINS0_14default_configENS1_25partition_config_selectorILNS1_17partition_subalgoE5ElNS0_10empty_typeEbEEZZNS1_14partition_implILS5_5ELb0ES3_mN6hipcub16HIPCUB_304000_NS21CountingInputIteratorIllEEPS6_NSA_22TransformInputIteratorIb7NonZeroIfEPflEENS0_5tupleIJPlS6_EEENSJ_IJSD_SD_EEES6_SK_JS6_EEE10hipError_tPvRmT3_T4_T5_T6_T7_T9_mT8_P12ihipStream_tbDpT10_ENKUlT_T0_E_clISt17integral_constantIbLb0EES15_IbLb1EEEEDaS11_S12_EUlS11_E_NS1_11comp_targetILNS1_3genE2ELNS1_11target_archE906ELNS1_3gpuE6ELNS1_3repE0EEENS1_30default_config_static_selectorELNS0_4arch9wavefront6targetE1EEEvT1_ ; -- Begin function _ZN7rocprim17ROCPRIM_400000_NS6detail17trampoline_kernelINS0_14default_configENS1_25partition_config_selectorILNS1_17partition_subalgoE5ElNS0_10empty_typeEbEEZZNS1_14partition_implILS5_5ELb0ES3_mN6hipcub16HIPCUB_304000_NS21CountingInputIteratorIllEEPS6_NSA_22TransformInputIteratorIb7NonZeroIfEPflEENS0_5tupleIJPlS6_EEENSJ_IJSD_SD_EEES6_SK_JS6_EEE10hipError_tPvRmT3_T4_T5_T6_T7_T9_mT8_P12ihipStream_tbDpT10_ENKUlT_T0_E_clISt17integral_constantIbLb0EES15_IbLb1EEEEDaS11_S12_EUlS11_E_NS1_11comp_targetILNS1_3genE2ELNS1_11target_archE906ELNS1_3gpuE6ELNS1_3repE0EEENS1_30default_config_static_selectorELNS0_4arch9wavefront6targetE1EEEvT1_
	.globl	_ZN7rocprim17ROCPRIM_400000_NS6detail17trampoline_kernelINS0_14default_configENS1_25partition_config_selectorILNS1_17partition_subalgoE5ElNS0_10empty_typeEbEEZZNS1_14partition_implILS5_5ELb0ES3_mN6hipcub16HIPCUB_304000_NS21CountingInputIteratorIllEEPS6_NSA_22TransformInputIteratorIb7NonZeroIfEPflEENS0_5tupleIJPlS6_EEENSJ_IJSD_SD_EEES6_SK_JS6_EEE10hipError_tPvRmT3_T4_T5_T6_T7_T9_mT8_P12ihipStream_tbDpT10_ENKUlT_T0_E_clISt17integral_constantIbLb0EES15_IbLb1EEEEDaS11_S12_EUlS11_E_NS1_11comp_targetILNS1_3genE2ELNS1_11target_archE906ELNS1_3gpuE6ELNS1_3repE0EEENS1_30default_config_static_selectorELNS0_4arch9wavefront6targetE1EEEvT1_
	.p2align	8
	.type	_ZN7rocprim17ROCPRIM_400000_NS6detail17trampoline_kernelINS0_14default_configENS1_25partition_config_selectorILNS1_17partition_subalgoE5ElNS0_10empty_typeEbEEZZNS1_14partition_implILS5_5ELb0ES3_mN6hipcub16HIPCUB_304000_NS21CountingInputIteratorIllEEPS6_NSA_22TransformInputIteratorIb7NonZeroIfEPflEENS0_5tupleIJPlS6_EEENSJ_IJSD_SD_EEES6_SK_JS6_EEE10hipError_tPvRmT3_T4_T5_T6_T7_T9_mT8_P12ihipStream_tbDpT10_ENKUlT_T0_E_clISt17integral_constantIbLb0EES15_IbLb1EEEEDaS11_S12_EUlS11_E_NS1_11comp_targetILNS1_3genE2ELNS1_11target_archE906ELNS1_3gpuE6ELNS1_3repE0EEENS1_30default_config_static_selectorELNS0_4arch9wavefront6targetE1EEEvT1_,@function
_ZN7rocprim17ROCPRIM_400000_NS6detail17trampoline_kernelINS0_14default_configENS1_25partition_config_selectorILNS1_17partition_subalgoE5ElNS0_10empty_typeEbEEZZNS1_14partition_implILS5_5ELb0ES3_mN6hipcub16HIPCUB_304000_NS21CountingInputIteratorIllEEPS6_NSA_22TransformInputIteratorIb7NonZeroIfEPflEENS0_5tupleIJPlS6_EEENSJ_IJSD_SD_EEES6_SK_JS6_EEE10hipError_tPvRmT3_T4_T5_T6_T7_T9_mT8_P12ihipStream_tbDpT10_ENKUlT_T0_E_clISt17integral_constantIbLb0EES15_IbLb1EEEEDaS11_S12_EUlS11_E_NS1_11comp_targetILNS1_3genE2ELNS1_11target_archE906ELNS1_3gpuE6ELNS1_3repE0EEENS1_30default_config_static_selectorELNS0_4arch9wavefront6targetE1EEEvT1_: ; @_ZN7rocprim17ROCPRIM_400000_NS6detail17trampoline_kernelINS0_14default_configENS1_25partition_config_selectorILNS1_17partition_subalgoE5ElNS0_10empty_typeEbEEZZNS1_14partition_implILS5_5ELb0ES3_mN6hipcub16HIPCUB_304000_NS21CountingInputIteratorIllEEPS6_NSA_22TransformInputIteratorIb7NonZeroIfEPflEENS0_5tupleIJPlS6_EEENSJ_IJSD_SD_EEES6_SK_JS6_EEE10hipError_tPvRmT3_T4_T5_T6_T7_T9_mT8_P12ihipStream_tbDpT10_ENKUlT_T0_E_clISt17integral_constantIbLb0EES15_IbLb1EEEEDaS11_S12_EUlS11_E_NS1_11comp_targetILNS1_3genE2ELNS1_11target_archE906ELNS1_3gpuE6ELNS1_3repE0EEENS1_30default_config_static_selectorELNS0_4arch9wavefront6targetE1EEEvT1_
; %bb.0:
	.section	.rodata,"a",@progbits
	.p2align	6, 0x0
	.amdhsa_kernel _ZN7rocprim17ROCPRIM_400000_NS6detail17trampoline_kernelINS0_14default_configENS1_25partition_config_selectorILNS1_17partition_subalgoE5ElNS0_10empty_typeEbEEZZNS1_14partition_implILS5_5ELb0ES3_mN6hipcub16HIPCUB_304000_NS21CountingInputIteratorIllEEPS6_NSA_22TransformInputIteratorIb7NonZeroIfEPflEENS0_5tupleIJPlS6_EEENSJ_IJSD_SD_EEES6_SK_JS6_EEE10hipError_tPvRmT3_T4_T5_T6_T7_T9_mT8_P12ihipStream_tbDpT10_ENKUlT_T0_E_clISt17integral_constantIbLb0EES15_IbLb1EEEEDaS11_S12_EUlS11_E_NS1_11comp_targetILNS1_3genE2ELNS1_11target_archE906ELNS1_3gpuE6ELNS1_3repE0EEENS1_30default_config_static_selectorELNS0_4arch9wavefront6targetE1EEEvT1_
		.amdhsa_group_segment_fixed_size 0
		.amdhsa_private_segment_fixed_size 0
		.amdhsa_kernarg_size 136
		.amdhsa_user_sgpr_count 2
		.amdhsa_user_sgpr_dispatch_ptr 0
		.amdhsa_user_sgpr_queue_ptr 0
		.amdhsa_user_sgpr_kernarg_segment_ptr 1
		.amdhsa_user_sgpr_dispatch_id 0
		.amdhsa_user_sgpr_kernarg_preload_length 0
		.amdhsa_user_sgpr_kernarg_preload_offset 0
		.amdhsa_user_sgpr_private_segment_size 0
		.amdhsa_uses_dynamic_stack 0
		.amdhsa_enable_private_segment 0
		.amdhsa_system_sgpr_workgroup_id_x 1
		.amdhsa_system_sgpr_workgroup_id_y 0
		.amdhsa_system_sgpr_workgroup_id_z 0
		.amdhsa_system_sgpr_workgroup_info 0
		.amdhsa_system_vgpr_workitem_id 0
		.amdhsa_next_free_vgpr 1
		.amdhsa_next_free_sgpr 0
		.amdhsa_accum_offset 4
		.amdhsa_reserve_vcc 0
		.amdhsa_float_round_mode_32 0
		.amdhsa_float_round_mode_16_64 0
		.amdhsa_float_denorm_mode_32 3
		.amdhsa_float_denorm_mode_16_64 3
		.amdhsa_dx10_clamp 1
		.amdhsa_ieee_mode 1
		.amdhsa_fp16_overflow 0
		.amdhsa_tg_split 0
		.amdhsa_exception_fp_ieee_invalid_op 0
		.amdhsa_exception_fp_denorm_src 0
		.amdhsa_exception_fp_ieee_div_zero 0
		.amdhsa_exception_fp_ieee_overflow 0
		.amdhsa_exception_fp_ieee_underflow 0
		.amdhsa_exception_fp_ieee_inexact 0
		.amdhsa_exception_int_div_zero 0
	.end_amdhsa_kernel
	.section	.text._ZN7rocprim17ROCPRIM_400000_NS6detail17trampoline_kernelINS0_14default_configENS1_25partition_config_selectorILNS1_17partition_subalgoE5ElNS0_10empty_typeEbEEZZNS1_14partition_implILS5_5ELb0ES3_mN6hipcub16HIPCUB_304000_NS21CountingInputIteratorIllEEPS6_NSA_22TransformInputIteratorIb7NonZeroIfEPflEENS0_5tupleIJPlS6_EEENSJ_IJSD_SD_EEES6_SK_JS6_EEE10hipError_tPvRmT3_T4_T5_T6_T7_T9_mT8_P12ihipStream_tbDpT10_ENKUlT_T0_E_clISt17integral_constantIbLb0EES15_IbLb1EEEEDaS11_S12_EUlS11_E_NS1_11comp_targetILNS1_3genE2ELNS1_11target_archE906ELNS1_3gpuE6ELNS1_3repE0EEENS1_30default_config_static_selectorELNS0_4arch9wavefront6targetE1EEEvT1_,"axG",@progbits,_ZN7rocprim17ROCPRIM_400000_NS6detail17trampoline_kernelINS0_14default_configENS1_25partition_config_selectorILNS1_17partition_subalgoE5ElNS0_10empty_typeEbEEZZNS1_14partition_implILS5_5ELb0ES3_mN6hipcub16HIPCUB_304000_NS21CountingInputIteratorIllEEPS6_NSA_22TransformInputIteratorIb7NonZeroIfEPflEENS0_5tupleIJPlS6_EEENSJ_IJSD_SD_EEES6_SK_JS6_EEE10hipError_tPvRmT3_T4_T5_T6_T7_T9_mT8_P12ihipStream_tbDpT10_ENKUlT_T0_E_clISt17integral_constantIbLb0EES15_IbLb1EEEEDaS11_S12_EUlS11_E_NS1_11comp_targetILNS1_3genE2ELNS1_11target_archE906ELNS1_3gpuE6ELNS1_3repE0EEENS1_30default_config_static_selectorELNS0_4arch9wavefront6targetE1EEEvT1_,comdat
.Lfunc_end281:
	.size	_ZN7rocprim17ROCPRIM_400000_NS6detail17trampoline_kernelINS0_14default_configENS1_25partition_config_selectorILNS1_17partition_subalgoE5ElNS0_10empty_typeEbEEZZNS1_14partition_implILS5_5ELb0ES3_mN6hipcub16HIPCUB_304000_NS21CountingInputIteratorIllEEPS6_NSA_22TransformInputIteratorIb7NonZeroIfEPflEENS0_5tupleIJPlS6_EEENSJ_IJSD_SD_EEES6_SK_JS6_EEE10hipError_tPvRmT3_T4_T5_T6_T7_T9_mT8_P12ihipStream_tbDpT10_ENKUlT_T0_E_clISt17integral_constantIbLb0EES15_IbLb1EEEEDaS11_S12_EUlS11_E_NS1_11comp_targetILNS1_3genE2ELNS1_11target_archE906ELNS1_3gpuE6ELNS1_3repE0EEENS1_30default_config_static_selectorELNS0_4arch9wavefront6targetE1EEEvT1_, .Lfunc_end281-_ZN7rocprim17ROCPRIM_400000_NS6detail17trampoline_kernelINS0_14default_configENS1_25partition_config_selectorILNS1_17partition_subalgoE5ElNS0_10empty_typeEbEEZZNS1_14partition_implILS5_5ELb0ES3_mN6hipcub16HIPCUB_304000_NS21CountingInputIteratorIllEEPS6_NSA_22TransformInputIteratorIb7NonZeroIfEPflEENS0_5tupleIJPlS6_EEENSJ_IJSD_SD_EEES6_SK_JS6_EEE10hipError_tPvRmT3_T4_T5_T6_T7_T9_mT8_P12ihipStream_tbDpT10_ENKUlT_T0_E_clISt17integral_constantIbLb0EES15_IbLb1EEEEDaS11_S12_EUlS11_E_NS1_11comp_targetILNS1_3genE2ELNS1_11target_archE906ELNS1_3gpuE6ELNS1_3repE0EEENS1_30default_config_static_selectorELNS0_4arch9wavefront6targetE1EEEvT1_
                                        ; -- End function
	.set _ZN7rocprim17ROCPRIM_400000_NS6detail17trampoline_kernelINS0_14default_configENS1_25partition_config_selectorILNS1_17partition_subalgoE5ElNS0_10empty_typeEbEEZZNS1_14partition_implILS5_5ELb0ES3_mN6hipcub16HIPCUB_304000_NS21CountingInputIteratorIllEEPS6_NSA_22TransformInputIteratorIb7NonZeroIfEPflEENS0_5tupleIJPlS6_EEENSJ_IJSD_SD_EEES6_SK_JS6_EEE10hipError_tPvRmT3_T4_T5_T6_T7_T9_mT8_P12ihipStream_tbDpT10_ENKUlT_T0_E_clISt17integral_constantIbLb0EES15_IbLb1EEEEDaS11_S12_EUlS11_E_NS1_11comp_targetILNS1_3genE2ELNS1_11target_archE906ELNS1_3gpuE6ELNS1_3repE0EEENS1_30default_config_static_selectorELNS0_4arch9wavefront6targetE1EEEvT1_.num_vgpr, 0
	.set _ZN7rocprim17ROCPRIM_400000_NS6detail17trampoline_kernelINS0_14default_configENS1_25partition_config_selectorILNS1_17partition_subalgoE5ElNS0_10empty_typeEbEEZZNS1_14partition_implILS5_5ELb0ES3_mN6hipcub16HIPCUB_304000_NS21CountingInputIteratorIllEEPS6_NSA_22TransformInputIteratorIb7NonZeroIfEPflEENS0_5tupleIJPlS6_EEENSJ_IJSD_SD_EEES6_SK_JS6_EEE10hipError_tPvRmT3_T4_T5_T6_T7_T9_mT8_P12ihipStream_tbDpT10_ENKUlT_T0_E_clISt17integral_constantIbLb0EES15_IbLb1EEEEDaS11_S12_EUlS11_E_NS1_11comp_targetILNS1_3genE2ELNS1_11target_archE906ELNS1_3gpuE6ELNS1_3repE0EEENS1_30default_config_static_selectorELNS0_4arch9wavefront6targetE1EEEvT1_.num_agpr, 0
	.set _ZN7rocprim17ROCPRIM_400000_NS6detail17trampoline_kernelINS0_14default_configENS1_25partition_config_selectorILNS1_17partition_subalgoE5ElNS0_10empty_typeEbEEZZNS1_14partition_implILS5_5ELb0ES3_mN6hipcub16HIPCUB_304000_NS21CountingInputIteratorIllEEPS6_NSA_22TransformInputIteratorIb7NonZeroIfEPflEENS0_5tupleIJPlS6_EEENSJ_IJSD_SD_EEES6_SK_JS6_EEE10hipError_tPvRmT3_T4_T5_T6_T7_T9_mT8_P12ihipStream_tbDpT10_ENKUlT_T0_E_clISt17integral_constantIbLb0EES15_IbLb1EEEEDaS11_S12_EUlS11_E_NS1_11comp_targetILNS1_3genE2ELNS1_11target_archE906ELNS1_3gpuE6ELNS1_3repE0EEENS1_30default_config_static_selectorELNS0_4arch9wavefront6targetE1EEEvT1_.numbered_sgpr, 0
	.set _ZN7rocprim17ROCPRIM_400000_NS6detail17trampoline_kernelINS0_14default_configENS1_25partition_config_selectorILNS1_17partition_subalgoE5ElNS0_10empty_typeEbEEZZNS1_14partition_implILS5_5ELb0ES3_mN6hipcub16HIPCUB_304000_NS21CountingInputIteratorIllEEPS6_NSA_22TransformInputIteratorIb7NonZeroIfEPflEENS0_5tupleIJPlS6_EEENSJ_IJSD_SD_EEES6_SK_JS6_EEE10hipError_tPvRmT3_T4_T5_T6_T7_T9_mT8_P12ihipStream_tbDpT10_ENKUlT_T0_E_clISt17integral_constantIbLb0EES15_IbLb1EEEEDaS11_S12_EUlS11_E_NS1_11comp_targetILNS1_3genE2ELNS1_11target_archE906ELNS1_3gpuE6ELNS1_3repE0EEENS1_30default_config_static_selectorELNS0_4arch9wavefront6targetE1EEEvT1_.num_named_barrier, 0
	.set _ZN7rocprim17ROCPRIM_400000_NS6detail17trampoline_kernelINS0_14default_configENS1_25partition_config_selectorILNS1_17partition_subalgoE5ElNS0_10empty_typeEbEEZZNS1_14partition_implILS5_5ELb0ES3_mN6hipcub16HIPCUB_304000_NS21CountingInputIteratorIllEEPS6_NSA_22TransformInputIteratorIb7NonZeroIfEPflEENS0_5tupleIJPlS6_EEENSJ_IJSD_SD_EEES6_SK_JS6_EEE10hipError_tPvRmT3_T4_T5_T6_T7_T9_mT8_P12ihipStream_tbDpT10_ENKUlT_T0_E_clISt17integral_constantIbLb0EES15_IbLb1EEEEDaS11_S12_EUlS11_E_NS1_11comp_targetILNS1_3genE2ELNS1_11target_archE906ELNS1_3gpuE6ELNS1_3repE0EEENS1_30default_config_static_selectorELNS0_4arch9wavefront6targetE1EEEvT1_.private_seg_size, 0
	.set _ZN7rocprim17ROCPRIM_400000_NS6detail17trampoline_kernelINS0_14default_configENS1_25partition_config_selectorILNS1_17partition_subalgoE5ElNS0_10empty_typeEbEEZZNS1_14partition_implILS5_5ELb0ES3_mN6hipcub16HIPCUB_304000_NS21CountingInputIteratorIllEEPS6_NSA_22TransformInputIteratorIb7NonZeroIfEPflEENS0_5tupleIJPlS6_EEENSJ_IJSD_SD_EEES6_SK_JS6_EEE10hipError_tPvRmT3_T4_T5_T6_T7_T9_mT8_P12ihipStream_tbDpT10_ENKUlT_T0_E_clISt17integral_constantIbLb0EES15_IbLb1EEEEDaS11_S12_EUlS11_E_NS1_11comp_targetILNS1_3genE2ELNS1_11target_archE906ELNS1_3gpuE6ELNS1_3repE0EEENS1_30default_config_static_selectorELNS0_4arch9wavefront6targetE1EEEvT1_.uses_vcc, 0
	.set _ZN7rocprim17ROCPRIM_400000_NS6detail17trampoline_kernelINS0_14default_configENS1_25partition_config_selectorILNS1_17partition_subalgoE5ElNS0_10empty_typeEbEEZZNS1_14partition_implILS5_5ELb0ES3_mN6hipcub16HIPCUB_304000_NS21CountingInputIteratorIllEEPS6_NSA_22TransformInputIteratorIb7NonZeroIfEPflEENS0_5tupleIJPlS6_EEENSJ_IJSD_SD_EEES6_SK_JS6_EEE10hipError_tPvRmT3_T4_T5_T6_T7_T9_mT8_P12ihipStream_tbDpT10_ENKUlT_T0_E_clISt17integral_constantIbLb0EES15_IbLb1EEEEDaS11_S12_EUlS11_E_NS1_11comp_targetILNS1_3genE2ELNS1_11target_archE906ELNS1_3gpuE6ELNS1_3repE0EEENS1_30default_config_static_selectorELNS0_4arch9wavefront6targetE1EEEvT1_.uses_flat_scratch, 0
	.set _ZN7rocprim17ROCPRIM_400000_NS6detail17trampoline_kernelINS0_14default_configENS1_25partition_config_selectorILNS1_17partition_subalgoE5ElNS0_10empty_typeEbEEZZNS1_14partition_implILS5_5ELb0ES3_mN6hipcub16HIPCUB_304000_NS21CountingInputIteratorIllEEPS6_NSA_22TransformInputIteratorIb7NonZeroIfEPflEENS0_5tupleIJPlS6_EEENSJ_IJSD_SD_EEES6_SK_JS6_EEE10hipError_tPvRmT3_T4_T5_T6_T7_T9_mT8_P12ihipStream_tbDpT10_ENKUlT_T0_E_clISt17integral_constantIbLb0EES15_IbLb1EEEEDaS11_S12_EUlS11_E_NS1_11comp_targetILNS1_3genE2ELNS1_11target_archE906ELNS1_3gpuE6ELNS1_3repE0EEENS1_30default_config_static_selectorELNS0_4arch9wavefront6targetE1EEEvT1_.has_dyn_sized_stack, 0
	.set _ZN7rocprim17ROCPRIM_400000_NS6detail17trampoline_kernelINS0_14default_configENS1_25partition_config_selectorILNS1_17partition_subalgoE5ElNS0_10empty_typeEbEEZZNS1_14partition_implILS5_5ELb0ES3_mN6hipcub16HIPCUB_304000_NS21CountingInputIteratorIllEEPS6_NSA_22TransformInputIteratorIb7NonZeroIfEPflEENS0_5tupleIJPlS6_EEENSJ_IJSD_SD_EEES6_SK_JS6_EEE10hipError_tPvRmT3_T4_T5_T6_T7_T9_mT8_P12ihipStream_tbDpT10_ENKUlT_T0_E_clISt17integral_constantIbLb0EES15_IbLb1EEEEDaS11_S12_EUlS11_E_NS1_11comp_targetILNS1_3genE2ELNS1_11target_archE906ELNS1_3gpuE6ELNS1_3repE0EEENS1_30default_config_static_selectorELNS0_4arch9wavefront6targetE1EEEvT1_.has_recursion, 0
	.set _ZN7rocprim17ROCPRIM_400000_NS6detail17trampoline_kernelINS0_14default_configENS1_25partition_config_selectorILNS1_17partition_subalgoE5ElNS0_10empty_typeEbEEZZNS1_14partition_implILS5_5ELb0ES3_mN6hipcub16HIPCUB_304000_NS21CountingInputIteratorIllEEPS6_NSA_22TransformInputIteratorIb7NonZeroIfEPflEENS0_5tupleIJPlS6_EEENSJ_IJSD_SD_EEES6_SK_JS6_EEE10hipError_tPvRmT3_T4_T5_T6_T7_T9_mT8_P12ihipStream_tbDpT10_ENKUlT_T0_E_clISt17integral_constantIbLb0EES15_IbLb1EEEEDaS11_S12_EUlS11_E_NS1_11comp_targetILNS1_3genE2ELNS1_11target_archE906ELNS1_3gpuE6ELNS1_3repE0EEENS1_30default_config_static_selectorELNS0_4arch9wavefront6targetE1EEEvT1_.has_indirect_call, 0
	.section	.AMDGPU.csdata,"",@progbits
; Kernel info:
; codeLenInByte = 0
; TotalNumSgprs: 6
; NumVgprs: 0
; NumAgprs: 0
; TotalNumVgprs: 0
; ScratchSize: 0
; MemoryBound: 0
; FloatMode: 240
; IeeeMode: 1
; LDSByteSize: 0 bytes/workgroup (compile time only)
; SGPRBlocks: 0
; VGPRBlocks: 0
; NumSGPRsForWavesPerEU: 6
; NumVGPRsForWavesPerEU: 1
; AccumOffset: 4
; Occupancy: 8
; WaveLimiterHint : 0
; COMPUTE_PGM_RSRC2:SCRATCH_EN: 0
; COMPUTE_PGM_RSRC2:USER_SGPR: 2
; COMPUTE_PGM_RSRC2:TRAP_HANDLER: 0
; COMPUTE_PGM_RSRC2:TGID_X_EN: 1
; COMPUTE_PGM_RSRC2:TGID_Y_EN: 0
; COMPUTE_PGM_RSRC2:TGID_Z_EN: 0
; COMPUTE_PGM_RSRC2:TIDIG_COMP_CNT: 0
; COMPUTE_PGM_RSRC3_GFX90A:ACCUM_OFFSET: 0
; COMPUTE_PGM_RSRC3_GFX90A:TG_SPLIT: 0
	.section	.text._ZN7rocprim17ROCPRIM_400000_NS6detail17trampoline_kernelINS0_14default_configENS1_25partition_config_selectorILNS1_17partition_subalgoE5ElNS0_10empty_typeEbEEZZNS1_14partition_implILS5_5ELb0ES3_mN6hipcub16HIPCUB_304000_NS21CountingInputIteratorIllEEPS6_NSA_22TransformInputIteratorIb7NonZeroIfEPflEENS0_5tupleIJPlS6_EEENSJ_IJSD_SD_EEES6_SK_JS6_EEE10hipError_tPvRmT3_T4_T5_T6_T7_T9_mT8_P12ihipStream_tbDpT10_ENKUlT_T0_E_clISt17integral_constantIbLb0EES15_IbLb1EEEEDaS11_S12_EUlS11_E_NS1_11comp_targetILNS1_3genE10ELNS1_11target_archE1200ELNS1_3gpuE4ELNS1_3repE0EEENS1_30default_config_static_selectorELNS0_4arch9wavefront6targetE1EEEvT1_,"axG",@progbits,_ZN7rocprim17ROCPRIM_400000_NS6detail17trampoline_kernelINS0_14default_configENS1_25partition_config_selectorILNS1_17partition_subalgoE5ElNS0_10empty_typeEbEEZZNS1_14partition_implILS5_5ELb0ES3_mN6hipcub16HIPCUB_304000_NS21CountingInputIteratorIllEEPS6_NSA_22TransformInputIteratorIb7NonZeroIfEPflEENS0_5tupleIJPlS6_EEENSJ_IJSD_SD_EEES6_SK_JS6_EEE10hipError_tPvRmT3_T4_T5_T6_T7_T9_mT8_P12ihipStream_tbDpT10_ENKUlT_T0_E_clISt17integral_constantIbLb0EES15_IbLb1EEEEDaS11_S12_EUlS11_E_NS1_11comp_targetILNS1_3genE10ELNS1_11target_archE1200ELNS1_3gpuE4ELNS1_3repE0EEENS1_30default_config_static_selectorELNS0_4arch9wavefront6targetE1EEEvT1_,comdat
	.protected	_ZN7rocprim17ROCPRIM_400000_NS6detail17trampoline_kernelINS0_14default_configENS1_25partition_config_selectorILNS1_17partition_subalgoE5ElNS0_10empty_typeEbEEZZNS1_14partition_implILS5_5ELb0ES3_mN6hipcub16HIPCUB_304000_NS21CountingInputIteratorIllEEPS6_NSA_22TransformInputIteratorIb7NonZeroIfEPflEENS0_5tupleIJPlS6_EEENSJ_IJSD_SD_EEES6_SK_JS6_EEE10hipError_tPvRmT3_T4_T5_T6_T7_T9_mT8_P12ihipStream_tbDpT10_ENKUlT_T0_E_clISt17integral_constantIbLb0EES15_IbLb1EEEEDaS11_S12_EUlS11_E_NS1_11comp_targetILNS1_3genE10ELNS1_11target_archE1200ELNS1_3gpuE4ELNS1_3repE0EEENS1_30default_config_static_selectorELNS0_4arch9wavefront6targetE1EEEvT1_ ; -- Begin function _ZN7rocprim17ROCPRIM_400000_NS6detail17trampoline_kernelINS0_14default_configENS1_25partition_config_selectorILNS1_17partition_subalgoE5ElNS0_10empty_typeEbEEZZNS1_14partition_implILS5_5ELb0ES3_mN6hipcub16HIPCUB_304000_NS21CountingInputIteratorIllEEPS6_NSA_22TransformInputIteratorIb7NonZeroIfEPflEENS0_5tupleIJPlS6_EEENSJ_IJSD_SD_EEES6_SK_JS6_EEE10hipError_tPvRmT3_T4_T5_T6_T7_T9_mT8_P12ihipStream_tbDpT10_ENKUlT_T0_E_clISt17integral_constantIbLb0EES15_IbLb1EEEEDaS11_S12_EUlS11_E_NS1_11comp_targetILNS1_3genE10ELNS1_11target_archE1200ELNS1_3gpuE4ELNS1_3repE0EEENS1_30default_config_static_selectorELNS0_4arch9wavefront6targetE1EEEvT1_
	.globl	_ZN7rocprim17ROCPRIM_400000_NS6detail17trampoline_kernelINS0_14default_configENS1_25partition_config_selectorILNS1_17partition_subalgoE5ElNS0_10empty_typeEbEEZZNS1_14partition_implILS5_5ELb0ES3_mN6hipcub16HIPCUB_304000_NS21CountingInputIteratorIllEEPS6_NSA_22TransformInputIteratorIb7NonZeroIfEPflEENS0_5tupleIJPlS6_EEENSJ_IJSD_SD_EEES6_SK_JS6_EEE10hipError_tPvRmT3_T4_T5_T6_T7_T9_mT8_P12ihipStream_tbDpT10_ENKUlT_T0_E_clISt17integral_constantIbLb0EES15_IbLb1EEEEDaS11_S12_EUlS11_E_NS1_11comp_targetILNS1_3genE10ELNS1_11target_archE1200ELNS1_3gpuE4ELNS1_3repE0EEENS1_30default_config_static_selectorELNS0_4arch9wavefront6targetE1EEEvT1_
	.p2align	8
	.type	_ZN7rocprim17ROCPRIM_400000_NS6detail17trampoline_kernelINS0_14default_configENS1_25partition_config_selectorILNS1_17partition_subalgoE5ElNS0_10empty_typeEbEEZZNS1_14partition_implILS5_5ELb0ES3_mN6hipcub16HIPCUB_304000_NS21CountingInputIteratorIllEEPS6_NSA_22TransformInputIteratorIb7NonZeroIfEPflEENS0_5tupleIJPlS6_EEENSJ_IJSD_SD_EEES6_SK_JS6_EEE10hipError_tPvRmT3_T4_T5_T6_T7_T9_mT8_P12ihipStream_tbDpT10_ENKUlT_T0_E_clISt17integral_constantIbLb0EES15_IbLb1EEEEDaS11_S12_EUlS11_E_NS1_11comp_targetILNS1_3genE10ELNS1_11target_archE1200ELNS1_3gpuE4ELNS1_3repE0EEENS1_30default_config_static_selectorELNS0_4arch9wavefront6targetE1EEEvT1_,@function
_ZN7rocprim17ROCPRIM_400000_NS6detail17trampoline_kernelINS0_14default_configENS1_25partition_config_selectorILNS1_17partition_subalgoE5ElNS0_10empty_typeEbEEZZNS1_14partition_implILS5_5ELb0ES3_mN6hipcub16HIPCUB_304000_NS21CountingInputIteratorIllEEPS6_NSA_22TransformInputIteratorIb7NonZeroIfEPflEENS0_5tupleIJPlS6_EEENSJ_IJSD_SD_EEES6_SK_JS6_EEE10hipError_tPvRmT3_T4_T5_T6_T7_T9_mT8_P12ihipStream_tbDpT10_ENKUlT_T0_E_clISt17integral_constantIbLb0EES15_IbLb1EEEEDaS11_S12_EUlS11_E_NS1_11comp_targetILNS1_3genE10ELNS1_11target_archE1200ELNS1_3gpuE4ELNS1_3repE0EEENS1_30default_config_static_selectorELNS0_4arch9wavefront6targetE1EEEvT1_: ; @_ZN7rocprim17ROCPRIM_400000_NS6detail17trampoline_kernelINS0_14default_configENS1_25partition_config_selectorILNS1_17partition_subalgoE5ElNS0_10empty_typeEbEEZZNS1_14partition_implILS5_5ELb0ES3_mN6hipcub16HIPCUB_304000_NS21CountingInputIteratorIllEEPS6_NSA_22TransformInputIteratorIb7NonZeroIfEPflEENS0_5tupleIJPlS6_EEENSJ_IJSD_SD_EEES6_SK_JS6_EEE10hipError_tPvRmT3_T4_T5_T6_T7_T9_mT8_P12ihipStream_tbDpT10_ENKUlT_T0_E_clISt17integral_constantIbLb0EES15_IbLb1EEEEDaS11_S12_EUlS11_E_NS1_11comp_targetILNS1_3genE10ELNS1_11target_archE1200ELNS1_3gpuE4ELNS1_3repE0EEENS1_30default_config_static_selectorELNS0_4arch9wavefront6targetE1EEEvT1_
; %bb.0:
	.section	.rodata,"a",@progbits
	.p2align	6, 0x0
	.amdhsa_kernel _ZN7rocprim17ROCPRIM_400000_NS6detail17trampoline_kernelINS0_14default_configENS1_25partition_config_selectorILNS1_17partition_subalgoE5ElNS0_10empty_typeEbEEZZNS1_14partition_implILS5_5ELb0ES3_mN6hipcub16HIPCUB_304000_NS21CountingInputIteratorIllEEPS6_NSA_22TransformInputIteratorIb7NonZeroIfEPflEENS0_5tupleIJPlS6_EEENSJ_IJSD_SD_EEES6_SK_JS6_EEE10hipError_tPvRmT3_T4_T5_T6_T7_T9_mT8_P12ihipStream_tbDpT10_ENKUlT_T0_E_clISt17integral_constantIbLb0EES15_IbLb1EEEEDaS11_S12_EUlS11_E_NS1_11comp_targetILNS1_3genE10ELNS1_11target_archE1200ELNS1_3gpuE4ELNS1_3repE0EEENS1_30default_config_static_selectorELNS0_4arch9wavefront6targetE1EEEvT1_
		.amdhsa_group_segment_fixed_size 0
		.amdhsa_private_segment_fixed_size 0
		.amdhsa_kernarg_size 136
		.amdhsa_user_sgpr_count 2
		.amdhsa_user_sgpr_dispatch_ptr 0
		.amdhsa_user_sgpr_queue_ptr 0
		.amdhsa_user_sgpr_kernarg_segment_ptr 1
		.amdhsa_user_sgpr_dispatch_id 0
		.amdhsa_user_sgpr_kernarg_preload_length 0
		.amdhsa_user_sgpr_kernarg_preload_offset 0
		.amdhsa_user_sgpr_private_segment_size 0
		.amdhsa_uses_dynamic_stack 0
		.amdhsa_enable_private_segment 0
		.amdhsa_system_sgpr_workgroup_id_x 1
		.amdhsa_system_sgpr_workgroup_id_y 0
		.amdhsa_system_sgpr_workgroup_id_z 0
		.amdhsa_system_sgpr_workgroup_info 0
		.amdhsa_system_vgpr_workitem_id 0
		.amdhsa_next_free_vgpr 1
		.amdhsa_next_free_sgpr 0
		.amdhsa_accum_offset 4
		.amdhsa_reserve_vcc 0
		.amdhsa_float_round_mode_32 0
		.amdhsa_float_round_mode_16_64 0
		.amdhsa_float_denorm_mode_32 3
		.amdhsa_float_denorm_mode_16_64 3
		.amdhsa_dx10_clamp 1
		.amdhsa_ieee_mode 1
		.amdhsa_fp16_overflow 0
		.amdhsa_tg_split 0
		.amdhsa_exception_fp_ieee_invalid_op 0
		.amdhsa_exception_fp_denorm_src 0
		.amdhsa_exception_fp_ieee_div_zero 0
		.amdhsa_exception_fp_ieee_overflow 0
		.amdhsa_exception_fp_ieee_underflow 0
		.amdhsa_exception_fp_ieee_inexact 0
		.amdhsa_exception_int_div_zero 0
	.end_amdhsa_kernel
	.section	.text._ZN7rocprim17ROCPRIM_400000_NS6detail17trampoline_kernelINS0_14default_configENS1_25partition_config_selectorILNS1_17partition_subalgoE5ElNS0_10empty_typeEbEEZZNS1_14partition_implILS5_5ELb0ES3_mN6hipcub16HIPCUB_304000_NS21CountingInputIteratorIllEEPS6_NSA_22TransformInputIteratorIb7NonZeroIfEPflEENS0_5tupleIJPlS6_EEENSJ_IJSD_SD_EEES6_SK_JS6_EEE10hipError_tPvRmT3_T4_T5_T6_T7_T9_mT8_P12ihipStream_tbDpT10_ENKUlT_T0_E_clISt17integral_constantIbLb0EES15_IbLb1EEEEDaS11_S12_EUlS11_E_NS1_11comp_targetILNS1_3genE10ELNS1_11target_archE1200ELNS1_3gpuE4ELNS1_3repE0EEENS1_30default_config_static_selectorELNS0_4arch9wavefront6targetE1EEEvT1_,"axG",@progbits,_ZN7rocprim17ROCPRIM_400000_NS6detail17trampoline_kernelINS0_14default_configENS1_25partition_config_selectorILNS1_17partition_subalgoE5ElNS0_10empty_typeEbEEZZNS1_14partition_implILS5_5ELb0ES3_mN6hipcub16HIPCUB_304000_NS21CountingInputIteratorIllEEPS6_NSA_22TransformInputIteratorIb7NonZeroIfEPflEENS0_5tupleIJPlS6_EEENSJ_IJSD_SD_EEES6_SK_JS6_EEE10hipError_tPvRmT3_T4_T5_T6_T7_T9_mT8_P12ihipStream_tbDpT10_ENKUlT_T0_E_clISt17integral_constantIbLb0EES15_IbLb1EEEEDaS11_S12_EUlS11_E_NS1_11comp_targetILNS1_3genE10ELNS1_11target_archE1200ELNS1_3gpuE4ELNS1_3repE0EEENS1_30default_config_static_selectorELNS0_4arch9wavefront6targetE1EEEvT1_,comdat
.Lfunc_end282:
	.size	_ZN7rocprim17ROCPRIM_400000_NS6detail17trampoline_kernelINS0_14default_configENS1_25partition_config_selectorILNS1_17partition_subalgoE5ElNS0_10empty_typeEbEEZZNS1_14partition_implILS5_5ELb0ES3_mN6hipcub16HIPCUB_304000_NS21CountingInputIteratorIllEEPS6_NSA_22TransformInputIteratorIb7NonZeroIfEPflEENS0_5tupleIJPlS6_EEENSJ_IJSD_SD_EEES6_SK_JS6_EEE10hipError_tPvRmT3_T4_T5_T6_T7_T9_mT8_P12ihipStream_tbDpT10_ENKUlT_T0_E_clISt17integral_constantIbLb0EES15_IbLb1EEEEDaS11_S12_EUlS11_E_NS1_11comp_targetILNS1_3genE10ELNS1_11target_archE1200ELNS1_3gpuE4ELNS1_3repE0EEENS1_30default_config_static_selectorELNS0_4arch9wavefront6targetE1EEEvT1_, .Lfunc_end282-_ZN7rocprim17ROCPRIM_400000_NS6detail17trampoline_kernelINS0_14default_configENS1_25partition_config_selectorILNS1_17partition_subalgoE5ElNS0_10empty_typeEbEEZZNS1_14partition_implILS5_5ELb0ES3_mN6hipcub16HIPCUB_304000_NS21CountingInputIteratorIllEEPS6_NSA_22TransformInputIteratorIb7NonZeroIfEPflEENS0_5tupleIJPlS6_EEENSJ_IJSD_SD_EEES6_SK_JS6_EEE10hipError_tPvRmT3_T4_T5_T6_T7_T9_mT8_P12ihipStream_tbDpT10_ENKUlT_T0_E_clISt17integral_constantIbLb0EES15_IbLb1EEEEDaS11_S12_EUlS11_E_NS1_11comp_targetILNS1_3genE10ELNS1_11target_archE1200ELNS1_3gpuE4ELNS1_3repE0EEENS1_30default_config_static_selectorELNS0_4arch9wavefront6targetE1EEEvT1_
                                        ; -- End function
	.set _ZN7rocprim17ROCPRIM_400000_NS6detail17trampoline_kernelINS0_14default_configENS1_25partition_config_selectorILNS1_17partition_subalgoE5ElNS0_10empty_typeEbEEZZNS1_14partition_implILS5_5ELb0ES3_mN6hipcub16HIPCUB_304000_NS21CountingInputIteratorIllEEPS6_NSA_22TransformInputIteratorIb7NonZeroIfEPflEENS0_5tupleIJPlS6_EEENSJ_IJSD_SD_EEES6_SK_JS6_EEE10hipError_tPvRmT3_T4_T5_T6_T7_T9_mT8_P12ihipStream_tbDpT10_ENKUlT_T0_E_clISt17integral_constantIbLb0EES15_IbLb1EEEEDaS11_S12_EUlS11_E_NS1_11comp_targetILNS1_3genE10ELNS1_11target_archE1200ELNS1_3gpuE4ELNS1_3repE0EEENS1_30default_config_static_selectorELNS0_4arch9wavefront6targetE1EEEvT1_.num_vgpr, 0
	.set _ZN7rocprim17ROCPRIM_400000_NS6detail17trampoline_kernelINS0_14default_configENS1_25partition_config_selectorILNS1_17partition_subalgoE5ElNS0_10empty_typeEbEEZZNS1_14partition_implILS5_5ELb0ES3_mN6hipcub16HIPCUB_304000_NS21CountingInputIteratorIllEEPS6_NSA_22TransformInputIteratorIb7NonZeroIfEPflEENS0_5tupleIJPlS6_EEENSJ_IJSD_SD_EEES6_SK_JS6_EEE10hipError_tPvRmT3_T4_T5_T6_T7_T9_mT8_P12ihipStream_tbDpT10_ENKUlT_T0_E_clISt17integral_constantIbLb0EES15_IbLb1EEEEDaS11_S12_EUlS11_E_NS1_11comp_targetILNS1_3genE10ELNS1_11target_archE1200ELNS1_3gpuE4ELNS1_3repE0EEENS1_30default_config_static_selectorELNS0_4arch9wavefront6targetE1EEEvT1_.num_agpr, 0
	.set _ZN7rocprim17ROCPRIM_400000_NS6detail17trampoline_kernelINS0_14default_configENS1_25partition_config_selectorILNS1_17partition_subalgoE5ElNS0_10empty_typeEbEEZZNS1_14partition_implILS5_5ELb0ES3_mN6hipcub16HIPCUB_304000_NS21CountingInputIteratorIllEEPS6_NSA_22TransformInputIteratorIb7NonZeroIfEPflEENS0_5tupleIJPlS6_EEENSJ_IJSD_SD_EEES6_SK_JS6_EEE10hipError_tPvRmT3_T4_T5_T6_T7_T9_mT8_P12ihipStream_tbDpT10_ENKUlT_T0_E_clISt17integral_constantIbLb0EES15_IbLb1EEEEDaS11_S12_EUlS11_E_NS1_11comp_targetILNS1_3genE10ELNS1_11target_archE1200ELNS1_3gpuE4ELNS1_3repE0EEENS1_30default_config_static_selectorELNS0_4arch9wavefront6targetE1EEEvT1_.numbered_sgpr, 0
	.set _ZN7rocprim17ROCPRIM_400000_NS6detail17trampoline_kernelINS0_14default_configENS1_25partition_config_selectorILNS1_17partition_subalgoE5ElNS0_10empty_typeEbEEZZNS1_14partition_implILS5_5ELb0ES3_mN6hipcub16HIPCUB_304000_NS21CountingInputIteratorIllEEPS6_NSA_22TransformInputIteratorIb7NonZeroIfEPflEENS0_5tupleIJPlS6_EEENSJ_IJSD_SD_EEES6_SK_JS6_EEE10hipError_tPvRmT3_T4_T5_T6_T7_T9_mT8_P12ihipStream_tbDpT10_ENKUlT_T0_E_clISt17integral_constantIbLb0EES15_IbLb1EEEEDaS11_S12_EUlS11_E_NS1_11comp_targetILNS1_3genE10ELNS1_11target_archE1200ELNS1_3gpuE4ELNS1_3repE0EEENS1_30default_config_static_selectorELNS0_4arch9wavefront6targetE1EEEvT1_.num_named_barrier, 0
	.set _ZN7rocprim17ROCPRIM_400000_NS6detail17trampoline_kernelINS0_14default_configENS1_25partition_config_selectorILNS1_17partition_subalgoE5ElNS0_10empty_typeEbEEZZNS1_14partition_implILS5_5ELb0ES3_mN6hipcub16HIPCUB_304000_NS21CountingInputIteratorIllEEPS6_NSA_22TransformInputIteratorIb7NonZeroIfEPflEENS0_5tupleIJPlS6_EEENSJ_IJSD_SD_EEES6_SK_JS6_EEE10hipError_tPvRmT3_T4_T5_T6_T7_T9_mT8_P12ihipStream_tbDpT10_ENKUlT_T0_E_clISt17integral_constantIbLb0EES15_IbLb1EEEEDaS11_S12_EUlS11_E_NS1_11comp_targetILNS1_3genE10ELNS1_11target_archE1200ELNS1_3gpuE4ELNS1_3repE0EEENS1_30default_config_static_selectorELNS0_4arch9wavefront6targetE1EEEvT1_.private_seg_size, 0
	.set _ZN7rocprim17ROCPRIM_400000_NS6detail17trampoline_kernelINS0_14default_configENS1_25partition_config_selectorILNS1_17partition_subalgoE5ElNS0_10empty_typeEbEEZZNS1_14partition_implILS5_5ELb0ES3_mN6hipcub16HIPCUB_304000_NS21CountingInputIteratorIllEEPS6_NSA_22TransformInputIteratorIb7NonZeroIfEPflEENS0_5tupleIJPlS6_EEENSJ_IJSD_SD_EEES6_SK_JS6_EEE10hipError_tPvRmT3_T4_T5_T6_T7_T9_mT8_P12ihipStream_tbDpT10_ENKUlT_T0_E_clISt17integral_constantIbLb0EES15_IbLb1EEEEDaS11_S12_EUlS11_E_NS1_11comp_targetILNS1_3genE10ELNS1_11target_archE1200ELNS1_3gpuE4ELNS1_3repE0EEENS1_30default_config_static_selectorELNS0_4arch9wavefront6targetE1EEEvT1_.uses_vcc, 0
	.set _ZN7rocprim17ROCPRIM_400000_NS6detail17trampoline_kernelINS0_14default_configENS1_25partition_config_selectorILNS1_17partition_subalgoE5ElNS0_10empty_typeEbEEZZNS1_14partition_implILS5_5ELb0ES3_mN6hipcub16HIPCUB_304000_NS21CountingInputIteratorIllEEPS6_NSA_22TransformInputIteratorIb7NonZeroIfEPflEENS0_5tupleIJPlS6_EEENSJ_IJSD_SD_EEES6_SK_JS6_EEE10hipError_tPvRmT3_T4_T5_T6_T7_T9_mT8_P12ihipStream_tbDpT10_ENKUlT_T0_E_clISt17integral_constantIbLb0EES15_IbLb1EEEEDaS11_S12_EUlS11_E_NS1_11comp_targetILNS1_3genE10ELNS1_11target_archE1200ELNS1_3gpuE4ELNS1_3repE0EEENS1_30default_config_static_selectorELNS0_4arch9wavefront6targetE1EEEvT1_.uses_flat_scratch, 0
	.set _ZN7rocprim17ROCPRIM_400000_NS6detail17trampoline_kernelINS0_14default_configENS1_25partition_config_selectorILNS1_17partition_subalgoE5ElNS0_10empty_typeEbEEZZNS1_14partition_implILS5_5ELb0ES3_mN6hipcub16HIPCUB_304000_NS21CountingInputIteratorIllEEPS6_NSA_22TransformInputIteratorIb7NonZeroIfEPflEENS0_5tupleIJPlS6_EEENSJ_IJSD_SD_EEES6_SK_JS6_EEE10hipError_tPvRmT3_T4_T5_T6_T7_T9_mT8_P12ihipStream_tbDpT10_ENKUlT_T0_E_clISt17integral_constantIbLb0EES15_IbLb1EEEEDaS11_S12_EUlS11_E_NS1_11comp_targetILNS1_3genE10ELNS1_11target_archE1200ELNS1_3gpuE4ELNS1_3repE0EEENS1_30default_config_static_selectorELNS0_4arch9wavefront6targetE1EEEvT1_.has_dyn_sized_stack, 0
	.set _ZN7rocprim17ROCPRIM_400000_NS6detail17trampoline_kernelINS0_14default_configENS1_25partition_config_selectorILNS1_17partition_subalgoE5ElNS0_10empty_typeEbEEZZNS1_14partition_implILS5_5ELb0ES3_mN6hipcub16HIPCUB_304000_NS21CountingInputIteratorIllEEPS6_NSA_22TransformInputIteratorIb7NonZeroIfEPflEENS0_5tupleIJPlS6_EEENSJ_IJSD_SD_EEES6_SK_JS6_EEE10hipError_tPvRmT3_T4_T5_T6_T7_T9_mT8_P12ihipStream_tbDpT10_ENKUlT_T0_E_clISt17integral_constantIbLb0EES15_IbLb1EEEEDaS11_S12_EUlS11_E_NS1_11comp_targetILNS1_3genE10ELNS1_11target_archE1200ELNS1_3gpuE4ELNS1_3repE0EEENS1_30default_config_static_selectorELNS0_4arch9wavefront6targetE1EEEvT1_.has_recursion, 0
	.set _ZN7rocprim17ROCPRIM_400000_NS6detail17trampoline_kernelINS0_14default_configENS1_25partition_config_selectorILNS1_17partition_subalgoE5ElNS0_10empty_typeEbEEZZNS1_14partition_implILS5_5ELb0ES3_mN6hipcub16HIPCUB_304000_NS21CountingInputIteratorIllEEPS6_NSA_22TransformInputIteratorIb7NonZeroIfEPflEENS0_5tupleIJPlS6_EEENSJ_IJSD_SD_EEES6_SK_JS6_EEE10hipError_tPvRmT3_T4_T5_T6_T7_T9_mT8_P12ihipStream_tbDpT10_ENKUlT_T0_E_clISt17integral_constantIbLb0EES15_IbLb1EEEEDaS11_S12_EUlS11_E_NS1_11comp_targetILNS1_3genE10ELNS1_11target_archE1200ELNS1_3gpuE4ELNS1_3repE0EEENS1_30default_config_static_selectorELNS0_4arch9wavefront6targetE1EEEvT1_.has_indirect_call, 0
	.section	.AMDGPU.csdata,"",@progbits
; Kernel info:
; codeLenInByte = 0
; TotalNumSgprs: 6
; NumVgprs: 0
; NumAgprs: 0
; TotalNumVgprs: 0
; ScratchSize: 0
; MemoryBound: 0
; FloatMode: 240
; IeeeMode: 1
; LDSByteSize: 0 bytes/workgroup (compile time only)
; SGPRBlocks: 0
; VGPRBlocks: 0
; NumSGPRsForWavesPerEU: 6
; NumVGPRsForWavesPerEU: 1
; AccumOffset: 4
; Occupancy: 8
; WaveLimiterHint : 0
; COMPUTE_PGM_RSRC2:SCRATCH_EN: 0
; COMPUTE_PGM_RSRC2:USER_SGPR: 2
; COMPUTE_PGM_RSRC2:TRAP_HANDLER: 0
; COMPUTE_PGM_RSRC2:TGID_X_EN: 1
; COMPUTE_PGM_RSRC2:TGID_Y_EN: 0
; COMPUTE_PGM_RSRC2:TGID_Z_EN: 0
; COMPUTE_PGM_RSRC2:TIDIG_COMP_CNT: 0
; COMPUTE_PGM_RSRC3_GFX90A:ACCUM_OFFSET: 0
; COMPUTE_PGM_RSRC3_GFX90A:TG_SPLIT: 0
	.section	.text._ZN7rocprim17ROCPRIM_400000_NS6detail17trampoline_kernelINS0_14default_configENS1_25partition_config_selectorILNS1_17partition_subalgoE5ElNS0_10empty_typeEbEEZZNS1_14partition_implILS5_5ELb0ES3_mN6hipcub16HIPCUB_304000_NS21CountingInputIteratorIllEEPS6_NSA_22TransformInputIteratorIb7NonZeroIfEPflEENS0_5tupleIJPlS6_EEENSJ_IJSD_SD_EEES6_SK_JS6_EEE10hipError_tPvRmT3_T4_T5_T6_T7_T9_mT8_P12ihipStream_tbDpT10_ENKUlT_T0_E_clISt17integral_constantIbLb0EES15_IbLb1EEEEDaS11_S12_EUlS11_E_NS1_11comp_targetILNS1_3genE9ELNS1_11target_archE1100ELNS1_3gpuE3ELNS1_3repE0EEENS1_30default_config_static_selectorELNS0_4arch9wavefront6targetE1EEEvT1_,"axG",@progbits,_ZN7rocprim17ROCPRIM_400000_NS6detail17trampoline_kernelINS0_14default_configENS1_25partition_config_selectorILNS1_17partition_subalgoE5ElNS0_10empty_typeEbEEZZNS1_14partition_implILS5_5ELb0ES3_mN6hipcub16HIPCUB_304000_NS21CountingInputIteratorIllEEPS6_NSA_22TransformInputIteratorIb7NonZeroIfEPflEENS0_5tupleIJPlS6_EEENSJ_IJSD_SD_EEES6_SK_JS6_EEE10hipError_tPvRmT3_T4_T5_T6_T7_T9_mT8_P12ihipStream_tbDpT10_ENKUlT_T0_E_clISt17integral_constantIbLb0EES15_IbLb1EEEEDaS11_S12_EUlS11_E_NS1_11comp_targetILNS1_3genE9ELNS1_11target_archE1100ELNS1_3gpuE3ELNS1_3repE0EEENS1_30default_config_static_selectorELNS0_4arch9wavefront6targetE1EEEvT1_,comdat
	.protected	_ZN7rocprim17ROCPRIM_400000_NS6detail17trampoline_kernelINS0_14default_configENS1_25partition_config_selectorILNS1_17partition_subalgoE5ElNS0_10empty_typeEbEEZZNS1_14partition_implILS5_5ELb0ES3_mN6hipcub16HIPCUB_304000_NS21CountingInputIteratorIllEEPS6_NSA_22TransformInputIteratorIb7NonZeroIfEPflEENS0_5tupleIJPlS6_EEENSJ_IJSD_SD_EEES6_SK_JS6_EEE10hipError_tPvRmT3_T4_T5_T6_T7_T9_mT8_P12ihipStream_tbDpT10_ENKUlT_T0_E_clISt17integral_constantIbLb0EES15_IbLb1EEEEDaS11_S12_EUlS11_E_NS1_11comp_targetILNS1_3genE9ELNS1_11target_archE1100ELNS1_3gpuE3ELNS1_3repE0EEENS1_30default_config_static_selectorELNS0_4arch9wavefront6targetE1EEEvT1_ ; -- Begin function _ZN7rocprim17ROCPRIM_400000_NS6detail17trampoline_kernelINS0_14default_configENS1_25partition_config_selectorILNS1_17partition_subalgoE5ElNS0_10empty_typeEbEEZZNS1_14partition_implILS5_5ELb0ES3_mN6hipcub16HIPCUB_304000_NS21CountingInputIteratorIllEEPS6_NSA_22TransformInputIteratorIb7NonZeroIfEPflEENS0_5tupleIJPlS6_EEENSJ_IJSD_SD_EEES6_SK_JS6_EEE10hipError_tPvRmT3_T4_T5_T6_T7_T9_mT8_P12ihipStream_tbDpT10_ENKUlT_T0_E_clISt17integral_constantIbLb0EES15_IbLb1EEEEDaS11_S12_EUlS11_E_NS1_11comp_targetILNS1_3genE9ELNS1_11target_archE1100ELNS1_3gpuE3ELNS1_3repE0EEENS1_30default_config_static_selectorELNS0_4arch9wavefront6targetE1EEEvT1_
	.globl	_ZN7rocprim17ROCPRIM_400000_NS6detail17trampoline_kernelINS0_14default_configENS1_25partition_config_selectorILNS1_17partition_subalgoE5ElNS0_10empty_typeEbEEZZNS1_14partition_implILS5_5ELb0ES3_mN6hipcub16HIPCUB_304000_NS21CountingInputIteratorIllEEPS6_NSA_22TransformInputIteratorIb7NonZeroIfEPflEENS0_5tupleIJPlS6_EEENSJ_IJSD_SD_EEES6_SK_JS6_EEE10hipError_tPvRmT3_T4_T5_T6_T7_T9_mT8_P12ihipStream_tbDpT10_ENKUlT_T0_E_clISt17integral_constantIbLb0EES15_IbLb1EEEEDaS11_S12_EUlS11_E_NS1_11comp_targetILNS1_3genE9ELNS1_11target_archE1100ELNS1_3gpuE3ELNS1_3repE0EEENS1_30default_config_static_selectorELNS0_4arch9wavefront6targetE1EEEvT1_
	.p2align	8
	.type	_ZN7rocprim17ROCPRIM_400000_NS6detail17trampoline_kernelINS0_14default_configENS1_25partition_config_selectorILNS1_17partition_subalgoE5ElNS0_10empty_typeEbEEZZNS1_14partition_implILS5_5ELb0ES3_mN6hipcub16HIPCUB_304000_NS21CountingInputIteratorIllEEPS6_NSA_22TransformInputIteratorIb7NonZeroIfEPflEENS0_5tupleIJPlS6_EEENSJ_IJSD_SD_EEES6_SK_JS6_EEE10hipError_tPvRmT3_T4_T5_T6_T7_T9_mT8_P12ihipStream_tbDpT10_ENKUlT_T0_E_clISt17integral_constantIbLb0EES15_IbLb1EEEEDaS11_S12_EUlS11_E_NS1_11comp_targetILNS1_3genE9ELNS1_11target_archE1100ELNS1_3gpuE3ELNS1_3repE0EEENS1_30default_config_static_selectorELNS0_4arch9wavefront6targetE1EEEvT1_,@function
_ZN7rocprim17ROCPRIM_400000_NS6detail17trampoline_kernelINS0_14default_configENS1_25partition_config_selectorILNS1_17partition_subalgoE5ElNS0_10empty_typeEbEEZZNS1_14partition_implILS5_5ELb0ES3_mN6hipcub16HIPCUB_304000_NS21CountingInputIteratorIllEEPS6_NSA_22TransformInputIteratorIb7NonZeroIfEPflEENS0_5tupleIJPlS6_EEENSJ_IJSD_SD_EEES6_SK_JS6_EEE10hipError_tPvRmT3_T4_T5_T6_T7_T9_mT8_P12ihipStream_tbDpT10_ENKUlT_T0_E_clISt17integral_constantIbLb0EES15_IbLb1EEEEDaS11_S12_EUlS11_E_NS1_11comp_targetILNS1_3genE9ELNS1_11target_archE1100ELNS1_3gpuE3ELNS1_3repE0EEENS1_30default_config_static_selectorELNS0_4arch9wavefront6targetE1EEEvT1_: ; @_ZN7rocprim17ROCPRIM_400000_NS6detail17trampoline_kernelINS0_14default_configENS1_25partition_config_selectorILNS1_17partition_subalgoE5ElNS0_10empty_typeEbEEZZNS1_14partition_implILS5_5ELb0ES3_mN6hipcub16HIPCUB_304000_NS21CountingInputIteratorIllEEPS6_NSA_22TransformInputIteratorIb7NonZeroIfEPflEENS0_5tupleIJPlS6_EEENSJ_IJSD_SD_EEES6_SK_JS6_EEE10hipError_tPvRmT3_T4_T5_T6_T7_T9_mT8_P12ihipStream_tbDpT10_ENKUlT_T0_E_clISt17integral_constantIbLb0EES15_IbLb1EEEEDaS11_S12_EUlS11_E_NS1_11comp_targetILNS1_3genE9ELNS1_11target_archE1100ELNS1_3gpuE3ELNS1_3repE0EEENS1_30default_config_static_selectorELNS0_4arch9wavefront6targetE1EEEvT1_
; %bb.0:
	.section	.rodata,"a",@progbits
	.p2align	6, 0x0
	.amdhsa_kernel _ZN7rocprim17ROCPRIM_400000_NS6detail17trampoline_kernelINS0_14default_configENS1_25partition_config_selectorILNS1_17partition_subalgoE5ElNS0_10empty_typeEbEEZZNS1_14partition_implILS5_5ELb0ES3_mN6hipcub16HIPCUB_304000_NS21CountingInputIteratorIllEEPS6_NSA_22TransformInputIteratorIb7NonZeroIfEPflEENS0_5tupleIJPlS6_EEENSJ_IJSD_SD_EEES6_SK_JS6_EEE10hipError_tPvRmT3_T4_T5_T6_T7_T9_mT8_P12ihipStream_tbDpT10_ENKUlT_T0_E_clISt17integral_constantIbLb0EES15_IbLb1EEEEDaS11_S12_EUlS11_E_NS1_11comp_targetILNS1_3genE9ELNS1_11target_archE1100ELNS1_3gpuE3ELNS1_3repE0EEENS1_30default_config_static_selectorELNS0_4arch9wavefront6targetE1EEEvT1_
		.amdhsa_group_segment_fixed_size 0
		.amdhsa_private_segment_fixed_size 0
		.amdhsa_kernarg_size 136
		.amdhsa_user_sgpr_count 2
		.amdhsa_user_sgpr_dispatch_ptr 0
		.amdhsa_user_sgpr_queue_ptr 0
		.amdhsa_user_sgpr_kernarg_segment_ptr 1
		.amdhsa_user_sgpr_dispatch_id 0
		.amdhsa_user_sgpr_kernarg_preload_length 0
		.amdhsa_user_sgpr_kernarg_preload_offset 0
		.amdhsa_user_sgpr_private_segment_size 0
		.amdhsa_uses_dynamic_stack 0
		.amdhsa_enable_private_segment 0
		.amdhsa_system_sgpr_workgroup_id_x 1
		.amdhsa_system_sgpr_workgroup_id_y 0
		.amdhsa_system_sgpr_workgroup_id_z 0
		.amdhsa_system_sgpr_workgroup_info 0
		.amdhsa_system_vgpr_workitem_id 0
		.amdhsa_next_free_vgpr 1
		.amdhsa_next_free_sgpr 0
		.amdhsa_accum_offset 4
		.amdhsa_reserve_vcc 0
		.amdhsa_float_round_mode_32 0
		.amdhsa_float_round_mode_16_64 0
		.amdhsa_float_denorm_mode_32 3
		.amdhsa_float_denorm_mode_16_64 3
		.amdhsa_dx10_clamp 1
		.amdhsa_ieee_mode 1
		.amdhsa_fp16_overflow 0
		.amdhsa_tg_split 0
		.amdhsa_exception_fp_ieee_invalid_op 0
		.amdhsa_exception_fp_denorm_src 0
		.amdhsa_exception_fp_ieee_div_zero 0
		.amdhsa_exception_fp_ieee_overflow 0
		.amdhsa_exception_fp_ieee_underflow 0
		.amdhsa_exception_fp_ieee_inexact 0
		.amdhsa_exception_int_div_zero 0
	.end_amdhsa_kernel
	.section	.text._ZN7rocprim17ROCPRIM_400000_NS6detail17trampoline_kernelINS0_14default_configENS1_25partition_config_selectorILNS1_17partition_subalgoE5ElNS0_10empty_typeEbEEZZNS1_14partition_implILS5_5ELb0ES3_mN6hipcub16HIPCUB_304000_NS21CountingInputIteratorIllEEPS6_NSA_22TransformInputIteratorIb7NonZeroIfEPflEENS0_5tupleIJPlS6_EEENSJ_IJSD_SD_EEES6_SK_JS6_EEE10hipError_tPvRmT3_T4_T5_T6_T7_T9_mT8_P12ihipStream_tbDpT10_ENKUlT_T0_E_clISt17integral_constantIbLb0EES15_IbLb1EEEEDaS11_S12_EUlS11_E_NS1_11comp_targetILNS1_3genE9ELNS1_11target_archE1100ELNS1_3gpuE3ELNS1_3repE0EEENS1_30default_config_static_selectorELNS0_4arch9wavefront6targetE1EEEvT1_,"axG",@progbits,_ZN7rocprim17ROCPRIM_400000_NS6detail17trampoline_kernelINS0_14default_configENS1_25partition_config_selectorILNS1_17partition_subalgoE5ElNS0_10empty_typeEbEEZZNS1_14partition_implILS5_5ELb0ES3_mN6hipcub16HIPCUB_304000_NS21CountingInputIteratorIllEEPS6_NSA_22TransformInputIteratorIb7NonZeroIfEPflEENS0_5tupleIJPlS6_EEENSJ_IJSD_SD_EEES6_SK_JS6_EEE10hipError_tPvRmT3_T4_T5_T6_T7_T9_mT8_P12ihipStream_tbDpT10_ENKUlT_T0_E_clISt17integral_constantIbLb0EES15_IbLb1EEEEDaS11_S12_EUlS11_E_NS1_11comp_targetILNS1_3genE9ELNS1_11target_archE1100ELNS1_3gpuE3ELNS1_3repE0EEENS1_30default_config_static_selectorELNS0_4arch9wavefront6targetE1EEEvT1_,comdat
.Lfunc_end283:
	.size	_ZN7rocprim17ROCPRIM_400000_NS6detail17trampoline_kernelINS0_14default_configENS1_25partition_config_selectorILNS1_17partition_subalgoE5ElNS0_10empty_typeEbEEZZNS1_14partition_implILS5_5ELb0ES3_mN6hipcub16HIPCUB_304000_NS21CountingInputIteratorIllEEPS6_NSA_22TransformInputIteratorIb7NonZeroIfEPflEENS0_5tupleIJPlS6_EEENSJ_IJSD_SD_EEES6_SK_JS6_EEE10hipError_tPvRmT3_T4_T5_T6_T7_T9_mT8_P12ihipStream_tbDpT10_ENKUlT_T0_E_clISt17integral_constantIbLb0EES15_IbLb1EEEEDaS11_S12_EUlS11_E_NS1_11comp_targetILNS1_3genE9ELNS1_11target_archE1100ELNS1_3gpuE3ELNS1_3repE0EEENS1_30default_config_static_selectorELNS0_4arch9wavefront6targetE1EEEvT1_, .Lfunc_end283-_ZN7rocprim17ROCPRIM_400000_NS6detail17trampoline_kernelINS0_14default_configENS1_25partition_config_selectorILNS1_17partition_subalgoE5ElNS0_10empty_typeEbEEZZNS1_14partition_implILS5_5ELb0ES3_mN6hipcub16HIPCUB_304000_NS21CountingInputIteratorIllEEPS6_NSA_22TransformInputIteratorIb7NonZeroIfEPflEENS0_5tupleIJPlS6_EEENSJ_IJSD_SD_EEES6_SK_JS6_EEE10hipError_tPvRmT3_T4_T5_T6_T7_T9_mT8_P12ihipStream_tbDpT10_ENKUlT_T0_E_clISt17integral_constantIbLb0EES15_IbLb1EEEEDaS11_S12_EUlS11_E_NS1_11comp_targetILNS1_3genE9ELNS1_11target_archE1100ELNS1_3gpuE3ELNS1_3repE0EEENS1_30default_config_static_selectorELNS0_4arch9wavefront6targetE1EEEvT1_
                                        ; -- End function
	.set _ZN7rocprim17ROCPRIM_400000_NS6detail17trampoline_kernelINS0_14default_configENS1_25partition_config_selectorILNS1_17partition_subalgoE5ElNS0_10empty_typeEbEEZZNS1_14partition_implILS5_5ELb0ES3_mN6hipcub16HIPCUB_304000_NS21CountingInputIteratorIllEEPS6_NSA_22TransformInputIteratorIb7NonZeroIfEPflEENS0_5tupleIJPlS6_EEENSJ_IJSD_SD_EEES6_SK_JS6_EEE10hipError_tPvRmT3_T4_T5_T6_T7_T9_mT8_P12ihipStream_tbDpT10_ENKUlT_T0_E_clISt17integral_constantIbLb0EES15_IbLb1EEEEDaS11_S12_EUlS11_E_NS1_11comp_targetILNS1_3genE9ELNS1_11target_archE1100ELNS1_3gpuE3ELNS1_3repE0EEENS1_30default_config_static_selectorELNS0_4arch9wavefront6targetE1EEEvT1_.num_vgpr, 0
	.set _ZN7rocprim17ROCPRIM_400000_NS6detail17trampoline_kernelINS0_14default_configENS1_25partition_config_selectorILNS1_17partition_subalgoE5ElNS0_10empty_typeEbEEZZNS1_14partition_implILS5_5ELb0ES3_mN6hipcub16HIPCUB_304000_NS21CountingInputIteratorIllEEPS6_NSA_22TransformInputIteratorIb7NonZeroIfEPflEENS0_5tupleIJPlS6_EEENSJ_IJSD_SD_EEES6_SK_JS6_EEE10hipError_tPvRmT3_T4_T5_T6_T7_T9_mT8_P12ihipStream_tbDpT10_ENKUlT_T0_E_clISt17integral_constantIbLb0EES15_IbLb1EEEEDaS11_S12_EUlS11_E_NS1_11comp_targetILNS1_3genE9ELNS1_11target_archE1100ELNS1_3gpuE3ELNS1_3repE0EEENS1_30default_config_static_selectorELNS0_4arch9wavefront6targetE1EEEvT1_.num_agpr, 0
	.set _ZN7rocprim17ROCPRIM_400000_NS6detail17trampoline_kernelINS0_14default_configENS1_25partition_config_selectorILNS1_17partition_subalgoE5ElNS0_10empty_typeEbEEZZNS1_14partition_implILS5_5ELb0ES3_mN6hipcub16HIPCUB_304000_NS21CountingInputIteratorIllEEPS6_NSA_22TransformInputIteratorIb7NonZeroIfEPflEENS0_5tupleIJPlS6_EEENSJ_IJSD_SD_EEES6_SK_JS6_EEE10hipError_tPvRmT3_T4_T5_T6_T7_T9_mT8_P12ihipStream_tbDpT10_ENKUlT_T0_E_clISt17integral_constantIbLb0EES15_IbLb1EEEEDaS11_S12_EUlS11_E_NS1_11comp_targetILNS1_3genE9ELNS1_11target_archE1100ELNS1_3gpuE3ELNS1_3repE0EEENS1_30default_config_static_selectorELNS0_4arch9wavefront6targetE1EEEvT1_.numbered_sgpr, 0
	.set _ZN7rocprim17ROCPRIM_400000_NS6detail17trampoline_kernelINS0_14default_configENS1_25partition_config_selectorILNS1_17partition_subalgoE5ElNS0_10empty_typeEbEEZZNS1_14partition_implILS5_5ELb0ES3_mN6hipcub16HIPCUB_304000_NS21CountingInputIteratorIllEEPS6_NSA_22TransformInputIteratorIb7NonZeroIfEPflEENS0_5tupleIJPlS6_EEENSJ_IJSD_SD_EEES6_SK_JS6_EEE10hipError_tPvRmT3_T4_T5_T6_T7_T9_mT8_P12ihipStream_tbDpT10_ENKUlT_T0_E_clISt17integral_constantIbLb0EES15_IbLb1EEEEDaS11_S12_EUlS11_E_NS1_11comp_targetILNS1_3genE9ELNS1_11target_archE1100ELNS1_3gpuE3ELNS1_3repE0EEENS1_30default_config_static_selectorELNS0_4arch9wavefront6targetE1EEEvT1_.num_named_barrier, 0
	.set _ZN7rocprim17ROCPRIM_400000_NS6detail17trampoline_kernelINS0_14default_configENS1_25partition_config_selectorILNS1_17partition_subalgoE5ElNS0_10empty_typeEbEEZZNS1_14partition_implILS5_5ELb0ES3_mN6hipcub16HIPCUB_304000_NS21CountingInputIteratorIllEEPS6_NSA_22TransformInputIteratorIb7NonZeroIfEPflEENS0_5tupleIJPlS6_EEENSJ_IJSD_SD_EEES6_SK_JS6_EEE10hipError_tPvRmT3_T4_T5_T6_T7_T9_mT8_P12ihipStream_tbDpT10_ENKUlT_T0_E_clISt17integral_constantIbLb0EES15_IbLb1EEEEDaS11_S12_EUlS11_E_NS1_11comp_targetILNS1_3genE9ELNS1_11target_archE1100ELNS1_3gpuE3ELNS1_3repE0EEENS1_30default_config_static_selectorELNS0_4arch9wavefront6targetE1EEEvT1_.private_seg_size, 0
	.set _ZN7rocprim17ROCPRIM_400000_NS6detail17trampoline_kernelINS0_14default_configENS1_25partition_config_selectorILNS1_17partition_subalgoE5ElNS0_10empty_typeEbEEZZNS1_14partition_implILS5_5ELb0ES3_mN6hipcub16HIPCUB_304000_NS21CountingInputIteratorIllEEPS6_NSA_22TransformInputIteratorIb7NonZeroIfEPflEENS0_5tupleIJPlS6_EEENSJ_IJSD_SD_EEES6_SK_JS6_EEE10hipError_tPvRmT3_T4_T5_T6_T7_T9_mT8_P12ihipStream_tbDpT10_ENKUlT_T0_E_clISt17integral_constantIbLb0EES15_IbLb1EEEEDaS11_S12_EUlS11_E_NS1_11comp_targetILNS1_3genE9ELNS1_11target_archE1100ELNS1_3gpuE3ELNS1_3repE0EEENS1_30default_config_static_selectorELNS0_4arch9wavefront6targetE1EEEvT1_.uses_vcc, 0
	.set _ZN7rocprim17ROCPRIM_400000_NS6detail17trampoline_kernelINS0_14default_configENS1_25partition_config_selectorILNS1_17partition_subalgoE5ElNS0_10empty_typeEbEEZZNS1_14partition_implILS5_5ELb0ES3_mN6hipcub16HIPCUB_304000_NS21CountingInputIteratorIllEEPS6_NSA_22TransformInputIteratorIb7NonZeroIfEPflEENS0_5tupleIJPlS6_EEENSJ_IJSD_SD_EEES6_SK_JS6_EEE10hipError_tPvRmT3_T4_T5_T6_T7_T9_mT8_P12ihipStream_tbDpT10_ENKUlT_T0_E_clISt17integral_constantIbLb0EES15_IbLb1EEEEDaS11_S12_EUlS11_E_NS1_11comp_targetILNS1_3genE9ELNS1_11target_archE1100ELNS1_3gpuE3ELNS1_3repE0EEENS1_30default_config_static_selectorELNS0_4arch9wavefront6targetE1EEEvT1_.uses_flat_scratch, 0
	.set _ZN7rocprim17ROCPRIM_400000_NS6detail17trampoline_kernelINS0_14default_configENS1_25partition_config_selectorILNS1_17partition_subalgoE5ElNS0_10empty_typeEbEEZZNS1_14partition_implILS5_5ELb0ES3_mN6hipcub16HIPCUB_304000_NS21CountingInputIteratorIllEEPS6_NSA_22TransformInputIteratorIb7NonZeroIfEPflEENS0_5tupleIJPlS6_EEENSJ_IJSD_SD_EEES6_SK_JS6_EEE10hipError_tPvRmT3_T4_T5_T6_T7_T9_mT8_P12ihipStream_tbDpT10_ENKUlT_T0_E_clISt17integral_constantIbLb0EES15_IbLb1EEEEDaS11_S12_EUlS11_E_NS1_11comp_targetILNS1_3genE9ELNS1_11target_archE1100ELNS1_3gpuE3ELNS1_3repE0EEENS1_30default_config_static_selectorELNS0_4arch9wavefront6targetE1EEEvT1_.has_dyn_sized_stack, 0
	.set _ZN7rocprim17ROCPRIM_400000_NS6detail17trampoline_kernelINS0_14default_configENS1_25partition_config_selectorILNS1_17partition_subalgoE5ElNS0_10empty_typeEbEEZZNS1_14partition_implILS5_5ELb0ES3_mN6hipcub16HIPCUB_304000_NS21CountingInputIteratorIllEEPS6_NSA_22TransformInputIteratorIb7NonZeroIfEPflEENS0_5tupleIJPlS6_EEENSJ_IJSD_SD_EEES6_SK_JS6_EEE10hipError_tPvRmT3_T4_T5_T6_T7_T9_mT8_P12ihipStream_tbDpT10_ENKUlT_T0_E_clISt17integral_constantIbLb0EES15_IbLb1EEEEDaS11_S12_EUlS11_E_NS1_11comp_targetILNS1_3genE9ELNS1_11target_archE1100ELNS1_3gpuE3ELNS1_3repE0EEENS1_30default_config_static_selectorELNS0_4arch9wavefront6targetE1EEEvT1_.has_recursion, 0
	.set _ZN7rocprim17ROCPRIM_400000_NS6detail17trampoline_kernelINS0_14default_configENS1_25partition_config_selectorILNS1_17partition_subalgoE5ElNS0_10empty_typeEbEEZZNS1_14partition_implILS5_5ELb0ES3_mN6hipcub16HIPCUB_304000_NS21CountingInputIteratorIllEEPS6_NSA_22TransformInputIteratorIb7NonZeroIfEPflEENS0_5tupleIJPlS6_EEENSJ_IJSD_SD_EEES6_SK_JS6_EEE10hipError_tPvRmT3_T4_T5_T6_T7_T9_mT8_P12ihipStream_tbDpT10_ENKUlT_T0_E_clISt17integral_constantIbLb0EES15_IbLb1EEEEDaS11_S12_EUlS11_E_NS1_11comp_targetILNS1_3genE9ELNS1_11target_archE1100ELNS1_3gpuE3ELNS1_3repE0EEENS1_30default_config_static_selectorELNS0_4arch9wavefront6targetE1EEEvT1_.has_indirect_call, 0
	.section	.AMDGPU.csdata,"",@progbits
; Kernel info:
; codeLenInByte = 0
; TotalNumSgprs: 6
; NumVgprs: 0
; NumAgprs: 0
; TotalNumVgprs: 0
; ScratchSize: 0
; MemoryBound: 0
; FloatMode: 240
; IeeeMode: 1
; LDSByteSize: 0 bytes/workgroup (compile time only)
; SGPRBlocks: 0
; VGPRBlocks: 0
; NumSGPRsForWavesPerEU: 6
; NumVGPRsForWavesPerEU: 1
; AccumOffset: 4
; Occupancy: 8
; WaveLimiterHint : 0
; COMPUTE_PGM_RSRC2:SCRATCH_EN: 0
; COMPUTE_PGM_RSRC2:USER_SGPR: 2
; COMPUTE_PGM_RSRC2:TRAP_HANDLER: 0
; COMPUTE_PGM_RSRC2:TGID_X_EN: 1
; COMPUTE_PGM_RSRC2:TGID_Y_EN: 0
; COMPUTE_PGM_RSRC2:TGID_Z_EN: 0
; COMPUTE_PGM_RSRC2:TIDIG_COMP_CNT: 0
; COMPUTE_PGM_RSRC3_GFX90A:ACCUM_OFFSET: 0
; COMPUTE_PGM_RSRC3_GFX90A:TG_SPLIT: 0
	.section	.text._ZN7rocprim17ROCPRIM_400000_NS6detail17trampoline_kernelINS0_14default_configENS1_25partition_config_selectorILNS1_17partition_subalgoE5ElNS0_10empty_typeEbEEZZNS1_14partition_implILS5_5ELb0ES3_mN6hipcub16HIPCUB_304000_NS21CountingInputIteratorIllEEPS6_NSA_22TransformInputIteratorIb7NonZeroIfEPflEENS0_5tupleIJPlS6_EEENSJ_IJSD_SD_EEES6_SK_JS6_EEE10hipError_tPvRmT3_T4_T5_T6_T7_T9_mT8_P12ihipStream_tbDpT10_ENKUlT_T0_E_clISt17integral_constantIbLb0EES15_IbLb1EEEEDaS11_S12_EUlS11_E_NS1_11comp_targetILNS1_3genE8ELNS1_11target_archE1030ELNS1_3gpuE2ELNS1_3repE0EEENS1_30default_config_static_selectorELNS0_4arch9wavefront6targetE1EEEvT1_,"axG",@progbits,_ZN7rocprim17ROCPRIM_400000_NS6detail17trampoline_kernelINS0_14default_configENS1_25partition_config_selectorILNS1_17partition_subalgoE5ElNS0_10empty_typeEbEEZZNS1_14partition_implILS5_5ELb0ES3_mN6hipcub16HIPCUB_304000_NS21CountingInputIteratorIllEEPS6_NSA_22TransformInputIteratorIb7NonZeroIfEPflEENS0_5tupleIJPlS6_EEENSJ_IJSD_SD_EEES6_SK_JS6_EEE10hipError_tPvRmT3_T4_T5_T6_T7_T9_mT8_P12ihipStream_tbDpT10_ENKUlT_T0_E_clISt17integral_constantIbLb0EES15_IbLb1EEEEDaS11_S12_EUlS11_E_NS1_11comp_targetILNS1_3genE8ELNS1_11target_archE1030ELNS1_3gpuE2ELNS1_3repE0EEENS1_30default_config_static_selectorELNS0_4arch9wavefront6targetE1EEEvT1_,comdat
	.protected	_ZN7rocprim17ROCPRIM_400000_NS6detail17trampoline_kernelINS0_14default_configENS1_25partition_config_selectorILNS1_17partition_subalgoE5ElNS0_10empty_typeEbEEZZNS1_14partition_implILS5_5ELb0ES3_mN6hipcub16HIPCUB_304000_NS21CountingInputIteratorIllEEPS6_NSA_22TransformInputIteratorIb7NonZeroIfEPflEENS0_5tupleIJPlS6_EEENSJ_IJSD_SD_EEES6_SK_JS6_EEE10hipError_tPvRmT3_T4_T5_T6_T7_T9_mT8_P12ihipStream_tbDpT10_ENKUlT_T0_E_clISt17integral_constantIbLb0EES15_IbLb1EEEEDaS11_S12_EUlS11_E_NS1_11comp_targetILNS1_3genE8ELNS1_11target_archE1030ELNS1_3gpuE2ELNS1_3repE0EEENS1_30default_config_static_selectorELNS0_4arch9wavefront6targetE1EEEvT1_ ; -- Begin function _ZN7rocprim17ROCPRIM_400000_NS6detail17trampoline_kernelINS0_14default_configENS1_25partition_config_selectorILNS1_17partition_subalgoE5ElNS0_10empty_typeEbEEZZNS1_14partition_implILS5_5ELb0ES3_mN6hipcub16HIPCUB_304000_NS21CountingInputIteratorIllEEPS6_NSA_22TransformInputIteratorIb7NonZeroIfEPflEENS0_5tupleIJPlS6_EEENSJ_IJSD_SD_EEES6_SK_JS6_EEE10hipError_tPvRmT3_T4_T5_T6_T7_T9_mT8_P12ihipStream_tbDpT10_ENKUlT_T0_E_clISt17integral_constantIbLb0EES15_IbLb1EEEEDaS11_S12_EUlS11_E_NS1_11comp_targetILNS1_3genE8ELNS1_11target_archE1030ELNS1_3gpuE2ELNS1_3repE0EEENS1_30default_config_static_selectorELNS0_4arch9wavefront6targetE1EEEvT1_
	.globl	_ZN7rocprim17ROCPRIM_400000_NS6detail17trampoline_kernelINS0_14default_configENS1_25partition_config_selectorILNS1_17partition_subalgoE5ElNS0_10empty_typeEbEEZZNS1_14partition_implILS5_5ELb0ES3_mN6hipcub16HIPCUB_304000_NS21CountingInputIteratorIllEEPS6_NSA_22TransformInputIteratorIb7NonZeroIfEPflEENS0_5tupleIJPlS6_EEENSJ_IJSD_SD_EEES6_SK_JS6_EEE10hipError_tPvRmT3_T4_T5_T6_T7_T9_mT8_P12ihipStream_tbDpT10_ENKUlT_T0_E_clISt17integral_constantIbLb0EES15_IbLb1EEEEDaS11_S12_EUlS11_E_NS1_11comp_targetILNS1_3genE8ELNS1_11target_archE1030ELNS1_3gpuE2ELNS1_3repE0EEENS1_30default_config_static_selectorELNS0_4arch9wavefront6targetE1EEEvT1_
	.p2align	8
	.type	_ZN7rocprim17ROCPRIM_400000_NS6detail17trampoline_kernelINS0_14default_configENS1_25partition_config_selectorILNS1_17partition_subalgoE5ElNS0_10empty_typeEbEEZZNS1_14partition_implILS5_5ELb0ES3_mN6hipcub16HIPCUB_304000_NS21CountingInputIteratorIllEEPS6_NSA_22TransformInputIteratorIb7NonZeroIfEPflEENS0_5tupleIJPlS6_EEENSJ_IJSD_SD_EEES6_SK_JS6_EEE10hipError_tPvRmT3_T4_T5_T6_T7_T9_mT8_P12ihipStream_tbDpT10_ENKUlT_T0_E_clISt17integral_constantIbLb0EES15_IbLb1EEEEDaS11_S12_EUlS11_E_NS1_11comp_targetILNS1_3genE8ELNS1_11target_archE1030ELNS1_3gpuE2ELNS1_3repE0EEENS1_30default_config_static_selectorELNS0_4arch9wavefront6targetE1EEEvT1_,@function
_ZN7rocprim17ROCPRIM_400000_NS6detail17trampoline_kernelINS0_14default_configENS1_25partition_config_selectorILNS1_17partition_subalgoE5ElNS0_10empty_typeEbEEZZNS1_14partition_implILS5_5ELb0ES3_mN6hipcub16HIPCUB_304000_NS21CountingInputIteratorIllEEPS6_NSA_22TransformInputIteratorIb7NonZeroIfEPflEENS0_5tupleIJPlS6_EEENSJ_IJSD_SD_EEES6_SK_JS6_EEE10hipError_tPvRmT3_T4_T5_T6_T7_T9_mT8_P12ihipStream_tbDpT10_ENKUlT_T0_E_clISt17integral_constantIbLb0EES15_IbLb1EEEEDaS11_S12_EUlS11_E_NS1_11comp_targetILNS1_3genE8ELNS1_11target_archE1030ELNS1_3gpuE2ELNS1_3repE0EEENS1_30default_config_static_selectorELNS0_4arch9wavefront6targetE1EEEvT1_: ; @_ZN7rocprim17ROCPRIM_400000_NS6detail17trampoline_kernelINS0_14default_configENS1_25partition_config_selectorILNS1_17partition_subalgoE5ElNS0_10empty_typeEbEEZZNS1_14partition_implILS5_5ELb0ES3_mN6hipcub16HIPCUB_304000_NS21CountingInputIteratorIllEEPS6_NSA_22TransformInputIteratorIb7NonZeroIfEPflEENS0_5tupleIJPlS6_EEENSJ_IJSD_SD_EEES6_SK_JS6_EEE10hipError_tPvRmT3_T4_T5_T6_T7_T9_mT8_P12ihipStream_tbDpT10_ENKUlT_T0_E_clISt17integral_constantIbLb0EES15_IbLb1EEEEDaS11_S12_EUlS11_E_NS1_11comp_targetILNS1_3genE8ELNS1_11target_archE1030ELNS1_3gpuE2ELNS1_3repE0EEENS1_30default_config_static_selectorELNS0_4arch9wavefront6targetE1EEEvT1_
; %bb.0:
	.section	.rodata,"a",@progbits
	.p2align	6, 0x0
	.amdhsa_kernel _ZN7rocprim17ROCPRIM_400000_NS6detail17trampoline_kernelINS0_14default_configENS1_25partition_config_selectorILNS1_17partition_subalgoE5ElNS0_10empty_typeEbEEZZNS1_14partition_implILS5_5ELb0ES3_mN6hipcub16HIPCUB_304000_NS21CountingInputIteratorIllEEPS6_NSA_22TransformInputIteratorIb7NonZeroIfEPflEENS0_5tupleIJPlS6_EEENSJ_IJSD_SD_EEES6_SK_JS6_EEE10hipError_tPvRmT3_T4_T5_T6_T7_T9_mT8_P12ihipStream_tbDpT10_ENKUlT_T0_E_clISt17integral_constantIbLb0EES15_IbLb1EEEEDaS11_S12_EUlS11_E_NS1_11comp_targetILNS1_3genE8ELNS1_11target_archE1030ELNS1_3gpuE2ELNS1_3repE0EEENS1_30default_config_static_selectorELNS0_4arch9wavefront6targetE1EEEvT1_
		.amdhsa_group_segment_fixed_size 0
		.amdhsa_private_segment_fixed_size 0
		.amdhsa_kernarg_size 136
		.amdhsa_user_sgpr_count 2
		.amdhsa_user_sgpr_dispatch_ptr 0
		.amdhsa_user_sgpr_queue_ptr 0
		.amdhsa_user_sgpr_kernarg_segment_ptr 1
		.amdhsa_user_sgpr_dispatch_id 0
		.amdhsa_user_sgpr_kernarg_preload_length 0
		.amdhsa_user_sgpr_kernarg_preload_offset 0
		.amdhsa_user_sgpr_private_segment_size 0
		.amdhsa_uses_dynamic_stack 0
		.amdhsa_enable_private_segment 0
		.amdhsa_system_sgpr_workgroup_id_x 1
		.amdhsa_system_sgpr_workgroup_id_y 0
		.amdhsa_system_sgpr_workgroup_id_z 0
		.amdhsa_system_sgpr_workgroup_info 0
		.amdhsa_system_vgpr_workitem_id 0
		.amdhsa_next_free_vgpr 1
		.amdhsa_next_free_sgpr 0
		.amdhsa_accum_offset 4
		.amdhsa_reserve_vcc 0
		.amdhsa_float_round_mode_32 0
		.amdhsa_float_round_mode_16_64 0
		.amdhsa_float_denorm_mode_32 3
		.amdhsa_float_denorm_mode_16_64 3
		.amdhsa_dx10_clamp 1
		.amdhsa_ieee_mode 1
		.amdhsa_fp16_overflow 0
		.amdhsa_tg_split 0
		.amdhsa_exception_fp_ieee_invalid_op 0
		.amdhsa_exception_fp_denorm_src 0
		.amdhsa_exception_fp_ieee_div_zero 0
		.amdhsa_exception_fp_ieee_overflow 0
		.amdhsa_exception_fp_ieee_underflow 0
		.amdhsa_exception_fp_ieee_inexact 0
		.amdhsa_exception_int_div_zero 0
	.end_amdhsa_kernel
	.section	.text._ZN7rocprim17ROCPRIM_400000_NS6detail17trampoline_kernelINS0_14default_configENS1_25partition_config_selectorILNS1_17partition_subalgoE5ElNS0_10empty_typeEbEEZZNS1_14partition_implILS5_5ELb0ES3_mN6hipcub16HIPCUB_304000_NS21CountingInputIteratorIllEEPS6_NSA_22TransformInputIteratorIb7NonZeroIfEPflEENS0_5tupleIJPlS6_EEENSJ_IJSD_SD_EEES6_SK_JS6_EEE10hipError_tPvRmT3_T4_T5_T6_T7_T9_mT8_P12ihipStream_tbDpT10_ENKUlT_T0_E_clISt17integral_constantIbLb0EES15_IbLb1EEEEDaS11_S12_EUlS11_E_NS1_11comp_targetILNS1_3genE8ELNS1_11target_archE1030ELNS1_3gpuE2ELNS1_3repE0EEENS1_30default_config_static_selectorELNS0_4arch9wavefront6targetE1EEEvT1_,"axG",@progbits,_ZN7rocprim17ROCPRIM_400000_NS6detail17trampoline_kernelINS0_14default_configENS1_25partition_config_selectorILNS1_17partition_subalgoE5ElNS0_10empty_typeEbEEZZNS1_14partition_implILS5_5ELb0ES3_mN6hipcub16HIPCUB_304000_NS21CountingInputIteratorIllEEPS6_NSA_22TransformInputIteratorIb7NonZeroIfEPflEENS0_5tupleIJPlS6_EEENSJ_IJSD_SD_EEES6_SK_JS6_EEE10hipError_tPvRmT3_T4_T5_T6_T7_T9_mT8_P12ihipStream_tbDpT10_ENKUlT_T0_E_clISt17integral_constantIbLb0EES15_IbLb1EEEEDaS11_S12_EUlS11_E_NS1_11comp_targetILNS1_3genE8ELNS1_11target_archE1030ELNS1_3gpuE2ELNS1_3repE0EEENS1_30default_config_static_selectorELNS0_4arch9wavefront6targetE1EEEvT1_,comdat
.Lfunc_end284:
	.size	_ZN7rocprim17ROCPRIM_400000_NS6detail17trampoline_kernelINS0_14default_configENS1_25partition_config_selectorILNS1_17partition_subalgoE5ElNS0_10empty_typeEbEEZZNS1_14partition_implILS5_5ELb0ES3_mN6hipcub16HIPCUB_304000_NS21CountingInputIteratorIllEEPS6_NSA_22TransformInputIteratorIb7NonZeroIfEPflEENS0_5tupleIJPlS6_EEENSJ_IJSD_SD_EEES6_SK_JS6_EEE10hipError_tPvRmT3_T4_T5_T6_T7_T9_mT8_P12ihipStream_tbDpT10_ENKUlT_T0_E_clISt17integral_constantIbLb0EES15_IbLb1EEEEDaS11_S12_EUlS11_E_NS1_11comp_targetILNS1_3genE8ELNS1_11target_archE1030ELNS1_3gpuE2ELNS1_3repE0EEENS1_30default_config_static_selectorELNS0_4arch9wavefront6targetE1EEEvT1_, .Lfunc_end284-_ZN7rocprim17ROCPRIM_400000_NS6detail17trampoline_kernelINS0_14default_configENS1_25partition_config_selectorILNS1_17partition_subalgoE5ElNS0_10empty_typeEbEEZZNS1_14partition_implILS5_5ELb0ES3_mN6hipcub16HIPCUB_304000_NS21CountingInputIteratorIllEEPS6_NSA_22TransformInputIteratorIb7NonZeroIfEPflEENS0_5tupleIJPlS6_EEENSJ_IJSD_SD_EEES6_SK_JS6_EEE10hipError_tPvRmT3_T4_T5_T6_T7_T9_mT8_P12ihipStream_tbDpT10_ENKUlT_T0_E_clISt17integral_constantIbLb0EES15_IbLb1EEEEDaS11_S12_EUlS11_E_NS1_11comp_targetILNS1_3genE8ELNS1_11target_archE1030ELNS1_3gpuE2ELNS1_3repE0EEENS1_30default_config_static_selectorELNS0_4arch9wavefront6targetE1EEEvT1_
                                        ; -- End function
	.set _ZN7rocprim17ROCPRIM_400000_NS6detail17trampoline_kernelINS0_14default_configENS1_25partition_config_selectorILNS1_17partition_subalgoE5ElNS0_10empty_typeEbEEZZNS1_14partition_implILS5_5ELb0ES3_mN6hipcub16HIPCUB_304000_NS21CountingInputIteratorIllEEPS6_NSA_22TransformInputIteratorIb7NonZeroIfEPflEENS0_5tupleIJPlS6_EEENSJ_IJSD_SD_EEES6_SK_JS6_EEE10hipError_tPvRmT3_T4_T5_T6_T7_T9_mT8_P12ihipStream_tbDpT10_ENKUlT_T0_E_clISt17integral_constantIbLb0EES15_IbLb1EEEEDaS11_S12_EUlS11_E_NS1_11comp_targetILNS1_3genE8ELNS1_11target_archE1030ELNS1_3gpuE2ELNS1_3repE0EEENS1_30default_config_static_selectorELNS0_4arch9wavefront6targetE1EEEvT1_.num_vgpr, 0
	.set _ZN7rocprim17ROCPRIM_400000_NS6detail17trampoline_kernelINS0_14default_configENS1_25partition_config_selectorILNS1_17partition_subalgoE5ElNS0_10empty_typeEbEEZZNS1_14partition_implILS5_5ELb0ES3_mN6hipcub16HIPCUB_304000_NS21CountingInputIteratorIllEEPS6_NSA_22TransformInputIteratorIb7NonZeroIfEPflEENS0_5tupleIJPlS6_EEENSJ_IJSD_SD_EEES6_SK_JS6_EEE10hipError_tPvRmT3_T4_T5_T6_T7_T9_mT8_P12ihipStream_tbDpT10_ENKUlT_T0_E_clISt17integral_constantIbLb0EES15_IbLb1EEEEDaS11_S12_EUlS11_E_NS1_11comp_targetILNS1_3genE8ELNS1_11target_archE1030ELNS1_3gpuE2ELNS1_3repE0EEENS1_30default_config_static_selectorELNS0_4arch9wavefront6targetE1EEEvT1_.num_agpr, 0
	.set _ZN7rocprim17ROCPRIM_400000_NS6detail17trampoline_kernelINS0_14default_configENS1_25partition_config_selectorILNS1_17partition_subalgoE5ElNS0_10empty_typeEbEEZZNS1_14partition_implILS5_5ELb0ES3_mN6hipcub16HIPCUB_304000_NS21CountingInputIteratorIllEEPS6_NSA_22TransformInputIteratorIb7NonZeroIfEPflEENS0_5tupleIJPlS6_EEENSJ_IJSD_SD_EEES6_SK_JS6_EEE10hipError_tPvRmT3_T4_T5_T6_T7_T9_mT8_P12ihipStream_tbDpT10_ENKUlT_T0_E_clISt17integral_constantIbLb0EES15_IbLb1EEEEDaS11_S12_EUlS11_E_NS1_11comp_targetILNS1_3genE8ELNS1_11target_archE1030ELNS1_3gpuE2ELNS1_3repE0EEENS1_30default_config_static_selectorELNS0_4arch9wavefront6targetE1EEEvT1_.numbered_sgpr, 0
	.set _ZN7rocprim17ROCPRIM_400000_NS6detail17trampoline_kernelINS0_14default_configENS1_25partition_config_selectorILNS1_17partition_subalgoE5ElNS0_10empty_typeEbEEZZNS1_14partition_implILS5_5ELb0ES3_mN6hipcub16HIPCUB_304000_NS21CountingInputIteratorIllEEPS6_NSA_22TransformInputIteratorIb7NonZeroIfEPflEENS0_5tupleIJPlS6_EEENSJ_IJSD_SD_EEES6_SK_JS6_EEE10hipError_tPvRmT3_T4_T5_T6_T7_T9_mT8_P12ihipStream_tbDpT10_ENKUlT_T0_E_clISt17integral_constantIbLb0EES15_IbLb1EEEEDaS11_S12_EUlS11_E_NS1_11comp_targetILNS1_3genE8ELNS1_11target_archE1030ELNS1_3gpuE2ELNS1_3repE0EEENS1_30default_config_static_selectorELNS0_4arch9wavefront6targetE1EEEvT1_.num_named_barrier, 0
	.set _ZN7rocprim17ROCPRIM_400000_NS6detail17trampoline_kernelINS0_14default_configENS1_25partition_config_selectorILNS1_17partition_subalgoE5ElNS0_10empty_typeEbEEZZNS1_14partition_implILS5_5ELb0ES3_mN6hipcub16HIPCUB_304000_NS21CountingInputIteratorIllEEPS6_NSA_22TransformInputIteratorIb7NonZeroIfEPflEENS0_5tupleIJPlS6_EEENSJ_IJSD_SD_EEES6_SK_JS6_EEE10hipError_tPvRmT3_T4_T5_T6_T7_T9_mT8_P12ihipStream_tbDpT10_ENKUlT_T0_E_clISt17integral_constantIbLb0EES15_IbLb1EEEEDaS11_S12_EUlS11_E_NS1_11comp_targetILNS1_3genE8ELNS1_11target_archE1030ELNS1_3gpuE2ELNS1_3repE0EEENS1_30default_config_static_selectorELNS0_4arch9wavefront6targetE1EEEvT1_.private_seg_size, 0
	.set _ZN7rocprim17ROCPRIM_400000_NS6detail17trampoline_kernelINS0_14default_configENS1_25partition_config_selectorILNS1_17partition_subalgoE5ElNS0_10empty_typeEbEEZZNS1_14partition_implILS5_5ELb0ES3_mN6hipcub16HIPCUB_304000_NS21CountingInputIteratorIllEEPS6_NSA_22TransformInputIteratorIb7NonZeroIfEPflEENS0_5tupleIJPlS6_EEENSJ_IJSD_SD_EEES6_SK_JS6_EEE10hipError_tPvRmT3_T4_T5_T6_T7_T9_mT8_P12ihipStream_tbDpT10_ENKUlT_T0_E_clISt17integral_constantIbLb0EES15_IbLb1EEEEDaS11_S12_EUlS11_E_NS1_11comp_targetILNS1_3genE8ELNS1_11target_archE1030ELNS1_3gpuE2ELNS1_3repE0EEENS1_30default_config_static_selectorELNS0_4arch9wavefront6targetE1EEEvT1_.uses_vcc, 0
	.set _ZN7rocprim17ROCPRIM_400000_NS6detail17trampoline_kernelINS0_14default_configENS1_25partition_config_selectorILNS1_17partition_subalgoE5ElNS0_10empty_typeEbEEZZNS1_14partition_implILS5_5ELb0ES3_mN6hipcub16HIPCUB_304000_NS21CountingInputIteratorIllEEPS6_NSA_22TransformInputIteratorIb7NonZeroIfEPflEENS0_5tupleIJPlS6_EEENSJ_IJSD_SD_EEES6_SK_JS6_EEE10hipError_tPvRmT3_T4_T5_T6_T7_T9_mT8_P12ihipStream_tbDpT10_ENKUlT_T0_E_clISt17integral_constantIbLb0EES15_IbLb1EEEEDaS11_S12_EUlS11_E_NS1_11comp_targetILNS1_3genE8ELNS1_11target_archE1030ELNS1_3gpuE2ELNS1_3repE0EEENS1_30default_config_static_selectorELNS0_4arch9wavefront6targetE1EEEvT1_.uses_flat_scratch, 0
	.set _ZN7rocprim17ROCPRIM_400000_NS6detail17trampoline_kernelINS0_14default_configENS1_25partition_config_selectorILNS1_17partition_subalgoE5ElNS0_10empty_typeEbEEZZNS1_14partition_implILS5_5ELb0ES3_mN6hipcub16HIPCUB_304000_NS21CountingInputIteratorIllEEPS6_NSA_22TransformInputIteratorIb7NonZeroIfEPflEENS0_5tupleIJPlS6_EEENSJ_IJSD_SD_EEES6_SK_JS6_EEE10hipError_tPvRmT3_T4_T5_T6_T7_T9_mT8_P12ihipStream_tbDpT10_ENKUlT_T0_E_clISt17integral_constantIbLb0EES15_IbLb1EEEEDaS11_S12_EUlS11_E_NS1_11comp_targetILNS1_3genE8ELNS1_11target_archE1030ELNS1_3gpuE2ELNS1_3repE0EEENS1_30default_config_static_selectorELNS0_4arch9wavefront6targetE1EEEvT1_.has_dyn_sized_stack, 0
	.set _ZN7rocprim17ROCPRIM_400000_NS6detail17trampoline_kernelINS0_14default_configENS1_25partition_config_selectorILNS1_17partition_subalgoE5ElNS0_10empty_typeEbEEZZNS1_14partition_implILS5_5ELb0ES3_mN6hipcub16HIPCUB_304000_NS21CountingInputIteratorIllEEPS6_NSA_22TransformInputIteratorIb7NonZeroIfEPflEENS0_5tupleIJPlS6_EEENSJ_IJSD_SD_EEES6_SK_JS6_EEE10hipError_tPvRmT3_T4_T5_T6_T7_T9_mT8_P12ihipStream_tbDpT10_ENKUlT_T0_E_clISt17integral_constantIbLb0EES15_IbLb1EEEEDaS11_S12_EUlS11_E_NS1_11comp_targetILNS1_3genE8ELNS1_11target_archE1030ELNS1_3gpuE2ELNS1_3repE0EEENS1_30default_config_static_selectorELNS0_4arch9wavefront6targetE1EEEvT1_.has_recursion, 0
	.set _ZN7rocprim17ROCPRIM_400000_NS6detail17trampoline_kernelINS0_14default_configENS1_25partition_config_selectorILNS1_17partition_subalgoE5ElNS0_10empty_typeEbEEZZNS1_14partition_implILS5_5ELb0ES3_mN6hipcub16HIPCUB_304000_NS21CountingInputIteratorIllEEPS6_NSA_22TransformInputIteratorIb7NonZeroIfEPflEENS0_5tupleIJPlS6_EEENSJ_IJSD_SD_EEES6_SK_JS6_EEE10hipError_tPvRmT3_T4_T5_T6_T7_T9_mT8_P12ihipStream_tbDpT10_ENKUlT_T0_E_clISt17integral_constantIbLb0EES15_IbLb1EEEEDaS11_S12_EUlS11_E_NS1_11comp_targetILNS1_3genE8ELNS1_11target_archE1030ELNS1_3gpuE2ELNS1_3repE0EEENS1_30default_config_static_selectorELNS0_4arch9wavefront6targetE1EEEvT1_.has_indirect_call, 0
	.section	.AMDGPU.csdata,"",@progbits
; Kernel info:
; codeLenInByte = 0
; TotalNumSgprs: 6
; NumVgprs: 0
; NumAgprs: 0
; TotalNumVgprs: 0
; ScratchSize: 0
; MemoryBound: 0
; FloatMode: 240
; IeeeMode: 1
; LDSByteSize: 0 bytes/workgroup (compile time only)
; SGPRBlocks: 0
; VGPRBlocks: 0
; NumSGPRsForWavesPerEU: 6
; NumVGPRsForWavesPerEU: 1
; AccumOffset: 4
; Occupancy: 8
; WaveLimiterHint : 0
; COMPUTE_PGM_RSRC2:SCRATCH_EN: 0
; COMPUTE_PGM_RSRC2:USER_SGPR: 2
; COMPUTE_PGM_RSRC2:TRAP_HANDLER: 0
; COMPUTE_PGM_RSRC2:TGID_X_EN: 1
; COMPUTE_PGM_RSRC2:TGID_Y_EN: 0
; COMPUTE_PGM_RSRC2:TGID_Z_EN: 0
; COMPUTE_PGM_RSRC2:TIDIG_COMP_CNT: 0
; COMPUTE_PGM_RSRC3_GFX90A:ACCUM_OFFSET: 0
; COMPUTE_PGM_RSRC3_GFX90A:TG_SPLIT: 0
	.section	.text._ZN7rocprim17ROCPRIM_400000_NS6detail17trampoline_kernelINS0_14default_configENS1_22reduce_config_selectorIlEEZNS1_11reduce_implILb1ES3_PlS7_lN6hipcub16HIPCUB_304000_NS6detail34convert_binary_result_type_wrapperINS9_3SumENS9_22TransformInputIteratorIb7NonZeroIdEPdlEElEEEE10hipError_tPvRmT1_T2_T3_mT4_P12ihipStream_tbEUlT_E0_NS1_11comp_targetILNS1_3genE0ELNS1_11target_archE4294967295ELNS1_3gpuE0ELNS1_3repE0EEENS1_30default_config_static_selectorELNS0_4arch9wavefront6targetE1EEEvSM_,"axG",@progbits,_ZN7rocprim17ROCPRIM_400000_NS6detail17trampoline_kernelINS0_14default_configENS1_22reduce_config_selectorIlEEZNS1_11reduce_implILb1ES3_PlS7_lN6hipcub16HIPCUB_304000_NS6detail34convert_binary_result_type_wrapperINS9_3SumENS9_22TransformInputIteratorIb7NonZeroIdEPdlEElEEEE10hipError_tPvRmT1_T2_T3_mT4_P12ihipStream_tbEUlT_E0_NS1_11comp_targetILNS1_3genE0ELNS1_11target_archE4294967295ELNS1_3gpuE0ELNS1_3repE0EEENS1_30default_config_static_selectorELNS0_4arch9wavefront6targetE1EEEvSM_,comdat
	.protected	_ZN7rocprim17ROCPRIM_400000_NS6detail17trampoline_kernelINS0_14default_configENS1_22reduce_config_selectorIlEEZNS1_11reduce_implILb1ES3_PlS7_lN6hipcub16HIPCUB_304000_NS6detail34convert_binary_result_type_wrapperINS9_3SumENS9_22TransformInputIteratorIb7NonZeroIdEPdlEElEEEE10hipError_tPvRmT1_T2_T3_mT4_P12ihipStream_tbEUlT_E0_NS1_11comp_targetILNS1_3genE0ELNS1_11target_archE4294967295ELNS1_3gpuE0ELNS1_3repE0EEENS1_30default_config_static_selectorELNS0_4arch9wavefront6targetE1EEEvSM_ ; -- Begin function _ZN7rocprim17ROCPRIM_400000_NS6detail17trampoline_kernelINS0_14default_configENS1_22reduce_config_selectorIlEEZNS1_11reduce_implILb1ES3_PlS7_lN6hipcub16HIPCUB_304000_NS6detail34convert_binary_result_type_wrapperINS9_3SumENS9_22TransformInputIteratorIb7NonZeroIdEPdlEElEEEE10hipError_tPvRmT1_T2_T3_mT4_P12ihipStream_tbEUlT_E0_NS1_11comp_targetILNS1_3genE0ELNS1_11target_archE4294967295ELNS1_3gpuE0ELNS1_3repE0EEENS1_30default_config_static_selectorELNS0_4arch9wavefront6targetE1EEEvSM_
	.globl	_ZN7rocprim17ROCPRIM_400000_NS6detail17trampoline_kernelINS0_14default_configENS1_22reduce_config_selectorIlEEZNS1_11reduce_implILb1ES3_PlS7_lN6hipcub16HIPCUB_304000_NS6detail34convert_binary_result_type_wrapperINS9_3SumENS9_22TransformInputIteratorIb7NonZeroIdEPdlEElEEEE10hipError_tPvRmT1_T2_T3_mT4_P12ihipStream_tbEUlT_E0_NS1_11comp_targetILNS1_3genE0ELNS1_11target_archE4294967295ELNS1_3gpuE0ELNS1_3repE0EEENS1_30default_config_static_selectorELNS0_4arch9wavefront6targetE1EEEvSM_
	.p2align	8
	.type	_ZN7rocprim17ROCPRIM_400000_NS6detail17trampoline_kernelINS0_14default_configENS1_22reduce_config_selectorIlEEZNS1_11reduce_implILb1ES3_PlS7_lN6hipcub16HIPCUB_304000_NS6detail34convert_binary_result_type_wrapperINS9_3SumENS9_22TransformInputIteratorIb7NonZeroIdEPdlEElEEEE10hipError_tPvRmT1_T2_T3_mT4_P12ihipStream_tbEUlT_E0_NS1_11comp_targetILNS1_3genE0ELNS1_11target_archE4294967295ELNS1_3gpuE0ELNS1_3repE0EEENS1_30default_config_static_selectorELNS0_4arch9wavefront6targetE1EEEvSM_,@function
_ZN7rocprim17ROCPRIM_400000_NS6detail17trampoline_kernelINS0_14default_configENS1_22reduce_config_selectorIlEEZNS1_11reduce_implILb1ES3_PlS7_lN6hipcub16HIPCUB_304000_NS6detail34convert_binary_result_type_wrapperINS9_3SumENS9_22TransformInputIteratorIb7NonZeroIdEPdlEElEEEE10hipError_tPvRmT1_T2_T3_mT4_P12ihipStream_tbEUlT_E0_NS1_11comp_targetILNS1_3genE0ELNS1_11target_archE4294967295ELNS1_3gpuE0ELNS1_3repE0EEENS1_30default_config_static_selectorELNS0_4arch9wavefront6targetE1EEEvSM_: ; @_ZN7rocprim17ROCPRIM_400000_NS6detail17trampoline_kernelINS0_14default_configENS1_22reduce_config_selectorIlEEZNS1_11reduce_implILb1ES3_PlS7_lN6hipcub16HIPCUB_304000_NS6detail34convert_binary_result_type_wrapperINS9_3SumENS9_22TransformInputIteratorIb7NonZeroIdEPdlEElEEEE10hipError_tPvRmT1_T2_T3_mT4_P12ihipStream_tbEUlT_E0_NS1_11comp_targetILNS1_3genE0ELNS1_11target_archE4294967295ELNS1_3gpuE0ELNS1_3repE0EEENS1_30default_config_static_selectorELNS0_4arch9wavefront6targetE1EEEvSM_
; %bb.0:
	s_load_dwordx8 s[36:43], s[0:1], 0x0
	s_load_dwordx4 s[44:47], s[0:1], 0x20
	s_load_dwordx2 s[30:31], s[0:1], 0x30
	v_lshlrev_b32_e32 v34, 3, v0
	v_mbcnt_lo_u32_b32 v1, -1, 0
	s_waitcnt lgkmcnt(0)
	s_lshl_b64 s[0:1], s[38:39], 3
	s_add_u32 s8, s36, s0
	s_addc_u32 s9, s37, s1
	s_lshl_b32 s0, s2, 12
	s_mov_b32 s1, 0
	s_lshr_b64 s[4:5], s[40:41], 12
	s_lshl_b64 s[6:7], s[0:1], 3
	s_add_u32 s34, s8, s6
	s_mov_b32 s3, s1
	s_addc_u32 s35, s9, s7
	s_cmp_lg_u64 s[4:5], s[2:3]
	s_cbranch_scc0 .LBB285_6
; %bb.1:
	v_mov_b32_e32 v35, 0
	v_lshl_add_u64 v[2:3], s[34:35], 0, v[34:35]
	global_load_dwordx2 v[6:7], v34, s[34:35]
	global_load_dwordx2 v[8:9], v34, s[34:35] offset:2048
	v_add_co_u32_e32 v4, vcc, 0x1000, v2
	v_mov_b32_e32 v41, v35
	s_nop 0
	v_addc_co_u32_e32 v5, vcc, 0, v3, vcc
	v_add_co_u32_e32 v10, vcc, 0x2000, v2
	v_mov_b32_e32 v45, v35
	s_nop 0
	v_addc_co_u32_e32 v11, vcc, 0, v3, vcc
	global_load_dwordx2 v[12:13], v[4:5], off
	global_load_dwordx2 v[14:15], v[4:5], off offset:2048
	global_load_dwordx2 v[16:17], v[10:11], off
	global_load_dwordx2 v[18:19], v[10:11], off offset:2048
	v_add_co_u32_e32 v4, vcc, 0x3000, v2
	v_mov_b32_e32 v42, v35
	s_nop 0
	v_addc_co_u32_e32 v5, vcc, 0, v3, vcc
	v_add_co_u32_e32 v10, vcc, 0x4000, v2
	v_mov_b32_e32 v49, v35
	s_nop 0
	v_addc_co_u32_e32 v11, vcc, 0, v3, vcc
	global_load_dwordx2 v[20:21], v[4:5], off
	global_load_dwordx2 v[22:23], v[4:5], off offset:2048
	global_load_dwordx2 v[24:25], v[10:11], off
	global_load_dwordx2 v[26:27], v[10:11], off offset:2048
	v_add_co_u32_e32 v4, vcc, 0x5000, v2
	v_mov_b32_e32 v46, v35
	s_nop 0
	v_addc_co_u32_e32 v5, vcc, 0, v3, vcc
	v_add_co_u32_e32 v10, vcc, 0x6000, v2
	v_mov_b32_e32 v53, v35
	s_nop 0
	v_addc_co_u32_e32 v11, vcc, 0, v3, vcc
	global_load_dwordx2 v[28:29], v[4:5], off
	global_load_dwordx2 v[30:31], v[4:5], off offset:2048
	global_load_dwordx2 v[32:33], v[10:11], off
	global_load_dwordx2 v[36:37], v[10:11], off offset:2048
	v_add_co_u32_e32 v2, vcc, 0x7000, v2
	v_mov_b32_e32 v50, v35
	s_nop 0
	v_addc_co_u32_e32 v3, vcc, 0, v3, vcc
	global_load_dwordx2 v[10:11], v[2:3], off
	global_load_dwordx2 v[38:39], v[2:3], off offset:2048
	v_mov_b32_e32 v2, v35
	v_mov_b32_e32 v57, v35
	;; [unrolled: 1-line block ×3, first 2 shown]
	v_mbcnt_hi_u32_b32 v4, -1, v1
	v_mov_b32_e32 v59, v35
	v_lshlrev_b32_e32 v5, 2, v4
	v_or_b32_e32 v35, 0xfc, v5
	v_cmp_eq_u32_e32 vcc, 0, v4
	s_waitcnt vmcnt(14)
	v_lshl_add_u64 v[6:7], v[8:9], 0, v[6:7]
	s_waitcnt vmcnt(13)
	v_lshl_add_u64 v[6:7], v[6:7], 0, v[12:13]
	;; [unrolled: 2-line block ×15, first 2 shown]
	s_nop 1
	v_mov_b32_dpp v40, v6 quad_perm:[1,0,3,2] row_mask:0xf bank_mask:0xf bound_ctrl:1
	v_mov_b32_dpp v3, v7 quad_perm:[1,0,3,2] row_mask:0xf bank_mask:0xf bound_ctrl:1
	v_lshl_add_u64 v[6:7], v[6:7], 0, v[40:41]
	v_lshl_add_u64 v[2:3], v[2:3], 0, v[6:7]
	s_nop 0
	v_mov_b32_dpp v44, v6 quad_perm:[2,3,0,1] row_mask:0xf bank_mask:0xf bound_ctrl:1
	v_mov_b32_dpp v43, v3 quad_perm:[2,3,0,1] row_mask:0xf bank_mask:0xf bound_ctrl:1
	v_lshl_add_u64 v[2:3], v[2:3], 0, v[44:45]
	v_lshl_add_u64 v[6:7], v[2:3], 0, v[42:43]
	s_nop 0
	v_mov_b32_dpp v48, v2 row_ror:4 row_mask:0xf bank_mask:0xf bound_ctrl:1
	v_mov_b32_dpp v47, v7 row_ror:4 row_mask:0xf bank_mask:0xf bound_ctrl:1
	v_lshl_add_u64 v[2:3], v[6:7], 0, v[48:49]
	v_lshl_add_u64 v[6:7], v[2:3], 0, v[46:47]
	s_nop 0
	v_mov_b32_dpp v52, v2 row_ror:8 row_mask:0xf bank_mask:0xf bound_ctrl:1
	v_mov_b32_dpp v51, v7 row_ror:8 row_mask:0xf bank_mask:0xf bound_ctrl:1
	v_lshl_add_u64 v[2:3], v[6:7], 0, v[52:53]
	v_lshl_add_u64 v[6:7], v[2:3], 0, v[50:51]
	s_nop 0
	v_mov_b32_dpp v56, v2 row_bcast:15 row_mask:0xf bank_mask:0xf bound_ctrl:1
	v_mov_b32_dpp v55, v7 row_bcast:15 row_mask:0xf bank_mask:0xf bound_ctrl:1
	v_lshl_add_u64 v[2:3], v[6:7], 0, v[56:57]
	v_lshl_add_u64 v[6:7], v[2:3], 0, v[54:55]
	s_nop 0
	v_mov_b32_dpp v58, v2 row_bcast:31 row_mask:0xf bank_mask:0xf bound_ctrl:1
	v_lshl_add_u64 v[2:3], v[6:7], 0, v[58:59]
	ds_bpermute_b32 v2, v35, v2
	s_nop 0
	v_add_u32_dpp v3, v7, v3 row_bcast:31 row_mask:0xf bank_mask:0xf bound_ctrl:1
	ds_bpermute_b32 v3, v35, v3
	s_and_saveexec_b64 s[4:5], vcc
	s_cbranch_execz .LBB285_3
; %bb.2:
	v_lshrrev_b32_e32 v6, 3, v0
	v_and_b32_e32 v6, 24, v6
	s_waitcnt lgkmcnt(0)
	ds_write_b64 v6, v[2:3]
.LBB285_3:
	s_or_b64 exec, exec, s[4:5]
	v_cmp_gt_u32_e32 vcc, 64, v0
	s_waitcnt lgkmcnt(0)
	s_barrier
	s_and_saveexec_b64 s[4:5], vcc
	s_cbranch_execz .LBB285_5
; %bb.4:
	v_and_b32_e32 v6, 3, v4
	v_lshlrev_b32_e32 v2, 3, v6
	ds_read_b64 v[2:3], v2
	v_cmp_ne_u32_e32 vcc, 3, v6
	v_or_b32_e32 v8, 8, v5
	s_nop 0
	v_addc_co_u32_e32 v4, vcc, 0, v4, vcc
	v_lshlrev_b32_e32 v6, 2, v4
	s_waitcnt lgkmcnt(0)
	ds_bpermute_b32 v4, v6, v2
	ds_bpermute_b32 v7, v6, v3
	v_mov_b32_e32 v6, 0
	v_mov_b32_e32 v5, v6
	s_waitcnt lgkmcnt(1)
	v_lshl_add_u64 v[2:3], v[2:3], 0, v[4:5]
	s_waitcnt lgkmcnt(0)
	v_lshl_add_u64 v[4:5], v[6:7], 0, v[2:3]
	ds_bpermute_b32 v2, v8, v2
	ds_bpermute_b32 v7, v8, v5
	v_mov_b32_e32 v3, v6
	s_waitcnt lgkmcnt(1)
	v_lshl_add_u64 v[2:3], v[4:5], 0, v[2:3]
	s_waitcnt lgkmcnt(0)
	v_lshl_add_u64 v[2:3], v[2:3], 0, v[6:7]
.LBB285_5:
	s_or_b64 exec, exec, s[4:5]
	s_branch .LBB285_48
.LBB285_6:
                                        ; implicit-def: $vgpr2_vgpr3
	s_cbranch_execz .LBB285_48
; %bb.7:
	s_sub_i32 s33, s40, s0
	v_mov_b32_e32 v2, 0
	v_cmp_gt_u32_e32 vcc, s33, v0
	v_mov_b32_e32 v3, v2
	v_mov_b32_e32 v4, v2
	;; [unrolled: 1-line block ×31, first 2 shown]
	s_and_saveexec_b64 s[0:1], vcc
	s_cbranch_execz .LBB285_9
; %bb.8:
	global_load_dwordx2 v[36:37], v34, s[34:35]
	v_mov_b32_e32 v38, v2
	v_mov_b32_e32 v39, v2
	;; [unrolled: 1-line block ×30, first 2 shown]
	s_waitcnt vmcnt(0)
	v_mov_b64_e32 v[2:3], v[36:37]
	v_mov_b64_e32 v[4:5], v[38:39]
	;; [unrolled: 1-line block ×16, first 2 shown]
.LBB285_9:
	s_or_b64 exec, exec, s[0:1]
	v_or_b32_e32 v35, 0x100, v0
	v_cmp_gt_u32_e32 vcc, s33, v35
	s_and_saveexec_b64 s[0:1], vcc
	s_cbranch_execz .LBB285_11
; %bb.10:
	global_load_dwordx2 v[4:5], v34, s[34:35] offset:2048
.LBB285_11:
	s_or_b64 exec, exec, s[0:1]
	v_or_b32_e32 v34, 0x200, v0
	v_cmp_gt_u32_e64 s[0:1], s33, v34
	s_and_saveexec_b64 s[4:5], s[0:1]
	s_cbranch_execz .LBB285_13
; %bb.12:
	v_lshlrev_b32_e32 v6, 3, v34
	global_load_dwordx2 v[6:7], v6, s[34:35]
.LBB285_13:
	s_or_b64 exec, exec, s[4:5]
	v_or_b32_e32 v34, 0x300, v0
	v_cmp_gt_u32_e64 s[4:5], s33, v34
	s_and_saveexec_b64 s[6:7], s[4:5]
	s_cbranch_execz .LBB285_15
; %bb.14:
	v_lshlrev_b32_e32 v8, 3, v34
	global_load_dwordx2 v[8:9], v8, s[34:35]
.LBB285_15:
	;; [unrolled: 9-line block ×14, first 2 shown]
	s_or_b64 exec, exec, s[36:37]
	s_waitcnt vmcnt(0)
	v_cndmask_b32_e32 v5, 0, v5, vcc
	v_cndmask_b32_e32 v4, 0, v4, vcc
	v_lshl_add_u64 v[2:3], v[4:5], 0, v[2:3]
	v_cndmask_b32_e64 v5, 0, v7, s[0:1]
	v_cndmask_b32_e64 v4, 0, v6, s[0:1]
	v_lshl_add_u64 v[2:3], v[2:3], 0, v[4:5]
	v_cndmask_b32_e64 v5, 0, v9, s[4:5]
	v_cndmask_b32_e64 v4, 0, v8, s[4:5]
	;; [unrolled: 3-line block ×13, first 2 shown]
	v_mbcnt_hi_u32_b32 v1, -1, v1
	v_lshl_add_u64 v[2:3], v[2:3], 0, v[4:5]
	v_cndmask_b32_e64 v5, 0, v33, s[28:29]
	v_cndmask_b32_e64 v4, 0, v32, s[28:29]
	v_and_b32_e32 v9, 63, v1
	v_lshl_add_u64 v[2:3], v[2:3], 0, v[4:5]
	s_min_u32 s6, s33, 0x100
	v_and_b32_e32 v4, 0xc0, v0
	v_cmp_ne_u32_e32 vcc, 63, v9
	v_sub_u32_e64 v8, s6, v4 clamp
	v_mov_b32_e32 v6, 0
	v_addc_co_u32_e32 v4, vcc, 0, v1, vcc
	v_lshlrev_b32_e32 v5, 2, v4
	ds_bpermute_b32 v4, v5, v2
	ds_bpermute_b32 v7, v5, v3
	v_add_u32_e32 v10, 1, v9
	v_mov_b32_e32 v5, v6
	v_cmp_lt_u32_e64 s[0:1], v10, v8
	s_waitcnt lgkmcnt(1)
	v_lshl_add_u64 v[4:5], v[2:3], 0, v[4:5]
	v_cmp_gt_u32_e32 vcc, 62, v9
	s_waitcnt lgkmcnt(0)
	v_lshl_add_u64 v[6:7], v[4:5], 0, v[6:7]
	v_cndmask_b32_e64 v12, v2, v4, s[0:1]
	v_cndmask_b32_e64 v4, 0, 2, vcc
	v_cndmask_b32_e64 v5, v3, v7, s[0:1]
	v_add_lshl_u32 v4, v4, v1, 2
	ds_bpermute_b32 v10, v4, v12
	ds_bpermute_b32 v11, v4, v5
	v_cndmask_b32_e64 v4, v2, v6, s[0:1]
	v_add_u32_e32 v13, 2, v9
	v_cmp_lt_u32_e32 vcc, v13, v8
	v_cmp_gt_u32_e64 s[4:5], 60, v9
	s_waitcnt lgkmcnt(0)
	v_lshl_add_u64 v[6:7], v[10:11], 0, v[4:5]
	v_cndmask_b32_e32 v5, v5, v7, vcc
	v_cndmask_b32_e64 v7, 0, 4, s[4:5]
	v_cndmask_b32_e32 v12, v12, v6, vcc
	v_add_lshl_u32 v7, v7, v1, 2
	ds_bpermute_b32 v10, v7, v12
	ds_bpermute_b32 v11, v7, v5
	v_cndmask_b32_e32 v4, v4, v6, vcc
	v_add_u32_e32 v13, 4, v9
	v_cmp_lt_u32_e32 vcc, v13, v8
	v_cmp_gt_u32_e64 s[4:5], 56, v9
	s_waitcnt lgkmcnt(0)
	v_lshl_add_u64 v[6:7], v[10:11], 0, v[4:5]
	v_cndmask_b32_e32 v5, v5, v7, vcc
	v_cndmask_b32_e64 v7, 0, 8, s[4:5]
	v_cndmask_b32_e32 v12, v12, v6, vcc
	v_add_lshl_u32 v7, v7, v1, 2
	ds_bpermute_b32 v10, v7, v12
	ds_bpermute_b32 v11, v7, v5
	v_cndmask_b32_e32 v4, v4, v6, vcc
	v_add_u32_e32 v13, 8, v9
	v_cmp_lt_u32_e32 vcc, v13, v8
	v_cmp_gt_u32_e64 s[4:5], 48, v9
	s_waitcnt lgkmcnt(0)
	v_lshl_add_u64 v[6:7], v[10:11], 0, v[4:5]
	v_cndmask_b32_e32 v5, v5, v7, vcc
	v_cndmask_b32_e64 v7, 0, 16, s[4:5]
	v_cndmask_b32_e32 v12, v12, v6, vcc
	v_add_lshl_u32 v7, v7, v1, 2
	ds_bpermute_b32 v10, v7, v12
	ds_bpermute_b32 v11, v7, v5
	v_cndmask_b32_e32 v4, v4, v6, vcc
	v_add_u32_e32 v13, 16, v9
	v_cmp_lt_u32_e32 vcc, v13, v8
	s_waitcnt lgkmcnt(0)
	v_lshl_add_u64 v[6:7], v[10:11], 0, v[4:5]
	v_lshlrev_b32_e32 v10, 2, v1
	v_cndmask_b32_e32 v13, v5, v7, vcc
	v_cndmask_b32_e32 v11, v12, v6, vcc
	v_or_b32_e32 v12, 0x80, v10
	ds_bpermute_b32 v11, v12, v11
	ds_bpermute_b32 v12, v12, v13
	s_and_saveexec_b64 s[4:5], s[0:1]
	s_cbranch_execz .LBB285_41
; %bb.40:
	v_add_u32_e32 v9, 32, v9
	v_cndmask_b32_e32 v3, v5, v7, vcc
	v_cndmask_b32_e32 v2, v4, v6, vcc
	v_cmp_lt_u32_e32 vcc, v9, v8
	s_waitcnt lgkmcnt(0)
	s_nop 0
	v_cndmask_b32_e32 v5, 0, v12, vcc
	v_cndmask_b32_e32 v4, 0, v11, vcc
	v_lshl_add_u64 v[2:3], v[2:3], 0, v[4:5]
.LBB285_41:
	s_or_b64 exec, exec, s[4:5]
	v_cmp_eq_u32_e32 vcc, 0, v1
	s_and_saveexec_b64 s[0:1], vcc
; %bb.42:
	v_lshrrev_b32_e32 v4, 3, v0
	v_and_b32_e32 v4, 24, v4
	ds_write_b64 v4, v[2:3] offset:32
; %bb.43:
	s_or_b64 exec, exec, s[0:1]
	v_cmp_gt_u32_e32 vcc, 4, v0
	s_waitcnt lgkmcnt(0)
	s_barrier
	s_and_saveexec_b64 s[0:1], vcc
	s_cbranch_execz .LBB285_47
; %bb.44:
	v_lshlrev_b32_e32 v2, 3, v1
	ds_read_b64 v[2:3], v2 offset:32
	v_and_b32_e32 v6, 3, v1
	v_cmp_ne_u32_e32 vcc, 3, v6
	v_mov_b32_e32 v8, 0
	s_add_i32 s6, s6, 63
	v_addc_co_u32_e32 v1, vcc, 0, v1, vcc
	v_lshlrev_b32_e32 v1, 2, v1
	s_waitcnt lgkmcnt(0)
	ds_bpermute_b32 v4, v1, v2
	ds_bpermute_b32 v9, v1, v3
	v_mov_b32_e32 v5, v8
	s_lshr_b32 s6, s6, 6
	v_add_u32_e32 v1, 1, v6
	s_waitcnt lgkmcnt(1)
	v_lshl_add_u64 v[12:13], v[2:3], 0, v[4:5]
	s_waitcnt lgkmcnt(0)
	v_lshl_add_u64 v[4:5], v[8:9], 0, v[12:13]
	v_cmp_gt_u32_e32 vcc, s6, v1
	v_or_b32_e32 v8, 8, v10
	s_nop 0
	v_cndmask_b32_e32 v7, v3, v5, vcc
	v_cndmask_b32_e32 v1, v2, v12, vcc
	ds_bpermute_b32 v1, v8, v1
	ds_bpermute_b32 v7, v8, v7
	s_and_saveexec_b64 s[4:5], vcc
	s_cbranch_execz .LBB285_46
; %bb.45:
	v_add_u32_e32 v2, 2, v6
	v_cmp_gt_u32_e32 vcc, s6, v2
	s_waitcnt lgkmcnt(0)
	s_nop 0
	v_cndmask_b32_e32 v3, 0, v7, vcc
	v_cndmask_b32_e32 v2, 0, v1, vcc
	v_lshl_add_u64 v[2:3], v[2:3], 0, v[4:5]
.LBB285_46:
	s_or_b64 exec, exec, s[4:5]
.LBB285_47:
	s_or_b64 exec, exec, s[0:1]
.LBB285_48:
	v_cmp_eq_u32_e32 vcc, 0, v0
	s_and_saveexec_b64 s[0:1], vcc
	s_cbranch_execnz .LBB285_50
; %bb.49:
	s_endpgm
.LBB285_50:
	s_mul_i32 s0, s46, s45
	s_mul_hi_u32 s1, s46, s44
	s_add_i32 s0, s1, s0
	s_mul_i32 s1, s47, s44
	s_add_i32 s1, s0, s1
	s_mul_i32 s0, s46, s44
	s_lshl_b64 s[0:1], s[0:1], 3
	s_add_u32 s4, s42, s0
	s_addc_u32 s5, s43, s1
	s_cmp_eq_u64 s[40:41], 0
	v_mov_b32_e32 v0, s31
	s_cselect_b64 vcc, -1, 0
	s_lshl_b64 s[0:1], s[2:3], 3
	s_waitcnt lgkmcnt(1)
	v_cndmask_b32_e32 v1, v3, v0, vcc
	v_mov_b32_e32 v0, s30
	s_add_u32 s0, s4, s0
	v_cndmask_b32_e32 v0, v2, v0, vcc
	s_addc_u32 s1, s5, s1
	v_mov_b32_e32 v2, 0
	global_store_dwordx2 v2, v[0:1], s[0:1]
	s_endpgm
	.section	.rodata,"a",@progbits
	.p2align	6, 0x0
	.amdhsa_kernel _ZN7rocprim17ROCPRIM_400000_NS6detail17trampoline_kernelINS0_14default_configENS1_22reduce_config_selectorIlEEZNS1_11reduce_implILb1ES3_PlS7_lN6hipcub16HIPCUB_304000_NS6detail34convert_binary_result_type_wrapperINS9_3SumENS9_22TransformInputIteratorIb7NonZeroIdEPdlEElEEEE10hipError_tPvRmT1_T2_T3_mT4_P12ihipStream_tbEUlT_E0_NS1_11comp_targetILNS1_3genE0ELNS1_11target_archE4294967295ELNS1_3gpuE0ELNS1_3repE0EEENS1_30default_config_static_selectorELNS0_4arch9wavefront6targetE1EEEvSM_
		.amdhsa_group_segment_fixed_size 64
		.amdhsa_private_segment_fixed_size 0
		.amdhsa_kernarg_size 64
		.amdhsa_user_sgpr_count 2
		.amdhsa_user_sgpr_dispatch_ptr 0
		.amdhsa_user_sgpr_queue_ptr 0
		.amdhsa_user_sgpr_kernarg_segment_ptr 1
		.amdhsa_user_sgpr_dispatch_id 0
		.amdhsa_user_sgpr_kernarg_preload_length 0
		.amdhsa_user_sgpr_kernarg_preload_offset 0
		.amdhsa_user_sgpr_private_segment_size 0
		.amdhsa_uses_dynamic_stack 0
		.amdhsa_enable_private_segment 0
		.amdhsa_system_sgpr_workgroup_id_x 1
		.amdhsa_system_sgpr_workgroup_id_y 0
		.amdhsa_system_sgpr_workgroup_id_z 0
		.amdhsa_system_sgpr_workgroup_info 0
		.amdhsa_system_vgpr_workitem_id 0
		.amdhsa_next_free_vgpr 68
		.amdhsa_next_free_sgpr 48
		.amdhsa_accum_offset 68
		.amdhsa_reserve_vcc 1
		.amdhsa_float_round_mode_32 0
		.amdhsa_float_round_mode_16_64 0
		.amdhsa_float_denorm_mode_32 3
		.amdhsa_float_denorm_mode_16_64 3
		.amdhsa_dx10_clamp 1
		.amdhsa_ieee_mode 1
		.amdhsa_fp16_overflow 0
		.amdhsa_tg_split 0
		.amdhsa_exception_fp_ieee_invalid_op 0
		.amdhsa_exception_fp_denorm_src 0
		.amdhsa_exception_fp_ieee_div_zero 0
		.amdhsa_exception_fp_ieee_overflow 0
		.amdhsa_exception_fp_ieee_underflow 0
		.amdhsa_exception_fp_ieee_inexact 0
		.amdhsa_exception_int_div_zero 0
	.end_amdhsa_kernel
	.section	.text._ZN7rocprim17ROCPRIM_400000_NS6detail17trampoline_kernelINS0_14default_configENS1_22reduce_config_selectorIlEEZNS1_11reduce_implILb1ES3_PlS7_lN6hipcub16HIPCUB_304000_NS6detail34convert_binary_result_type_wrapperINS9_3SumENS9_22TransformInputIteratorIb7NonZeroIdEPdlEElEEEE10hipError_tPvRmT1_T2_T3_mT4_P12ihipStream_tbEUlT_E0_NS1_11comp_targetILNS1_3genE0ELNS1_11target_archE4294967295ELNS1_3gpuE0ELNS1_3repE0EEENS1_30default_config_static_selectorELNS0_4arch9wavefront6targetE1EEEvSM_,"axG",@progbits,_ZN7rocprim17ROCPRIM_400000_NS6detail17trampoline_kernelINS0_14default_configENS1_22reduce_config_selectorIlEEZNS1_11reduce_implILb1ES3_PlS7_lN6hipcub16HIPCUB_304000_NS6detail34convert_binary_result_type_wrapperINS9_3SumENS9_22TransformInputIteratorIb7NonZeroIdEPdlEElEEEE10hipError_tPvRmT1_T2_T3_mT4_P12ihipStream_tbEUlT_E0_NS1_11comp_targetILNS1_3genE0ELNS1_11target_archE4294967295ELNS1_3gpuE0ELNS1_3repE0EEENS1_30default_config_static_selectorELNS0_4arch9wavefront6targetE1EEEvSM_,comdat
.Lfunc_end285:
	.size	_ZN7rocprim17ROCPRIM_400000_NS6detail17trampoline_kernelINS0_14default_configENS1_22reduce_config_selectorIlEEZNS1_11reduce_implILb1ES3_PlS7_lN6hipcub16HIPCUB_304000_NS6detail34convert_binary_result_type_wrapperINS9_3SumENS9_22TransformInputIteratorIb7NonZeroIdEPdlEElEEEE10hipError_tPvRmT1_T2_T3_mT4_P12ihipStream_tbEUlT_E0_NS1_11comp_targetILNS1_3genE0ELNS1_11target_archE4294967295ELNS1_3gpuE0ELNS1_3repE0EEENS1_30default_config_static_selectorELNS0_4arch9wavefront6targetE1EEEvSM_, .Lfunc_end285-_ZN7rocprim17ROCPRIM_400000_NS6detail17trampoline_kernelINS0_14default_configENS1_22reduce_config_selectorIlEEZNS1_11reduce_implILb1ES3_PlS7_lN6hipcub16HIPCUB_304000_NS6detail34convert_binary_result_type_wrapperINS9_3SumENS9_22TransformInputIteratorIb7NonZeroIdEPdlEElEEEE10hipError_tPvRmT1_T2_T3_mT4_P12ihipStream_tbEUlT_E0_NS1_11comp_targetILNS1_3genE0ELNS1_11target_archE4294967295ELNS1_3gpuE0ELNS1_3repE0EEENS1_30default_config_static_selectorELNS0_4arch9wavefront6targetE1EEEvSM_
                                        ; -- End function
	.set _ZN7rocprim17ROCPRIM_400000_NS6detail17trampoline_kernelINS0_14default_configENS1_22reduce_config_selectorIlEEZNS1_11reduce_implILb1ES3_PlS7_lN6hipcub16HIPCUB_304000_NS6detail34convert_binary_result_type_wrapperINS9_3SumENS9_22TransformInputIteratorIb7NonZeroIdEPdlEElEEEE10hipError_tPvRmT1_T2_T3_mT4_P12ihipStream_tbEUlT_E0_NS1_11comp_targetILNS1_3genE0ELNS1_11target_archE4294967295ELNS1_3gpuE0ELNS1_3repE0EEENS1_30default_config_static_selectorELNS0_4arch9wavefront6targetE1EEEvSM_.num_vgpr, 68
	.set _ZN7rocprim17ROCPRIM_400000_NS6detail17trampoline_kernelINS0_14default_configENS1_22reduce_config_selectorIlEEZNS1_11reduce_implILb1ES3_PlS7_lN6hipcub16HIPCUB_304000_NS6detail34convert_binary_result_type_wrapperINS9_3SumENS9_22TransformInputIteratorIb7NonZeroIdEPdlEElEEEE10hipError_tPvRmT1_T2_T3_mT4_P12ihipStream_tbEUlT_E0_NS1_11comp_targetILNS1_3genE0ELNS1_11target_archE4294967295ELNS1_3gpuE0ELNS1_3repE0EEENS1_30default_config_static_selectorELNS0_4arch9wavefront6targetE1EEEvSM_.num_agpr, 0
	.set _ZN7rocprim17ROCPRIM_400000_NS6detail17trampoline_kernelINS0_14default_configENS1_22reduce_config_selectorIlEEZNS1_11reduce_implILb1ES3_PlS7_lN6hipcub16HIPCUB_304000_NS6detail34convert_binary_result_type_wrapperINS9_3SumENS9_22TransformInputIteratorIb7NonZeroIdEPdlEElEEEE10hipError_tPvRmT1_T2_T3_mT4_P12ihipStream_tbEUlT_E0_NS1_11comp_targetILNS1_3genE0ELNS1_11target_archE4294967295ELNS1_3gpuE0ELNS1_3repE0EEENS1_30default_config_static_selectorELNS0_4arch9wavefront6targetE1EEEvSM_.numbered_sgpr, 48
	.set _ZN7rocprim17ROCPRIM_400000_NS6detail17trampoline_kernelINS0_14default_configENS1_22reduce_config_selectorIlEEZNS1_11reduce_implILb1ES3_PlS7_lN6hipcub16HIPCUB_304000_NS6detail34convert_binary_result_type_wrapperINS9_3SumENS9_22TransformInputIteratorIb7NonZeroIdEPdlEElEEEE10hipError_tPvRmT1_T2_T3_mT4_P12ihipStream_tbEUlT_E0_NS1_11comp_targetILNS1_3genE0ELNS1_11target_archE4294967295ELNS1_3gpuE0ELNS1_3repE0EEENS1_30default_config_static_selectorELNS0_4arch9wavefront6targetE1EEEvSM_.num_named_barrier, 0
	.set _ZN7rocprim17ROCPRIM_400000_NS6detail17trampoline_kernelINS0_14default_configENS1_22reduce_config_selectorIlEEZNS1_11reduce_implILb1ES3_PlS7_lN6hipcub16HIPCUB_304000_NS6detail34convert_binary_result_type_wrapperINS9_3SumENS9_22TransformInputIteratorIb7NonZeroIdEPdlEElEEEE10hipError_tPvRmT1_T2_T3_mT4_P12ihipStream_tbEUlT_E0_NS1_11comp_targetILNS1_3genE0ELNS1_11target_archE4294967295ELNS1_3gpuE0ELNS1_3repE0EEENS1_30default_config_static_selectorELNS0_4arch9wavefront6targetE1EEEvSM_.private_seg_size, 0
	.set _ZN7rocprim17ROCPRIM_400000_NS6detail17trampoline_kernelINS0_14default_configENS1_22reduce_config_selectorIlEEZNS1_11reduce_implILb1ES3_PlS7_lN6hipcub16HIPCUB_304000_NS6detail34convert_binary_result_type_wrapperINS9_3SumENS9_22TransformInputIteratorIb7NonZeroIdEPdlEElEEEE10hipError_tPvRmT1_T2_T3_mT4_P12ihipStream_tbEUlT_E0_NS1_11comp_targetILNS1_3genE0ELNS1_11target_archE4294967295ELNS1_3gpuE0ELNS1_3repE0EEENS1_30default_config_static_selectorELNS0_4arch9wavefront6targetE1EEEvSM_.uses_vcc, 1
	.set _ZN7rocprim17ROCPRIM_400000_NS6detail17trampoline_kernelINS0_14default_configENS1_22reduce_config_selectorIlEEZNS1_11reduce_implILb1ES3_PlS7_lN6hipcub16HIPCUB_304000_NS6detail34convert_binary_result_type_wrapperINS9_3SumENS9_22TransformInputIteratorIb7NonZeroIdEPdlEElEEEE10hipError_tPvRmT1_T2_T3_mT4_P12ihipStream_tbEUlT_E0_NS1_11comp_targetILNS1_3genE0ELNS1_11target_archE4294967295ELNS1_3gpuE0ELNS1_3repE0EEENS1_30default_config_static_selectorELNS0_4arch9wavefront6targetE1EEEvSM_.uses_flat_scratch, 0
	.set _ZN7rocprim17ROCPRIM_400000_NS6detail17trampoline_kernelINS0_14default_configENS1_22reduce_config_selectorIlEEZNS1_11reduce_implILb1ES3_PlS7_lN6hipcub16HIPCUB_304000_NS6detail34convert_binary_result_type_wrapperINS9_3SumENS9_22TransformInputIteratorIb7NonZeroIdEPdlEElEEEE10hipError_tPvRmT1_T2_T3_mT4_P12ihipStream_tbEUlT_E0_NS1_11comp_targetILNS1_3genE0ELNS1_11target_archE4294967295ELNS1_3gpuE0ELNS1_3repE0EEENS1_30default_config_static_selectorELNS0_4arch9wavefront6targetE1EEEvSM_.has_dyn_sized_stack, 0
	.set _ZN7rocprim17ROCPRIM_400000_NS6detail17trampoline_kernelINS0_14default_configENS1_22reduce_config_selectorIlEEZNS1_11reduce_implILb1ES3_PlS7_lN6hipcub16HIPCUB_304000_NS6detail34convert_binary_result_type_wrapperINS9_3SumENS9_22TransformInputIteratorIb7NonZeroIdEPdlEElEEEE10hipError_tPvRmT1_T2_T3_mT4_P12ihipStream_tbEUlT_E0_NS1_11comp_targetILNS1_3genE0ELNS1_11target_archE4294967295ELNS1_3gpuE0ELNS1_3repE0EEENS1_30default_config_static_selectorELNS0_4arch9wavefront6targetE1EEEvSM_.has_recursion, 0
	.set _ZN7rocprim17ROCPRIM_400000_NS6detail17trampoline_kernelINS0_14default_configENS1_22reduce_config_selectorIlEEZNS1_11reduce_implILb1ES3_PlS7_lN6hipcub16HIPCUB_304000_NS6detail34convert_binary_result_type_wrapperINS9_3SumENS9_22TransformInputIteratorIb7NonZeroIdEPdlEElEEEE10hipError_tPvRmT1_T2_T3_mT4_P12ihipStream_tbEUlT_E0_NS1_11comp_targetILNS1_3genE0ELNS1_11target_archE4294967295ELNS1_3gpuE0ELNS1_3repE0EEENS1_30default_config_static_selectorELNS0_4arch9wavefront6targetE1EEEvSM_.has_indirect_call, 0
	.section	.AMDGPU.csdata,"",@progbits
; Kernel info:
; codeLenInByte = 3128
; TotalNumSgprs: 54
; NumVgprs: 68
; NumAgprs: 0
; TotalNumVgprs: 68
; ScratchSize: 0
; MemoryBound: 0
; FloatMode: 240
; IeeeMode: 1
; LDSByteSize: 64 bytes/workgroup (compile time only)
; SGPRBlocks: 6
; VGPRBlocks: 8
; NumSGPRsForWavesPerEU: 54
; NumVGPRsForWavesPerEU: 68
; AccumOffset: 68
; Occupancy: 7
; WaveLimiterHint : 1
; COMPUTE_PGM_RSRC2:SCRATCH_EN: 0
; COMPUTE_PGM_RSRC2:USER_SGPR: 2
; COMPUTE_PGM_RSRC2:TRAP_HANDLER: 0
; COMPUTE_PGM_RSRC2:TGID_X_EN: 1
; COMPUTE_PGM_RSRC2:TGID_Y_EN: 0
; COMPUTE_PGM_RSRC2:TGID_Z_EN: 0
; COMPUTE_PGM_RSRC2:TIDIG_COMP_CNT: 0
; COMPUTE_PGM_RSRC3_GFX90A:ACCUM_OFFSET: 16
; COMPUTE_PGM_RSRC3_GFX90A:TG_SPLIT: 0
	.section	.text._ZN7rocprim17ROCPRIM_400000_NS6detail17trampoline_kernelINS0_14default_configENS1_22reduce_config_selectorIlEEZNS1_11reduce_implILb1ES3_PlS7_lN6hipcub16HIPCUB_304000_NS6detail34convert_binary_result_type_wrapperINS9_3SumENS9_22TransformInputIteratorIb7NonZeroIdEPdlEElEEEE10hipError_tPvRmT1_T2_T3_mT4_P12ihipStream_tbEUlT_E0_NS1_11comp_targetILNS1_3genE5ELNS1_11target_archE942ELNS1_3gpuE9ELNS1_3repE0EEENS1_30default_config_static_selectorELNS0_4arch9wavefront6targetE1EEEvSM_,"axG",@progbits,_ZN7rocprim17ROCPRIM_400000_NS6detail17trampoline_kernelINS0_14default_configENS1_22reduce_config_selectorIlEEZNS1_11reduce_implILb1ES3_PlS7_lN6hipcub16HIPCUB_304000_NS6detail34convert_binary_result_type_wrapperINS9_3SumENS9_22TransformInputIteratorIb7NonZeroIdEPdlEElEEEE10hipError_tPvRmT1_T2_T3_mT4_P12ihipStream_tbEUlT_E0_NS1_11comp_targetILNS1_3genE5ELNS1_11target_archE942ELNS1_3gpuE9ELNS1_3repE0EEENS1_30default_config_static_selectorELNS0_4arch9wavefront6targetE1EEEvSM_,comdat
	.protected	_ZN7rocprim17ROCPRIM_400000_NS6detail17trampoline_kernelINS0_14default_configENS1_22reduce_config_selectorIlEEZNS1_11reduce_implILb1ES3_PlS7_lN6hipcub16HIPCUB_304000_NS6detail34convert_binary_result_type_wrapperINS9_3SumENS9_22TransformInputIteratorIb7NonZeroIdEPdlEElEEEE10hipError_tPvRmT1_T2_T3_mT4_P12ihipStream_tbEUlT_E0_NS1_11comp_targetILNS1_3genE5ELNS1_11target_archE942ELNS1_3gpuE9ELNS1_3repE0EEENS1_30default_config_static_selectorELNS0_4arch9wavefront6targetE1EEEvSM_ ; -- Begin function _ZN7rocprim17ROCPRIM_400000_NS6detail17trampoline_kernelINS0_14default_configENS1_22reduce_config_selectorIlEEZNS1_11reduce_implILb1ES3_PlS7_lN6hipcub16HIPCUB_304000_NS6detail34convert_binary_result_type_wrapperINS9_3SumENS9_22TransformInputIteratorIb7NonZeroIdEPdlEElEEEE10hipError_tPvRmT1_T2_T3_mT4_P12ihipStream_tbEUlT_E0_NS1_11comp_targetILNS1_3genE5ELNS1_11target_archE942ELNS1_3gpuE9ELNS1_3repE0EEENS1_30default_config_static_selectorELNS0_4arch9wavefront6targetE1EEEvSM_
	.globl	_ZN7rocprim17ROCPRIM_400000_NS6detail17trampoline_kernelINS0_14default_configENS1_22reduce_config_selectorIlEEZNS1_11reduce_implILb1ES3_PlS7_lN6hipcub16HIPCUB_304000_NS6detail34convert_binary_result_type_wrapperINS9_3SumENS9_22TransformInputIteratorIb7NonZeroIdEPdlEElEEEE10hipError_tPvRmT1_T2_T3_mT4_P12ihipStream_tbEUlT_E0_NS1_11comp_targetILNS1_3genE5ELNS1_11target_archE942ELNS1_3gpuE9ELNS1_3repE0EEENS1_30default_config_static_selectorELNS0_4arch9wavefront6targetE1EEEvSM_
	.p2align	8
	.type	_ZN7rocprim17ROCPRIM_400000_NS6detail17trampoline_kernelINS0_14default_configENS1_22reduce_config_selectorIlEEZNS1_11reduce_implILb1ES3_PlS7_lN6hipcub16HIPCUB_304000_NS6detail34convert_binary_result_type_wrapperINS9_3SumENS9_22TransformInputIteratorIb7NonZeroIdEPdlEElEEEE10hipError_tPvRmT1_T2_T3_mT4_P12ihipStream_tbEUlT_E0_NS1_11comp_targetILNS1_3genE5ELNS1_11target_archE942ELNS1_3gpuE9ELNS1_3repE0EEENS1_30default_config_static_selectorELNS0_4arch9wavefront6targetE1EEEvSM_,@function
_ZN7rocprim17ROCPRIM_400000_NS6detail17trampoline_kernelINS0_14default_configENS1_22reduce_config_selectorIlEEZNS1_11reduce_implILb1ES3_PlS7_lN6hipcub16HIPCUB_304000_NS6detail34convert_binary_result_type_wrapperINS9_3SumENS9_22TransformInputIteratorIb7NonZeroIdEPdlEElEEEE10hipError_tPvRmT1_T2_T3_mT4_P12ihipStream_tbEUlT_E0_NS1_11comp_targetILNS1_3genE5ELNS1_11target_archE942ELNS1_3gpuE9ELNS1_3repE0EEENS1_30default_config_static_selectorELNS0_4arch9wavefront6targetE1EEEvSM_: ; @_ZN7rocprim17ROCPRIM_400000_NS6detail17trampoline_kernelINS0_14default_configENS1_22reduce_config_selectorIlEEZNS1_11reduce_implILb1ES3_PlS7_lN6hipcub16HIPCUB_304000_NS6detail34convert_binary_result_type_wrapperINS9_3SumENS9_22TransformInputIteratorIb7NonZeroIdEPdlEElEEEE10hipError_tPvRmT1_T2_T3_mT4_P12ihipStream_tbEUlT_E0_NS1_11comp_targetILNS1_3genE5ELNS1_11target_archE942ELNS1_3gpuE9ELNS1_3repE0EEENS1_30default_config_static_selectorELNS0_4arch9wavefront6targetE1EEEvSM_
; %bb.0:
	.section	.rodata,"a",@progbits
	.p2align	6, 0x0
	.amdhsa_kernel _ZN7rocprim17ROCPRIM_400000_NS6detail17trampoline_kernelINS0_14default_configENS1_22reduce_config_selectorIlEEZNS1_11reduce_implILb1ES3_PlS7_lN6hipcub16HIPCUB_304000_NS6detail34convert_binary_result_type_wrapperINS9_3SumENS9_22TransformInputIteratorIb7NonZeroIdEPdlEElEEEE10hipError_tPvRmT1_T2_T3_mT4_P12ihipStream_tbEUlT_E0_NS1_11comp_targetILNS1_3genE5ELNS1_11target_archE942ELNS1_3gpuE9ELNS1_3repE0EEENS1_30default_config_static_selectorELNS0_4arch9wavefront6targetE1EEEvSM_
		.amdhsa_group_segment_fixed_size 0
		.amdhsa_private_segment_fixed_size 0
		.amdhsa_kernarg_size 64
		.amdhsa_user_sgpr_count 2
		.amdhsa_user_sgpr_dispatch_ptr 0
		.amdhsa_user_sgpr_queue_ptr 0
		.amdhsa_user_sgpr_kernarg_segment_ptr 1
		.amdhsa_user_sgpr_dispatch_id 0
		.amdhsa_user_sgpr_kernarg_preload_length 0
		.amdhsa_user_sgpr_kernarg_preload_offset 0
		.amdhsa_user_sgpr_private_segment_size 0
		.amdhsa_uses_dynamic_stack 0
		.amdhsa_enable_private_segment 0
		.amdhsa_system_sgpr_workgroup_id_x 1
		.amdhsa_system_sgpr_workgroup_id_y 0
		.amdhsa_system_sgpr_workgroup_id_z 0
		.amdhsa_system_sgpr_workgroup_info 0
		.amdhsa_system_vgpr_workitem_id 0
		.amdhsa_next_free_vgpr 1
		.amdhsa_next_free_sgpr 0
		.amdhsa_accum_offset 4
		.amdhsa_reserve_vcc 0
		.amdhsa_float_round_mode_32 0
		.amdhsa_float_round_mode_16_64 0
		.amdhsa_float_denorm_mode_32 3
		.amdhsa_float_denorm_mode_16_64 3
		.amdhsa_dx10_clamp 1
		.amdhsa_ieee_mode 1
		.amdhsa_fp16_overflow 0
		.amdhsa_tg_split 0
		.amdhsa_exception_fp_ieee_invalid_op 0
		.amdhsa_exception_fp_denorm_src 0
		.amdhsa_exception_fp_ieee_div_zero 0
		.amdhsa_exception_fp_ieee_overflow 0
		.amdhsa_exception_fp_ieee_underflow 0
		.amdhsa_exception_fp_ieee_inexact 0
		.amdhsa_exception_int_div_zero 0
	.end_amdhsa_kernel
	.section	.text._ZN7rocprim17ROCPRIM_400000_NS6detail17trampoline_kernelINS0_14default_configENS1_22reduce_config_selectorIlEEZNS1_11reduce_implILb1ES3_PlS7_lN6hipcub16HIPCUB_304000_NS6detail34convert_binary_result_type_wrapperINS9_3SumENS9_22TransformInputIteratorIb7NonZeroIdEPdlEElEEEE10hipError_tPvRmT1_T2_T3_mT4_P12ihipStream_tbEUlT_E0_NS1_11comp_targetILNS1_3genE5ELNS1_11target_archE942ELNS1_3gpuE9ELNS1_3repE0EEENS1_30default_config_static_selectorELNS0_4arch9wavefront6targetE1EEEvSM_,"axG",@progbits,_ZN7rocprim17ROCPRIM_400000_NS6detail17trampoline_kernelINS0_14default_configENS1_22reduce_config_selectorIlEEZNS1_11reduce_implILb1ES3_PlS7_lN6hipcub16HIPCUB_304000_NS6detail34convert_binary_result_type_wrapperINS9_3SumENS9_22TransformInputIteratorIb7NonZeroIdEPdlEElEEEE10hipError_tPvRmT1_T2_T3_mT4_P12ihipStream_tbEUlT_E0_NS1_11comp_targetILNS1_3genE5ELNS1_11target_archE942ELNS1_3gpuE9ELNS1_3repE0EEENS1_30default_config_static_selectorELNS0_4arch9wavefront6targetE1EEEvSM_,comdat
.Lfunc_end286:
	.size	_ZN7rocprim17ROCPRIM_400000_NS6detail17trampoline_kernelINS0_14default_configENS1_22reduce_config_selectorIlEEZNS1_11reduce_implILb1ES3_PlS7_lN6hipcub16HIPCUB_304000_NS6detail34convert_binary_result_type_wrapperINS9_3SumENS9_22TransformInputIteratorIb7NonZeroIdEPdlEElEEEE10hipError_tPvRmT1_T2_T3_mT4_P12ihipStream_tbEUlT_E0_NS1_11comp_targetILNS1_3genE5ELNS1_11target_archE942ELNS1_3gpuE9ELNS1_3repE0EEENS1_30default_config_static_selectorELNS0_4arch9wavefront6targetE1EEEvSM_, .Lfunc_end286-_ZN7rocprim17ROCPRIM_400000_NS6detail17trampoline_kernelINS0_14default_configENS1_22reduce_config_selectorIlEEZNS1_11reduce_implILb1ES3_PlS7_lN6hipcub16HIPCUB_304000_NS6detail34convert_binary_result_type_wrapperINS9_3SumENS9_22TransformInputIteratorIb7NonZeroIdEPdlEElEEEE10hipError_tPvRmT1_T2_T3_mT4_P12ihipStream_tbEUlT_E0_NS1_11comp_targetILNS1_3genE5ELNS1_11target_archE942ELNS1_3gpuE9ELNS1_3repE0EEENS1_30default_config_static_selectorELNS0_4arch9wavefront6targetE1EEEvSM_
                                        ; -- End function
	.set _ZN7rocprim17ROCPRIM_400000_NS6detail17trampoline_kernelINS0_14default_configENS1_22reduce_config_selectorIlEEZNS1_11reduce_implILb1ES3_PlS7_lN6hipcub16HIPCUB_304000_NS6detail34convert_binary_result_type_wrapperINS9_3SumENS9_22TransformInputIteratorIb7NonZeroIdEPdlEElEEEE10hipError_tPvRmT1_T2_T3_mT4_P12ihipStream_tbEUlT_E0_NS1_11comp_targetILNS1_3genE5ELNS1_11target_archE942ELNS1_3gpuE9ELNS1_3repE0EEENS1_30default_config_static_selectorELNS0_4arch9wavefront6targetE1EEEvSM_.num_vgpr, 0
	.set _ZN7rocprim17ROCPRIM_400000_NS6detail17trampoline_kernelINS0_14default_configENS1_22reduce_config_selectorIlEEZNS1_11reduce_implILb1ES3_PlS7_lN6hipcub16HIPCUB_304000_NS6detail34convert_binary_result_type_wrapperINS9_3SumENS9_22TransformInputIteratorIb7NonZeroIdEPdlEElEEEE10hipError_tPvRmT1_T2_T3_mT4_P12ihipStream_tbEUlT_E0_NS1_11comp_targetILNS1_3genE5ELNS1_11target_archE942ELNS1_3gpuE9ELNS1_3repE0EEENS1_30default_config_static_selectorELNS0_4arch9wavefront6targetE1EEEvSM_.num_agpr, 0
	.set _ZN7rocprim17ROCPRIM_400000_NS6detail17trampoline_kernelINS0_14default_configENS1_22reduce_config_selectorIlEEZNS1_11reduce_implILb1ES3_PlS7_lN6hipcub16HIPCUB_304000_NS6detail34convert_binary_result_type_wrapperINS9_3SumENS9_22TransformInputIteratorIb7NonZeroIdEPdlEElEEEE10hipError_tPvRmT1_T2_T3_mT4_P12ihipStream_tbEUlT_E0_NS1_11comp_targetILNS1_3genE5ELNS1_11target_archE942ELNS1_3gpuE9ELNS1_3repE0EEENS1_30default_config_static_selectorELNS0_4arch9wavefront6targetE1EEEvSM_.numbered_sgpr, 0
	.set _ZN7rocprim17ROCPRIM_400000_NS6detail17trampoline_kernelINS0_14default_configENS1_22reduce_config_selectorIlEEZNS1_11reduce_implILb1ES3_PlS7_lN6hipcub16HIPCUB_304000_NS6detail34convert_binary_result_type_wrapperINS9_3SumENS9_22TransformInputIteratorIb7NonZeroIdEPdlEElEEEE10hipError_tPvRmT1_T2_T3_mT4_P12ihipStream_tbEUlT_E0_NS1_11comp_targetILNS1_3genE5ELNS1_11target_archE942ELNS1_3gpuE9ELNS1_3repE0EEENS1_30default_config_static_selectorELNS0_4arch9wavefront6targetE1EEEvSM_.num_named_barrier, 0
	.set _ZN7rocprim17ROCPRIM_400000_NS6detail17trampoline_kernelINS0_14default_configENS1_22reduce_config_selectorIlEEZNS1_11reduce_implILb1ES3_PlS7_lN6hipcub16HIPCUB_304000_NS6detail34convert_binary_result_type_wrapperINS9_3SumENS9_22TransformInputIteratorIb7NonZeroIdEPdlEElEEEE10hipError_tPvRmT1_T2_T3_mT4_P12ihipStream_tbEUlT_E0_NS1_11comp_targetILNS1_3genE5ELNS1_11target_archE942ELNS1_3gpuE9ELNS1_3repE0EEENS1_30default_config_static_selectorELNS0_4arch9wavefront6targetE1EEEvSM_.private_seg_size, 0
	.set _ZN7rocprim17ROCPRIM_400000_NS6detail17trampoline_kernelINS0_14default_configENS1_22reduce_config_selectorIlEEZNS1_11reduce_implILb1ES3_PlS7_lN6hipcub16HIPCUB_304000_NS6detail34convert_binary_result_type_wrapperINS9_3SumENS9_22TransformInputIteratorIb7NonZeroIdEPdlEElEEEE10hipError_tPvRmT1_T2_T3_mT4_P12ihipStream_tbEUlT_E0_NS1_11comp_targetILNS1_3genE5ELNS1_11target_archE942ELNS1_3gpuE9ELNS1_3repE0EEENS1_30default_config_static_selectorELNS0_4arch9wavefront6targetE1EEEvSM_.uses_vcc, 0
	.set _ZN7rocprim17ROCPRIM_400000_NS6detail17trampoline_kernelINS0_14default_configENS1_22reduce_config_selectorIlEEZNS1_11reduce_implILb1ES3_PlS7_lN6hipcub16HIPCUB_304000_NS6detail34convert_binary_result_type_wrapperINS9_3SumENS9_22TransformInputIteratorIb7NonZeroIdEPdlEElEEEE10hipError_tPvRmT1_T2_T3_mT4_P12ihipStream_tbEUlT_E0_NS1_11comp_targetILNS1_3genE5ELNS1_11target_archE942ELNS1_3gpuE9ELNS1_3repE0EEENS1_30default_config_static_selectorELNS0_4arch9wavefront6targetE1EEEvSM_.uses_flat_scratch, 0
	.set _ZN7rocprim17ROCPRIM_400000_NS6detail17trampoline_kernelINS0_14default_configENS1_22reduce_config_selectorIlEEZNS1_11reduce_implILb1ES3_PlS7_lN6hipcub16HIPCUB_304000_NS6detail34convert_binary_result_type_wrapperINS9_3SumENS9_22TransformInputIteratorIb7NonZeroIdEPdlEElEEEE10hipError_tPvRmT1_T2_T3_mT4_P12ihipStream_tbEUlT_E0_NS1_11comp_targetILNS1_3genE5ELNS1_11target_archE942ELNS1_3gpuE9ELNS1_3repE0EEENS1_30default_config_static_selectorELNS0_4arch9wavefront6targetE1EEEvSM_.has_dyn_sized_stack, 0
	.set _ZN7rocprim17ROCPRIM_400000_NS6detail17trampoline_kernelINS0_14default_configENS1_22reduce_config_selectorIlEEZNS1_11reduce_implILb1ES3_PlS7_lN6hipcub16HIPCUB_304000_NS6detail34convert_binary_result_type_wrapperINS9_3SumENS9_22TransformInputIteratorIb7NonZeroIdEPdlEElEEEE10hipError_tPvRmT1_T2_T3_mT4_P12ihipStream_tbEUlT_E0_NS1_11comp_targetILNS1_3genE5ELNS1_11target_archE942ELNS1_3gpuE9ELNS1_3repE0EEENS1_30default_config_static_selectorELNS0_4arch9wavefront6targetE1EEEvSM_.has_recursion, 0
	.set _ZN7rocprim17ROCPRIM_400000_NS6detail17trampoline_kernelINS0_14default_configENS1_22reduce_config_selectorIlEEZNS1_11reduce_implILb1ES3_PlS7_lN6hipcub16HIPCUB_304000_NS6detail34convert_binary_result_type_wrapperINS9_3SumENS9_22TransformInputIteratorIb7NonZeroIdEPdlEElEEEE10hipError_tPvRmT1_T2_T3_mT4_P12ihipStream_tbEUlT_E0_NS1_11comp_targetILNS1_3genE5ELNS1_11target_archE942ELNS1_3gpuE9ELNS1_3repE0EEENS1_30default_config_static_selectorELNS0_4arch9wavefront6targetE1EEEvSM_.has_indirect_call, 0
	.section	.AMDGPU.csdata,"",@progbits
; Kernel info:
; codeLenInByte = 0
; TotalNumSgprs: 6
; NumVgprs: 0
; NumAgprs: 0
; TotalNumVgprs: 0
; ScratchSize: 0
; MemoryBound: 0
; FloatMode: 240
; IeeeMode: 1
; LDSByteSize: 0 bytes/workgroup (compile time only)
; SGPRBlocks: 0
; VGPRBlocks: 0
; NumSGPRsForWavesPerEU: 6
; NumVGPRsForWavesPerEU: 1
; AccumOffset: 4
; Occupancy: 8
; WaveLimiterHint : 0
; COMPUTE_PGM_RSRC2:SCRATCH_EN: 0
; COMPUTE_PGM_RSRC2:USER_SGPR: 2
; COMPUTE_PGM_RSRC2:TRAP_HANDLER: 0
; COMPUTE_PGM_RSRC2:TGID_X_EN: 1
; COMPUTE_PGM_RSRC2:TGID_Y_EN: 0
; COMPUTE_PGM_RSRC2:TGID_Z_EN: 0
; COMPUTE_PGM_RSRC2:TIDIG_COMP_CNT: 0
; COMPUTE_PGM_RSRC3_GFX90A:ACCUM_OFFSET: 0
; COMPUTE_PGM_RSRC3_GFX90A:TG_SPLIT: 0
	.section	.text._ZN7rocprim17ROCPRIM_400000_NS6detail17trampoline_kernelINS0_14default_configENS1_22reduce_config_selectorIlEEZNS1_11reduce_implILb1ES3_PlS7_lN6hipcub16HIPCUB_304000_NS6detail34convert_binary_result_type_wrapperINS9_3SumENS9_22TransformInputIteratorIb7NonZeroIdEPdlEElEEEE10hipError_tPvRmT1_T2_T3_mT4_P12ihipStream_tbEUlT_E0_NS1_11comp_targetILNS1_3genE4ELNS1_11target_archE910ELNS1_3gpuE8ELNS1_3repE0EEENS1_30default_config_static_selectorELNS0_4arch9wavefront6targetE1EEEvSM_,"axG",@progbits,_ZN7rocprim17ROCPRIM_400000_NS6detail17trampoline_kernelINS0_14default_configENS1_22reduce_config_selectorIlEEZNS1_11reduce_implILb1ES3_PlS7_lN6hipcub16HIPCUB_304000_NS6detail34convert_binary_result_type_wrapperINS9_3SumENS9_22TransformInputIteratorIb7NonZeroIdEPdlEElEEEE10hipError_tPvRmT1_T2_T3_mT4_P12ihipStream_tbEUlT_E0_NS1_11comp_targetILNS1_3genE4ELNS1_11target_archE910ELNS1_3gpuE8ELNS1_3repE0EEENS1_30default_config_static_selectorELNS0_4arch9wavefront6targetE1EEEvSM_,comdat
	.protected	_ZN7rocprim17ROCPRIM_400000_NS6detail17trampoline_kernelINS0_14default_configENS1_22reduce_config_selectorIlEEZNS1_11reduce_implILb1ES3_PlS7_lN6hipcub16HIPCUB_304000_NS6detail34convert_binary_result_type_wrapperINS9_3SumENS9_22TransformInputIteratorIb7NonZeroIdEPdlEElEEEE10hipError_tPvRmT1_T2_T3_mT4_P12ihipStream_tbEUlT_E0_NS1_11comp_targetILNS1_3genE4ELNS1_11target_archE910ELNS1_3gpuE8ELNS1_3repE0EEENS1_30default_config_static_selectorELNS0_4arch9wavefront6targetE1EEEvSM_ ; -- Begin function _ZN7rocprim17ROCPRIM_400000_NS6detail17trampoline_kernelINS0_14default_configENS1_22reduce_config_selectorIlEEZNS1_11reduce_implILb1ES3_PlS7_lN6hipcub16HIPCUB_304000_NS6detail34convert_binary_result_type_wrapperINS9_3SumENS9_22TransformInputIteratorIb7NonZeroIdEPdlEElEEEE10hipError_tPvRmT1_T2_T3_mT4_P12ihipStream_tbEUlT_E0_NS1_11comp_targetILNS1_3genE4ELNS1_11target_archE910ELNS1_3gpuE8ELNS1_3repE0EEENS1_30default_config_static_selectorELNS0_4arch9wavefront6targetE1EEEvSM_
	.globl	_ZN7rocprim17ROCPRIM_400000_NS6detail17trampoline_kernelINS0_14default_configENS1_22reduce_config_selectorIlEEZNS1_11reduce_implILb1ES3_PlS7_lN6hipcub16HIPCUB_304000_NS6detail34convert_binary_result_type_wrapperINS9_3SumENS9_22TransformInputIteratorIb7NonZeroIdEPdlEElEEEE10hipError_tPvRmT1_T2_T3_mT4_P12ihipStream_tbEUlT_E0_NS1_11comp_targetILNS1_3genE4ELNS1_11target_archE910ELNS1_3gpuE8ELNS1_3repE0EEENS1_30default_config_static_selectorELNS0_4arch9wavefront6targetE1EEEvSM_
	.p2align	8
	.type	_ZN7rocprim17ROCPRIM_400000_NS6detail17trampoline_kernelINS0_14default_configENS1_22reduce_config_selectorIlEEZNS1_11reduce_implILb1ES3_PlS7_lN6hipcub16HIPCUB_304000_NS6detail34convert_binary_result_type_wrapperINS9_3SumENS9_22TransformInputIteratorIb7NonZeroIdEPdlEElEEEE10hipError_tPvRmT1_T2_T3_mT4_P12ihipStream_tbEUlT_E0_NS1_11comp_targetILNS1_3genE4ELNS1_11target_archE910ELNS1_3gpuE8ELNS1_3repE0EEENS1_30default_config_static_selectorELNS0_4arch9wavefront6targetE1EEEvSM_,@function
_ZN7rocprim17ROCPRIM_400000_NS6detail17trampoline_kernelINS0_14default_configENS1_22reduce_config_selectorIlEEZNS1_11reduce_implILb1ES3_PlS7_lN6hipcub16HIPCUB_304000_NS6detail34convert_binary_result_type_wrapperINS9_3SumENS9_22TransformInputIteratorIb7NonZeroIdEPdlEElEEEE10hipError_tPvRmT1_T2_T3_mT4_P12ihipStream_tbEUlT_E0_NS1_11comp_targetILNS1_3genE4ELNS1_11target_archE910ELNS1_3gpuE8ELNS1_3repE0EEENS1_30default_config_static_selectorELNS0_4arch9wavefront6targetE1EEEvSM_: ; @_ZN7rocprim17ROCPRIM_400000_NS6detail17trampoline_kernelINS0_14default_configENS1_22reduce_config_selectorIlEEZNS1_11reduce_implILb1ES3_PlS7_lN6hipcub16HIPCUB_304000_NS6detail34convert_binary_result_type_wrapperINS9_3SumENS9_22TransformInputIteratorIb7NonZeroIdEPdlEElEEEE10hipError_tPvRmT1_T2_T3_mT4_P12ihipStream_tbEUlT_E0_NS1_11comp_targetILNS1_3genE4ELNS1_11target_archE910ELNS1_3gpuE8ELNS1_3repE0EEENS1_30default_config_static_selectorELNS0_4arch9wavefront6targetE1EEEvSM_
; %bb.0:
	.section	.rodata,"a",@progbits
	.p2align	6, 0x0
	.amdhsa_kernel _ZN7rocprim17ROCPRIM_400000_NS6detail17trampoline_kernelINS0_14default_configENS1_22reduce_config_selectorIlEEZNS1_11reduce_implILb1ES3_PlS7_lN6hipcub16HIPCUB_304000_NS6detail34convert_binary_result_type_wrapperINS9_3SumENS9_22TransformInputIteratorIb7NonZeroIdEPdlEElEEEE10hipError_tPvRmT1_T2_T3_mT4_P12ihipStream_tbEUlT_E0_NS1_11comp_targetILNS1_3genE4ELNS1_11target_archE910ELNS1_3gpuE8ELNS1_3repE0EEENS1_30default_config_static_selectorELNS0_4arch9wavefront6targetE1EEEvSM_
		.amdhsa_group_segment_fixed_size 0
		.amdhsa_private_segment_fixed_size 0
		.amdhsa_kernarg_size 64
		.amdhsa_user_sgpr_count 2
		.amdhsa_user_sgpr_dispatch_ptr 0
		.amdhsa_user_sgpr_queue_ptr 0
		.amdhsa_user_sgpr_kernarg_segment_ptr 1
		.amdhsa_user_sgpr_dispatch_id 0
		.amdhsa_user_sgpr_kernarg_preload_length 0
		.amdhsa_user_sgpr_kernarg_preload_offset 0
		.amdhsa_user_sgpr_private_segment_size 0
		.amdhsa_uses_dynamic_stack 0
		.amdhsa_enable_private_segment 0
		.amdhsa_system_sgpr_workgroup_id_x 1
		.amdhsa_system_sgpr_workgroup_id_y 0
		.amdhsa_system_sgpr_workgroup_id_z 0
		.amdhsa_system_sgpr_workgroup_info 0
		.amdhsa_system_vgpr_workitem_id 0
		.amdhsa_next_free_vgpr 1
		.amdhsa_next_free_sgpr 0
		.amdhsa_accum_offset 4
		.amdhsa_reserve_vcc 0
		.amdhsa_float_round_mode_32 0
		.amdhsa_float_round_mode_16_64 0
		.amdhsa_float_denorm_mode_32 3
		.amdhsa_float_denorm_mode_16_64 3
		.amdhsa_dx10_clamp 1
		.amdhsa_ieee_mode 1
		.amdhsa_fp16_overflow 0
		.amdhsa_tg_split 0
		.amdhsa_exception_fp_ieee_invalid_op 0
		.amdhsa_exception_fp_denorm_src 0
		.amdhsa_exception_fp_ieee_div_zero 0
		.amdhsa_exception_fp_ieee_overflow 0
		.amdhsa_exception_fp_ieee_underflow 0
		.amdhsa_exception_fp_ieee_inexact 0
		.amdhsa_exception_int_div_zero 0
	.end_amdhsa_kernel
	.section	.text._ZN7rocprim17ROCPRIM_400000_NS6detail17trampoline_kernelINS0_14default_configENS1_22reduce_config_selectorIlEEZNS1_11reduce_implILb1ES3_PlS7_lN6hipcub16HIPCUB_304000_NS6detail34convert_binary_result_type_wrapperINS9_3SumENS9_22TransformInputIteratorIb7NonZeroIdEPdlEElEEEE10hipError_tPvRmT1_T2_T3_mT4_P12ihipStream_tbEUlT_E0_NS1_11comp_targetILNS1_3genE4ELNS1_11target_archE910ELNS1_3gpuE8ELNS1_3repE0EEENS1_30default_config_static_selectorELNS0_4arch9wavefront6targetE1EEEvSM_,"axG",@progbits,_ZN7rocprim17ROCPRIM_400000_NS6detail17trampoline_kernelINS0_14default_configENS1_22reduce_config_selectorIlEEZNS1_11reduce_implILb1ES3_PlS7_lN6hipcub16HIPCUB_304000_NS6detail34convert_binary_result_type_wrapperINS9_3SumENS9_22TransformInputIteratorIb7NonZeroIdEPdlEElEEEE10hipError_tPvRmT1_T2_T3_mT4_P12ihipStream_tbEUlT_E0_NS1_11comp_targetILNS1_3genE4ELNS1_11target_archE910ELNS1_3gpuE8ELNS1_3repE0EEENS1_30default_config_static_selectorELNS0_4arch9wavefront6targetE1EEEvSM_,comdat
.Lfunc_end287:
	.size	_ZN7rocprim17ROCPRIM_400000_NS6detail17trampoline_kernelINS0_14default_configENS1_22reduce_config_selectorIlEEZNS1_11reduce_implILb1ES3_PlS7_lN6hipcub16HIPCUB_304000_NS6detail34convert_binary_result_type_wrapperINS9_3SumENS9_22TransformInputIteratorIb7NonZeroIdEPdlEElEEEE10hipError_tPvRmT1_T2_T3_mT4_P12ihipStream_tbEUlT_E0_NS1_11comp_targetILNS1_3genE4ELNS1_11target_archE910ELNS1_3gpuE8ELNS1_3repE0EEENS1_30default_config_static_selectorELNS0_4arch9wavefront6targetE1EEEvSM_, .Lfunc_end287-_ZN7rocprim17ROCPRIM_400000_NS6detail17trampoline_kernelINS0_14default_configENS1_22reduce_config_selectorIlEEZNS1_11reduce_implILb1ES3_PlS7_lN6hipcub16HIPCUB_304000_NS6detail34convert_binary_result_type_wrapperINS9_3SumENS9_22TransformInputIteratorIb7NonZeroIdEPdlEElEEEE10hipError_tPvRmT1_T2_T3_mT4_P12ihipStream_tbEUlT_E0_NS1_11comp_targetILNS1_3genE4ELNS1_11target_archE910ELNS1_3gpuE8ELNS1_3repE0EEENS1_30default_config_static_selectorELNS0_4arch9wavefront6targetE1EEEvSM_
                                        ; -- End function
	.set _ZN7rocprim17ROCPRIM_400000_NS6detail17trampoline_kernelINS0_14default_configENS1_22reduce_config_selectorIlEEZNS1_11reduce_implILb1ES3_PlS7_lN6hipcub16HIPCUB_304000_NS6detail34convert_binary_result_type_wrapperINS9_3SumENS9_22TransformInputIteratorIb7NonZeroIdEPdlEElEEEE10hipError_tPvRmT1_T2_T3_mT4_P12ihipStream_tbEUlT_E0_NS1_11comp_targetILNS1_3genE4ELNS1_11target_archE910ELNS1_3gpuE8ELNS1_3repE0EEENS1_30default_config_static_selectorELNS0_4arch9wavefront6targetE1EEEvSM_.num_vgpr, 0
	.set _ZN7rocprim17ROCPRIM_400000_NS6detail17trampoline_kernelINS0_14default_configENS1_22reduce_config_selectorIlEEZNS1_11reduce_implILb1ES3_PlS7_lN6hipcub16HIPCUB_304000_NS6detail34convert_binary_result_type_wrapperINS9_3SumENS9_22TransformInputIteratorIb7NonZeroIdEPdlEElEEEE10hipError_tPvRmT1_T2_T3_mT4_P12ihipStream_tbEUlT_E0_NS1_11comp_targetILNS1_3genE4ELNS1_11target_archE910ELNS1_3gpuE8ELNS1_3repE0EEENS1_30default_config_static_selectorELNS0_4arch9wavefront6targetE1EEEvSM_.num_agpr, 0
	.set _ZN7rocprim17ROCPRIM_400000_NS6detail17trampoline_kernelINS0_14default_configENS1_22reduce_config_selectorIlEEZNS1_11reduce_implILb1ES3_PlS7_lN6hipcub16HIPCUB_304000_NS6detail34convert_binary_result_type_wrapperINS9_3SumENS9_22TransformInputIteratorIb7NonZeroIdEPdlEElEEEE10hipError_tPvRmT1_T2_T3_mT4_P12ihipStream_tbEUlT_E0_NS1_11comp_targetILNS1_3genE4ELNS1_11target_archE910ELNS1_3gpuE8ELNS1_3repE0EEENS1_30default_config_static_selectorELNS0_4arch9wavefront6targetE1EEEvSM_.numbered_sgpr, 0
	.set _ZN7rocprim17ROCPRIM_400000_NS6detail17trampoline_kernelINS0_14default_configENS1_22reduce_config_selectorIlEEZNS1_11reduce_implILb1ES3_PlS7_lN6hipcub16HIPCUB_304000_NS6detail34convert_binary_result_type_wrapperINS9_3SumENS9_22TransformInputIteratorIb7NonZeroIdEPdlEElEEEE10hipError_tPvRmT1_T2_T3_mT4_P12ihipStream_tbEUlT_E0_NS1_11comp_targetILNS1_3genE4ELNS1_11target_archE910ELNS1_3gpuE8ELNS1_3repE0EEENS1_30default_config_static_selectorELNS0_4arch9wavefront6targetE1EEEvSM_.num_named_barrier, 0
	.set _ZN7rocprim17ROCPRIM_400000_NS6detail17trampoline_kernelINS0_14default_configENS1_22reduce_config_selectorIlEEZNS1_11reduce_implILb1ES3_PlS7_lN6hipcub16HIPCUB_304000_NS6detail34convert_binary_result_type_wrapperINS9_3SumENS9_22TransformInputIteratorIb7NonZeroIdEPdlEElEEEE10hipError_tPvRmT1_T2_T3_mT4_P12ihipStream_tbEUlT_E0_NS1_11comp_targetILNS1_3genE4ELNS1_11target_archE910ELNS1_3gpuE8ELNS1_3repE0EEENS1_30default_config_static_selectorELNS0_4arch9wavefront6targetE1EEEvSM_.private_seg_size, 0
	.set _ZN7rocprim17ROCPRIM_400000_NS6detail17trampoline_kernelINS0_14default_configENS1_22reduce_config_selectorIlEEZNS1_11reduce_implILb1ES3_PlS7_lN6hipcub16HIPCUB_304000_NS6detail34convert_binary_result_type_wrapperINS9_3SumENS9_22TransformInputIteratorIb7NonZeroIdEPdlEElEEEE10hipError_tPvRmT1_T2_T3_mT4_P12ihipStream_tbEUlT_E0_NS1_11comp_targetILNS1_3genE4ELNS1_11target_archE910ELNS1_3gpuE8ELNS1_3repE0EEENS1_30default_config_static_selectorELNS0_4arch9wavefront6targetE1EEEvSM_.uses_vcc, 0
	.set _ZN7rocprim17ROCPRIM_400000_NS6detail17trampoline_kernelINS0_14default_configENS1_22reduce_config_selectorIlEEZNS1_11reduce_implILb1ES3_PlS7_lN6hipcub16HIPCUB_304000_NS6detail34convert_binary_result_type_wrapperINS9_3SumENS9_22TransformInputIteratorIb7NonZeroIdEPdlEElEEEE10hipError_tPvRmT1_T2_T3_mT4_P12ihipStream_tbEUlT_E0_NS1_11comp_targetILNS1_3genE4ELNS1_11target_archE910ELNS1_3gpuE8ELNS1_3repE0EEENS1_30default_config_static_selectorELNS0_4arch9wavefront6targetE1EEEvSM_.uses_flat_scratch, 0
	.set _ZN7rocprim17ROCPRIM_400000_NS6detail17trampoline_kernelINS0_14default_configENS1_22reduce_config_selectorIlEEZNS1_11reduce_implILb1ES3_PlS7_lN6hipcub16HIPCUB_304000_NS6detail34convert_binary_result_type_wrapperINS9_3SumENS9_22TransformInputIteratorIb7NonZeroIdEPdlEElEEEE10hipError_tPvRmT1_T2_T3_mT4_P12ihipStream_tbEUlT_E0_NS1_11comp_targetILNS1_3genE4ELNS1_11target_archE910ELNS1_3gpuE8ELNS1_3repE0EEENS1_30default_config_static_selectorELNS0_4arch9wavefront6targetE1EEEvSM_.has_dyn_sized_stack, 0
	.set _ZN7rocprim17ROCPRIM_400000_NS6detail17trampoline_kernelINS0_14default_configENS1_22reduce_config_selectorIlEEZNS1_11reduce_implILb1ES3_PlS7_lN6hipcub16HIPCUB_304000_NS6detail34convert_binary_result_type_wrapperINS9_3SumENS9_22TransformInputIteratorIb7NonZeroIdEPdlEElEEEE10hipError_tPvRmT1_T2_T3_mT4_P12ihipStream_tbEUlT_E0_NS1_11comp_targetILNS1_3genE4ELNS1_11target_archE910ELNS1_3gpuE8ELNS1_3repE0EEENS1_30default_config_static_selectorELNS0_4arch9wavefront6targetE1EEEvSM_.has_recursion, 0
	.set _ZN7rocprim17ROCPRIM_400000_NS6detail17trampoline_kernelINS0_14default_configENS1_22reduce_config_selectorIlEEZNS1_11reduce_implILb1ES3_PlS7_lN6hipcub16HIPCUB_304000_NS6detail34convert_binary_result_type_wrapperINS9_3SumENS9_22TransformInputIteratorIb7NonZeroIdEPdlEElEEEE10hipError_tPvRmT1_T2_T3_mT4_P12ihipStream_tbEUlT_E0_NS1_11comp_targetILNS1_3genE4ELNS1_11target_archE910ELNS1_3gpuE8ELNS1_3repE0EEENS1_30default_config_static_selectorELNS0_4arch9wavefront6targetE1EEEvSM_.has_indirect_call, 0
	.section	.AMDGPU.csdata,"",@progbits
; Kernel info:
; codeLenInByte = 0
; TotalNumSgprs: 6
; NumVgprs: 0
; NumAgprs: 0
; TotalNumVgprs: 0
; ScratchSize: 0
; MemoryBound: 0
; FloatMode: 240
; IeeeMode: 1
; LDSByteSize: 0 bytes/workgroup (compile time only)
; SGPRBlocks: 0
; VGPRBlocks: 0
; NumSGPRsForWavesPerEU: 6
; NumVGPRsForWavesPerEU: 1
; AccumOffset: 4
; Occupancy: 8
; WaveLimiterHint : 0
; COMPUTE_PGM_RSRC2:SCRATCH_EN: 0
; COMPUTE_PGM_RSRC2:USER_SGPR: 2
; COMPUTE_PGM_RSRC2:TRAP_HANDLER: 0
; COMPUTE_PGM_RSRC2:TGID_X_EN: 1
; COMPUTE_PGM_RSRC2:TGID_Y_EN: 0
; COMPUTE_PGM_RSRC2:TGID_Z_EN: 0
; COMPUTE_PGM_RSRC2:TIDIG_COMP_CNT: 0
; COMPUTE_PGM_RSRC3_GFX90A:ACCUM_OFFSET: 0
; COMPUTE_PGM_RSRC3_GFX90A:TG_SPLIT: 0
	.section	.text._ZN7rocprim17ROCPRIM_400000_NS6detail17trampoline_kernelINS0_14default_configENS1_22reduce_config_selectorIlEEZNS1_11reduce_implILb1ES3_PlS7_lN6hipcub16HIPCUB_304000_NS6detail34convert_binary_result_type_wrapperINS9_3SumENS9_22TransformInputIteratorIb7NonZeroIdEPdlEElEEEE10hipError_tPvRmT1_T2_T3_mT4_P12ihipStream_tbEUlT_E0_NS1_11comp_targetILNS1_3genE3ELNS1_11target_archE908ELNS1_3gpuE7ELNS1_3repE0EEENS1_30default_config_static_selectorELNS0_4arch9wavefront6targetE1EEEvSM_,"axG",@progbits,_ZN7rocprim17ROCPRIM_400000_NS6detail17trampoline_kernelINS0_14default_configENS1_22reduce_config_selectorIlEEZNS1_11reduce_implILb1ES3_PlS7_lN6hipcub16HIPCUB_304000_NS6detail34convert_binary_result_type_wrapperINS9_3SumENS9_22TransformInputIteratorIb7NonZeroIdEPdlEElEEEE10hipError_tPvRmT1_T2_T3_mT4_P12ihipStream_tbEUlT_E0_NS1_11comp_targetILNS1_3genE3ELNS1_11target_archE908ELNS1_3gpuE7ELNS1_3repE0EEENS1_30default_config_static_selectorELNS0_4arch9wavefront6targetE1EEEvSM_,comdat
	.protected	_ZN7rocprim17ROCPRIM_400000_NS6detail17trampoline_kernelINS0_14default_configENS1_22reduce_config_selectorIlEEZNS1_11reduce_implILb1ES3_PlS7_lN6hipcub16HIPCUB_304000_NS6detail34convert_binary_result_type_wrapperINS9_3SumENS9_22TransformInputIteratorIb7NonZeroIdEPdlEElEEEE10hipError_tPvRmT1_T2_T3_mT4_P12ihipStream_tbEUlT_E0_NS1_11comp_targetILNS1_3genE3ELNS1_11target_archE908ELNS1_3gpuE7ELNS1_3repE0EEENS1_30default_config_static_selectorELNS0_4arch9wavefront6targetE1EEEvSM_ ; -- Begin function _ZN7rocprim17ROCPRIM_400000_NS6detail17trampoline_kernelINS0_14default_configENS1_22reduce_config_selectorIlEEZNS1_11reduce_implILb1ES3_PlS7_lN6hipcub16HIPCUB_304000_NS6detail34convert_binary_result_type_wrapperINS9_3SumENS9_22TransformInputIteratorIb7NonZeroIdEPdlEElEEEE10hipError_tPvRmT1_T2_T3_mT4_P12ihipStream_tbEUlT_E0_NS1_11comp_targetILNS1_3genE3ELNS1_11target_archE908ELNS1_3gpuE7ELNS1_3repE0EEENS1_30default_config_static_selectorELNS0_4arch9wavefront6targetE1EEEvSM_
	.globl	_ZN7rocprim17ROCPRIM_400000_NS6detail17trampoline_kernelINS0_14default_configENS1_22reduce_config_selectorIlEEZNS1_11reduce_implILb1ES3_PlS7_lN6hipcub16HIPCUB_304000_NS6detail34convert_binary_result_type_wrapperINS9_3SumENS9_22TransformInputIteratorIb7NonZeroIdEPdlEElEEEE10hipError_tPvRmT1_T2_T3_mT4_P12ihipStream_tbEUlT_E0_NS1_11comp_targetILNS1_3genE3ELNS1_11target_archE908ELNS1_3gpuE7ELNS1_3repE0EEENS1_30default_config_static_selectorELNS0_4arch9wavefront6targetE1EEEvSM_
	.p2align	8
	.type	_ZN7rocprim17ROCPRIM_400000_NS6detail17trampoline_kernelINS0_14default_configENS1_22reduce_config_selectorIlEEZNS1_11reduce_implILb1ES3_PlS7_lN6hipcub16HIPCUB_304000_NS6detail34convert_binary_result_type_wrapperINS9_3SumENS9_22TransformInputIteratorIb7NonZeroIdEPdlEElEEEE10hipError_tPvRmT1_T2_T3_mT4_P12ihipStream_tbEUlT_E0_NS1_11comp_targetILNS1_3genE3ELNS1_11target_archE908ELNS1_3gpuE7ELNS1_3repE0EEENS1_30default_config_static_selectorELNS0_4arch9wavefront6targetE1EEEvSM_,@function
_ZN7rocprim17ROCPRIM_400000_NS6detail17trampoline_kernelINS0_14default_configENS1_22reduce_config_selectorIlEEZNS1_11reduce_implILb1ES3_PlS7_lN6hipcub16HIPCUB_304000_NS6detail34convert_binary_result_type_wrapperINS9_3SumENS9_22TransformInputIteratorIb7NonZeroIdEPdlEElEEEE10hipError_tPvRmT1_T2_T3_mT4_P12ihipStream_tbEUlT_E0_NS1_11comp_targetILNS1_3genE3ELNS1_11target_archE908ELNS1_3gpuE7ELNS1_3repE0EEENS1_30default_config_static_selectorELNS0_4arch9wavefront6targetE1EEEvSM_: ; @_ZN7rocprim17ROCPRIM_400000_NS6detail17trampoline_kernelINS0_14default_configENS1_22reduce_config_selectorIlEEZNS1_11reduce_implILb1ES3_PlS7_lN6hipcub16HIPCUB_304000_NS6detail34convert_binary_result_type_wrapperINS9_3SumENS9_22TransformInputIteratorIb7NonZeroIdEPdlEElEEEE10hipError_tPvRmT1_T2_T3_mT4_P12ihipStream_tbEUlT_E0_NS1_11comp_targetILNS1_3genE3ELNS1_11target_archE908ELNS1_3gpuE7ELNS1_3repE0EEENS1_30default_config_static_selectorELNS0_4arch9wavefront6targetE1EEEvSM_
; %bb.0:
	.section	.rodata,"a",@progbits
	.p2align	6, 0x0
	.amdhsa_kernel _ZN7rocprim17ROCPRIM_400000_NS6detail17trampoline_kernelINS0_14default_configENS1_22reduce_config_selectorIlEEZNS1_11reduce_implILb1ES3_PlS7_lN6hipcub16HIPCUB_304000_NS6detail34convert_binary_result_type_wrapperINS9_3SumENS9_22TransformInputIteratorIb7NonZeroIdEPdlEElEEEE10hipError_tPvRmT1_T2_T3_mT4_P12ihipStream_tbEUlT_E0_NS1_11comp_targetILNS1_3genE3ELNS1_11target_archE908ELNS1_3gpuE7ELNS1_3repE0EEENS1_30default_config_static_selectorELNS0_4arch9wavefront6targetE1EEEvSM_
		.amdhsa_group_segment_fixed_size 0
		.amdhsa_private_segment_fixed_size 0
		.amdhsa_kernarg_size 64
		.amdhsa_user_sgpr_count 2
		.amdhsa_user_sgpr_dispatch_ptr 0
		.amdhsa_user_sgpr_queue_ptr 0
		.amdhsa_user_sgpr_kernarg_segment_ptr 1
		.amdhsa_user_sgpr_dispatch_id 0
		.amdhsa_user_sgpr_kernarg_preload_length 0
		.amdhsa_user_sgpr_kernarg_preload_offset 0
		.amdhsa_user_sgpr_private_segment_size 0
		.amdhsa_uses_dynamic_stack 0
		.amdhsa_enable_private_segment 0
		.amdhsa_system_sgpr_workgroup_id_x 1
		.amdhsa_system_sgpr_workgroup_id_y 0
		.amdhsa_system_sgpr_workgroup_id_z 0
		.amdhsa_system_sgpr_workgroup_info 0
		.amdhsa_system_vgpr_workitem_id 0
		.amdhsa_next_free_vgpr 1
		.amdhsa_next_free_sgpr 0
		.amdhsa_accum_offset 4
		.amdhsa_reserve_vcc 0
		.amdhsa_float_round_mode_32 0
		.amdhsa_float_round_mode_16_64 0
		.amdhsa_float_denorm_mode_32 3
		.amdhsa_float_denorm_mode_16_64 3
		.amdhsa_dx10_clamp 1
		.amdhsa_ieee_mode 1
		.amdhsa_fp16_overflow 0
		.amdhsa_tg_split 0
		.amdhsa_exception_fp_ieee_invalid_op 0
		.amdhsa_exception_fp_denorm_src 0
		.amdhsa_exception_fp_ieee_div_zero 0
		.amdhsa_exception_fp_ieee_overflow 0
		.amdhsa_exception_fp_ieee_underflow 0
		.amdhsa_exception_fp_ieee_inexact 0
		.amdhsa_exception_int_div_zero 0
	.end_amdhsa_kernel
	.section	.text._ZN7rocprim17ROCPRIM_400000_NS6detail17trampoline_kernelINS0_14default_configENS1_22reduce_config_selectorIlEEZNS1_11reduce_implILb1ES3_PlS7_lN6hipcub16HIPCUB_304000_NS6detail34convert_binary_result_type_wrapperINS9_3SumENS9_22TransformInputIteratorIb7NonZeroIdEPdlEElEEEE10hipError_tPvRmT1_T2_T3_mT4_P12ihipStream_tbEUlT_E0_NS1_11comp_targetILNS1_3genE3ELNS1_11target_archE908ELNS1_3gpuE7ELNS1_3repE0EEENS1_30default_config_static_selectorELNS0_4arch9wavefront6targetE1EEEvSM_,"axG",@progbits,_ZN7rocprim17ROCPRIM_400000_NS6detail17trampoline_kernelINS0_14default_configENS1_22reduce_config_selectorIlEEZNS1_11reduce_implILb1ES3_PlS7_lN6hipcub16HIPCUB_304000_NS6detail34convert_binary_result_type_wrapperINS9_3SumENS9_22TransformInputIteratorIb7NonZeroIdEPdlEElEEEE10hipError_tPvRmT1_T2_T3_mT4_P12ihipStream_tbEUlT_E0_NS1_11comp_targetILNS1_3genE3ELNS1_11target_archE908ELNS1_3gpuE7ELNS1_3repE0EEENS1_30default_config_static_selectorELNS0_4arch9wavefront6targetE1EEEvSM_,comdat
.Lfunc_end288:
	.size	_ZN7rocprim17ROCPRIM_400000_NS6detail17trampoline_kernelINS0_14default_configENS1_22reduce_config_selectorIlEEZNS1_11reduce_implILb1ES3_PlS7_lN6hipcub16HIPCUB_304000_NS6detail34convert_binary_result_type_wrapperINS9_3SumENS9_22TransformInputIteratorIb7NonZeroIdEPdlEElEEEE10hipError_tPvRmT1_T2_T3_mT4_P12ihipStream_tbEUlT_E0_NS1_11comp_targetILNS1_3genE3ELNS1_11target_archE908ELNS1_3gpuE7ELNS1_3repE0EEENS1_30default_config_static_selectorELNS0_4arch9wavefront6targetE1EEEvSM_, .Lfunc_end288-_ZN7rocprim17ROCPRIM_400000_NS6detail17trampoline_kernelINS0_14default_configENS1_22reduce_config_selectorIlEEZNS1_11reduce_implILb1ES3_PlS7_lN6hipcub16HIPCUB_304000_NS6detail34convert_binary_result_type_wrapperINS9_3SumENS9_22TransformInputIteratorIb7NonZeroIdEPdlEElEEEE10hipError_tPvRmT1_T2_T3_mT4_P12ihipStream_tbEUlT_E0_NS1_11comp_targetILNS1_3genE3ELNS1_11target_archE908ELNS1_3gpuE7ELNS1_3repE0EEENS1_30default_config_static_selectorELNS0_4arch9wavefront6targetE1EEEvSM_
                                        ; -- End function
	.set _ZN7rocprim17ROCPRIM_400000_NS6detail17trampoline_kernelINS0_14default_configENS1_22reduce_config_selectorIlEEZNS1_11reduce_implILb1ES3_PlS7_lN6hipcub16HIPCUB_304000_NS6detail34convert_binary_result_type_wrapperINS9_3SumENS9_22TransformInputIteratorIb7NonZeroIdEPdlEElEEEE10hipError_tPvRmT1_T2_T3_mT4_P12ihipStream_tbEUlT_E0_NS1_11comp_targetILNS1_3genE3ELNS1_11target_archE908ELNS1_3gpuE7ELNS1_3repE0EEENS1_30default_config_static_selectorELNS0_4arch9wavefront6targetE1EEEvSM_.num_vgpr, 0
	.set _ZN7rocprim17ROCPRIM_400000_NS6detail17trampoline_kernelINS0_14default_configENS1_22reduce_config_selectorIlEEZNS1_11reduce_implILb1ES3_PlS7_lN6hipcub16HIPCUB_304000_NS6detail34convert_binary_result_type_wrapperINS9_3SumENS9_22TransformInputIteratorIb7NonZeroIdEPdlEElEEEE10hipError_tPvRmT1_T2_T3_mT4_P12ihipStream_tbEUlT_E0_NS1_11comp_targetILNS1_3genE3ELNS1_11target_archE908ELNS1_3gpuE7ELNS1_3repE0EEENS1_30default_config_static_selectorELNS0_4arch9wavefront6targetE1EEEvSM_.num_agpr, 0
	.set _ZN7rocprim17ROCPRIM_400000_NS6detail17trampoline_kernelINS0_14default_configENS1_22reduce_config_selectorIlEEZNS1_11reduce_implILb1ES3_PlS7_lN6hipcub16HIPCUB_304000_NS6detail34convert_binary_result_type_wrapperINS9_3SumENS9_22TransformInputIteratorIb7NonZeroIdEPdlEElEEEE10hipError_tPvRmT1_T2_T3_mT4_P12ihipStream_tbEUlT_E0_NS1_11comp_targetILNS1_3genE3ELNS1_11target_archE908ELNS1_3gpuE7ELNS1_3repE0EEENS1_30default_config_static_selectorELNS0_4arch9wavefront6targetE1EEEvSM_.numbered_sgpr, 0
	.set _ZN7rocprim17ROCPRIM_400000_NS6detail17trampoline_kernelINS0_14default_configENS1_22reduce_config_selectorIlEEZNS1_11reduce_implILb1ES3_PlS7_lN6hipcub16HIPCUB_304000_NS6detail34convert_binary_result_type_wrapperINS9_3SumENS9_22TransformInputIteratorIb7NonZeroIdEPdlEElEEEE10hipError_tPvRmT1_T2_T3_mT4_P12ihipStream_tbEUlT_E0_NS1_11comp_targetILNS1_3genE3ELNS1_11target_archE908ELNS1_3gpuE7ELNS1_3repE0EEENS1_30default_config_static_selectorELNS0_4arch9wavefront6targetE1EEEvSM_.num_named_barrier, 0
	.set _ZN7rocprim17ROCPRIM_400000_NS6detail17trampoline_kernelINS0_14default_configENS1_22reduce_config_selectorIlEEZNS1_11reduce_implILb1ES3_PlS7_lN6hipcub16HIPCUB_304000_NS6detail34convert_binary_result_type_wrapperINS9_3SumENS9_22TransformInputIteratorIb7NonZeroIdEPdlEElEEEE10hipError_tPvRmT1_T2_T3_mT4_P12ihipStream_tbEUlT_E0_NS1_11comp_targetILNS1_3genE3ELNS1_11target_archE908ELNS1_3gpuE7ELNS1_3repE0EEENS1_30default_config_static_selectorELNS0_4arch9wavefront6targetE1EEEvSM_.private_seg_size, 0
	.set _ZN7rocprim17ROCPRIM_400000_NS6detail17trampoline_kernelINS0_14default_configENS1_22reduce_config_selectorIlEEZNS1_11reduce_implILb1ES3_PlS7_lN6hipcub16HIPCUB_304000_NS6detail34convert_binary_result_type_wrapperINS9_3SumENS9_22TransformInputIteratorIb7NonZeroIdEPdlEElEEEE10hipError_tPvRmT1_T2_T3_mT4_P12ihipStream_tbEUlT_E0_NS1_11comp_targetILNS1_3genE3ELNS1_11target_archE908ELNS1_3gpuE7ELNS1_3repE0EEENS1_30default_config_static_selectorELNS0_4arch9wavefront6targetE1EEEvSM_.uses_vcc, 0
	.set _ZN7rocprim17ROCPRIM_400000_NS6detail17trampoline_kernelINS0_14default_configENS1_22reduce_config_selectorIlEEZNS1_11reduce_implILb1ES3_PlS7_lN6hipcub16HIPCUB_304000_NS6detail34convert_binary_result_type_wrapperINS9_3SumENS9_22TransformInputIteratorIb7NonZeroIdEPdlEElEEEE10hipError_tPvRmT1_T2_T3_mT4_P12ihipStream_tbEUlT_E0_NS1_11comp_targetILNS1_3genE3ELNS1_11target_archE908ELNS1_3gpuE7ELNS1_3repE0EEENS1_30default_config_static_selectorELNS0_4arch9wavefront6targetE1EEEvSM_.uses_flat_scratch, 0
	.set _ZN7rocprim17ROCPRIM_400000_NS6detail17trampoline_kernelINS0_14default_configENS1_22reduce_config_selectorIlEEZNS1_11reduce_implILb1ES3_PlS7_lN6hipcub16HIPCUB_304000_NS6detail34convert_binary_result_type_wrapperINS9_3SumENS9_22TransformInputIteratorIb7NonZeroIdEPdlEElEEEE10hipError_tPvRmT1_T2_T3_mT4_P12ihipStream_tbEUlT_E0_NS1_11comp_targetILNS1_3genE3ELNS1_11target_archE908ELNS1_3gpuE7ELNS1_3repE0EEENS1_30default_config_static_selectorELNS0_4arch9wavefront6targetE1EEEvSM_.has_dyn_sized_stack, 0
	.set _ZN7rocprim17ROCPRIM_400000_NS6detail17trampoline_kernelINS0_14default_configENS1_22reduce_config_selectorIlEEZNS1_11reduce_implILb1ES3_PlS7_lN6hipcub16HIPCUB_304000_NS6detail34convert_binary_result_type_wrapperINS9_3SumENS9_22TransformInputIteratorIb7NonZeroIdEPdlEElEEEE10hipError_tPvRmT1_T2_T3_mT4_P12ihipStream_tbEUlT_E0_NS1_11comp_targetILNS1_3genE3ELNS1_11target_archE908ELNS1_3gpuE7ELNS1_3repE0EEENS1_30default_config_static_selectorELNS0_4arch9wavefront6targetE1EEEvSM_.has_recursion, 0
	.set _ZN7rocprim17ROCPRIM_400000_NS6detail17trampoline_kernelINS0_14default_configENS1_22reduce_config_selectorIlEEZNS1_11reduce_implILb1ES3_PlS7_lN6hipcub16HIPCUB_304000_NS6detail34convert_binary_result_type_wrapperINS9_3SumENS9_22TransformInputIteratorIb7NonZeroIdEPdlEElEEEE10hipError_tPvRmT1_T2_T3_mT4_P12ihipStream_tbEUlT_E0_NS1_11comp_targetILNS1_3genE3ELNS1_11target_archE908ELNS1_3gpuE7ELNS1_3repE0EEENS1_30default_config_static_selectorELNS0_4arch9wavefront6targetE1EEEvSM_.has_indirect_call, 0
	.section	.AMDGPU.csdata,"",@progbits
; Kernel info:
; codeLenInByte = 0
; TotalNumSgprs: 6
; NumVgprs: 0
; NumAgprs: 0
; TotalNumVgprs: 0
; ScratchSize: 0
; MemoryBound: 0
; FloatMode: 240
; IeeeMode: 1
; LDSByteSize: 0 bytes/workgroup (compile time only)
; SGPRBlocks: 0
; VGPRBlocks: 0
; NumSGPRsForWavesPerEU: 6
; NumVGPRsForWavesPerEU: 1
; AccumOffset: 4
; Occupancy: 8
; WaveLimiterHint : 0
; COMPUTE_PGM_RSRC2:SCRATCH_EN: 0
; COMPUTE_PGM_RSRC2:USER_SGPR: 2
; COMPUTE_PGM_RSRC2:TRAP_HANDLER: 0
; COMPUTE_PGM_RSRC2:TGID_X_EN: 1
; COMPUTE_PGM_RSRC2:TGID_Y_EN: 0
; COMPUTE_PGM_RSRC2:TGID_Z_EN: 0
; COMPUTE_PGM_RSRC2:TIDIG_COMP_CNT: 0
; COMPUTE_PGM_RSRC3_GFX90A:ACCUM_OFFSET: 0
; COMPUTE_PGM_RSRC3_GFX90A:TG_SPLIT: 0
	.section	.text._ZN7rocprim17ROCPRIM_400000_NS6detail17trampoline_kernelINS0_14default_configENS1_22reduce_config_selectorIlEEZNS1_11reduce_implILb1ES3_PlS7_lN6hipcub16HIPCUB_304000_NS6detail34convert_binary_result_type_wrapperINS9_3SumENS9_22TransformInputIteratorIb7NonZeroIdEPdlEElEEEE10hipError_tPvRmT1_T2_T3_mT4_P12ihipStream_tbEUlT_E0_NS1_11comp_targetILNS1_3genE2ELNS1_11target_archE906ELNS1_3gpuE6ELNS1_3repE0EEENS1_30default_config_static_selectorELNS0_4arch9wavefront6targetE1EEEvSM_,"axG",@progbits,_ZN7rocprim17ROCPRIM_400000_NS6detail17trampoline_kernelINS0_14default_configENS1_22reduce_config_selectorIlEEZNS1_11reduce_implILb1ES3_PlS7_lN6hipcub16HIPCUB_304000_NS6detail34convert_binary_result_type_wrapperINS9_3SumENS9_22TransformInputIteratorIb7NonZeroIdEPdlEElEEEE10hipError_tPvRmT1_T2_T3_mT4_P12ihipStream_tbEUlT_E0_NS1_11comp_targetILNS1_3genE2ELNS1_11target_archE906ELNS1_3gpuE6ELNS1_3repE0EEENS1_30default_config_static_selectorELNS0_4arch9wavefront6targetE1EEEvSM_,comdat
	.protected	_ZN7rocprim17ROCPRIM_400000_NS6detail17trampoline_kernelINS0_14default_configENS1_22reduce_config_selectorIlEEZNS1_11reduce_implILb1ES3_PlS7_lN6hipcub16HIPCUB_304000_NS6detail34convert_binary_result_type_wrapperINS9_3SumENS9_22TransformInputIteratorIb7NonZeroIdEPdlEElEEEE10hipError_tPvRmT1_T2_T3_mT4_P12ihipStream_tbEUlT_E0_NS1_11comp_targetILNS1_3genE2ELNS1_11target_archE906ELNS1_3gpuE6ELNS1_3repE0EEENS1_30default_config_static_selectorELNS0_4arch9wavefront6targetE1EEEvSM_ ; -- Begin function _ZN7rocprim17ROCPRIM_400000_NS6detail17trampoline_kernelINS0_14default_configENS1_22reduce_config_selectorIlEEZNS1_11reduce_implILb1ES3_PlS7_lN6hipcub16HIPCUB_304000_NS6detail34convert_binary_result_type_wrapperINS9_3SumENS9_22TransformInputIteratorIb7NonZeroIdEPdlEElEEEE10hipError_tPvRmT1_T2_T3_mT4_P12ihipStream_tbEUlT_E0_NS1_11comp_targetILNS1_3genE2ELNS1_11target_archE906ELNS1_3gpuE6ELNS1_3repE0EEENS1_30default_config_static_selectorELNS0_4arch9wavefront6targetE1EEEvSM_
	.globl	_ZN7rocprim17ROCPRIM_400000_NS6detail17trampoline_kernelINS0_14default_configENS1_22reduce_config_selectorIlEEZNS1_11reduce_implILb1ES3_PlS7_lN6hipcub16HIPCUB_304000_NS6detail34convert_binary_result_type_wrapperINS9_3SumENS9_22TransformInputIteratorIb7NonZeroIdEPdlEElEEEE10hipError_tPvRmT1_T2_T3_mT4_P12ihipStream_tbEUlT_E0_NS1_11comp_targetILNS1_3genE2ELNS1_11target_archE906ELNS1_3gpuE6ELNS1_3repE0EEENS1_30default_config_static_selectorELNS0_4arch9wavefront6targetE1EEEvSM_
	.p2align	8
	.type	_ZN7rocprim17ROCPRIM_400000_NS6detail17trampoline_kernelINS0_14default_configENS1_22reduce_config_selectorIlEEZNS1_11reduce_implILb1ES3_PlS7_lN6hipcub16HIPCUB_304000_NS6detail34convert_binary_result_type_wrapperINS9_3SumENS9_22TransformInputIteratorIb7NonZeroIdEPdlEElEEEE10hipError_tPvRmT1_T2_T3_mT4_P12ihipStream_tbEUlT_E0_NS1_11comp_targetILNS1_3genE2ELNS1_11target_archE906ELNS1_3gpuE6ELNS1_3repE0EEENS1_30default_config_static_selectorELNS0_4arch9wavefront6targetE1EEEvSM_,@function
_ZN7rocprim17ROCPRIM_400000_NS6detail17trampoline_kernelINS0_14default_configENS1_22reduce_config_selectorIlEEZNS1_11reduce_implILb1ES3_PlS7_lN6hipcub16HIPCUB_304000_NS6detail34convert_binary_result_type_wrapperINS9_3SumENS9_22TransformInputIteratorIb7NonZeroIdEPdlEElEEEE10hipError_tPvRmT1_T2_T3_mT4_P12ihipStream_tbEUlT_E0_NS1_11comp_targetILNS1_3genE2ELNS1_11target_archE906ELNS1_3gpuE6ELNS1_3repE0EEENS1_30default_config_static_selectorELNS0_4arch9wavefront6targetE1EEEvSM_: ; @_ZN7rocprim17ROCPRIM_400000_NS6detail17trampoline_kernelINS0_14default_configENS1_22reduce_config_selectorIlEEZNS1_11reduce_implILb1ES3_PlS7_lN6hipcub16HIPCUB_304000_NS6detail34convert_binary_result_type_wrapperINS9_3SumENS9_22TransformInputIteratorIb7NonZeroIdEPdlEElEEEE10hipError_tPvRmT1_T2_T3_mT4_P12ihipStream_tbEUlT_E0_NS1_11comp_targetILNS1_3genE2ELNS1_11target_archE906ELNS1_3gpuE6ELNS1_3repE0EEENS1_30default_config_static_selectorELNS0_4arch9wavefront6targetE1EEEvSM_
; %bb.0:
	.section	.rodata,"a",@progbits
	.p2align	6, 0x0
	.amdhsa_kernel _ZN7rocprim17ROCPRIM_400000_NS6detail17trampoline_kernelINS0_14default_configENS1_22reduce_config_selectorIlEEZNS1_11reduce_implILb1ES3_PlS7_lN6hipcub16HIPCUB_304000_NS6detail34convert_binary_result_type_wrapperINS9_3SumENS9_22TransformInputIteratorIb7NonZeroIdEPdlEElEEEE10hipError_tPvRmT1_T2_T3_mT4_P12ihipStream_tbEUlT_E0_NS1_11comp_targetILNS1_3genE2ELNS1_11target_archE906ELNS1_3gpuE6ELNS1_3repE0EEENS1_30default_config_static_selectorELNS0_4arch9wavefront6targetE1EEEvSM_
		.amdhsa_group_segment_fixed_size 0
		.amdhsa_private_segment_fixed_size 0
		.amdhsa_kernarg_size 64
		.amdhsa_user_sgpr_count 2
		.amdhsa_user_sgpr_dispatch_ptr 0
		.amdhsa_user_sgpr_queue_ptr 0
		.amdhsa_user_sgpr_kernarg_segment_ptr 1
		.amdhsa_user_sgpr_dispatch_id 0
		.amdhsa_user_sgpr_kernarg_preload_length 0
		.amdhsa_user_sgpr_kernarg_preload_offset 0
		.amdhsa_user_sgpr_private_segment_size 0
		.amdhsa_uses_dynamic_stack 0
		.amdhsa_enable_private_segment 0
		.amdhsa_system_sgpr_workgroup_id_x 1
		.amdhsa_system_sgpr_workgroup_id_y 0
		.amdhsa_system_sgpr_workgroup_id_z 0
		.amdhsa_system_sgpr_workgroup_info 0
		.amdhsa_system_vgpr_workitem_id 0
		.amdhsa_next_free_vgpr 1
		.amdhsa_next_free_sgpr 0
		.amdhsa_accum_offset 4
		.amdhsa_reserve_vcc 0
		.amdhsa_float_round_mode_32 0
		.amdhsa_float_round_mode_16_64 0
		.amdhsa_float_denorm_mode_32 3
		.amdhsa_float_denorm_mode_16_64 3
		.amdhsa_dx10_clamp 1
		.amdhsa_ieee_mode 1
		.amdhsa_fp16_overflow 0
		.amdhsa_tg_split 0
		.amdhsa_exception_fp_ieee_invalid_op 0
		.amdhsa_exception_fp_denorm_src 0
		.amdhsa_exception_fp_ieee_div_zero 0
		.amdhsa_exception_fp_ieee_overflow 0
		.amdhsa_exception_fp_ieee_underflow 0
		.amdhsa_exception_fp_ieee_inexact 0
		.amdhsa_exception_int_div_zero 0
	.end_amdhsa_kernel
	.section	.text._ZN7rocprim17ROCPRIM_400000_NS6detail17trampoline_kernelINS0_14default_configENS1_22reduce_config_selectorIlEEZNS1_11reduce_implILb1ES3_PlS7_lN6hipcub16HIPCUB_304000_NS6detail34convert_binary_result_type_wrapperINS9_3SumENS9_22TransformInputIteratorIb7NonZeroIdEPdlEElEEEE10hipError_tPvRmT1_T2_T3_mT4_P12ihipStream_tbEUlT_E0_NS1_11comp_targetILNS1_3genE2ELNS1_11target_archE906ELNS1_3gpuE6ELNS1_3repE0EEENS1_30default_config_static_selectorELNS0_4arch9wavefront6targetE1EEEvSM_,"axG",@progbits,_ZN7rocprim17ROCPRIM_400000_NS6detail17trampoline_kernelINS0_14default_configENS1_22reduce_config_selectorIlEEZNS1_11reduce_implILb1ES3_PlS7_lN6hipcub16HIPCUB_304000_NS6detail34convert_binary_result_type_wrapperINS9_3SumENS9_22TransformInputIteratorIb7NonZeroIdEPdlEElEEEE10hipError_tPvRmT1_T2_T3_mT4_P12ihipStream_tbEUlT_E0_NS1_11comp_targetILNS1_3genE2ELNS1_11target_archE906ELNS1_3gpuE6ELNS1_3repE0EEENS1_30default_config_static_selectorELNS0_4arch9wavefront6targetE1EEEvSM_,comdat
.Lfunc_end289:
	.size	_ZN7rocprim17ROCPRIM_400000_NS6detail17trampoline_kernelINS0_14default_configENS1_22reduce_config_selectorIlEEZNS1_11reduce_implILb1ES3_PlS7_lN6hipcub16HIPCUB_304000_NS6detail34convert_binary_result_type_wrapperINS9_3SumENS9_22TransformInputIteratorIb7NonZeroIdEPdlEElEEEE10hipError_tPvRmT1_T2_T3_mT4_P12ihipStream_tbEUlT_E0_NS1_11comp_targetILNS1_3genE2ELNS1_11target_archE906ELNS1_3gpuE6ELNS1_3repE0EEENS1_30default_config_static_selectorELNS0_4arch9wavefront6targetE1EEEvSM_, .Lfunc_end289-_ZN7rocprim17ROCPRIM_400000_NS6detail17trampoline_kernelINS0_14default_configENS1_22reduce_config_selectorIlEEZNS1_11reduce_implILb1ES3_PlS7_lN6hipcub16HIPCUB_304000_NS6detail34convert_binary_result_type_wrapperINS9_3SumENS9_22TransformInputIteratorIb7NonZeroIdEPdlEElEEEE10hipError_tPvRmT1_T2_T3_mT4_P12ihipStream_tbEUlT_E0_NS1_11comp_targetILNS1_3genE2ELNS1_11target_archE906ELNS1_3gpuE6ELNS1_3repE0EEENS1_30default_config_static_selectorELNS0_4arch9wavefront6targetE1EEEvSM_
                                        ; -- End function
	.set _ZN7rocprim17ROCPRIM_400000_NS6detail17trampoline_kernelINS0_14default_configENS1_22reduce_config_selectorIlEEZNS1_11reduce_implILb1ES3_PlS7_lN6hipcub16HIPCUB_304000_NS6detail34convert_binary_result_type_wrapperINS9_3SumENS9_22TransformInputIteratorIb7NonZeroIdEPdlEElEEEE10hipError_tPvRmT1_T2_T3_mT4_P12ihipStream_tbEUlT_E0_NS1_11comp_targetILNS1_3genE2ELNS1_11target_archE906ELNS1_3gpuE6ELNS1_3repE0EEENS1_30default_config_static_selectorELNS0_4arch9wavefront6targetE1EEEvSM_.num_vgpr, 0
	.set _ZN7rocprim17ROCPRIM_400000_NS6detail17trampoline_kernelINS0_14default_configENS1_22reduce_config_selectorIlEEZNS1_11reduce_implILb1ES3_PlS7_lN6hipcub16HIPCUB_304000_NS6detail34convert_binary_result_type_wrapperINS9_3SumENS9_22TransformInputIteratorIb7NonZeroIdEPdlEElEEEE10hipError_tPvRmT1_T2_T3_mT4_P12ihipStream_tbEUlT_E0_NS1_11comp_targetILNS1_3genE2ELNS1_11target_archE906ELNS1_3gpuE6ELNS1_3repE0EEENS1_30default_config_static_selectorELNS0_4arch9wavefront6targetE1EEEvSM_.num_agpr, 0
	.set _ZN7rocprim17ROCPRIM_400000_NS6detail17trampoline_kernelINS0_14default_configENS1_22reduce_config_selectorIlEEZNS1_11reduce_implILb1ES3_PlS7_lN6hipcub16HIPCUB_304000_NS6detail34convert_binary_result_type_wrapperINS9_3SumENS9_22TransformInputIteratorIb7NonZeroIdEPdlEElEEEE10hipError_tPvRmT1_T2_T3_mT4_P12ihipStream_tbEUlT_E0_NS1_11comp_targetILNS1_3genE2ELNS1_11target_archE906ELNS1_3gpuE6ELNS1_3repE0EEENS1_30default_config_static_selectorELNS0_4arch9wavefront6targetE1EEEvSM_.numbered_sgpr, 0
	.set _ZN7rocprim17ROCPRIM_400000_NS6detail17trampoline_kernelINS0_14default_configENS1_22reduce_config_selectorIlEEZNS1_11reduce_implILb1ES3_PlS7_lN6hipcub16HIPCUB_304000_NS6detail34convert_binary_result_type_wrapperINS9_3SumENS9_22TransformInputIteratorIb7NonZeroIdEPdlEElEEEE10hipError_tPvRmT1_T2_T3_mT4_P12ihipStream_tbEUlT_E0_NS1_11comp_targetILNS1_3genE2ELNS1_11target_archE906ELNS1_3gpuE6ELNS1_3repE0EEENS1_30default_config_static_selectorELNS0_4arch9wavefront6targetE1EEEvSM_.num_named_barrier, 0
	.set _ZN7rocprim17ROCPRIM_400000_NS6detail17trampoline_kernelINS0_14default_configENS1_22reduce_config_selectorIlEEZNS1_11reduce_implILb1ES3_PlS7_lN6hipcub16HIPCUB_304000_NS6detail34convert_binary_result_type_wrapperINS9_3SumENS9_22TransformInputIteratorIb7NonZeroIdEPdlEElEEEE10hipError_tPvRmT1_T2_T3_mT4_P12ihipStream_tbEUlT_E0_NS1_11comp_targetILNS1_3genE2ELNS1_11target_archE906ELNS1_3gpuE6ELNS1_3repE0EEENS1_30default_config_static_selectorELNS0_4arch9wavefront6targetE1EEEvSM_.private_seg_size, 0
	.set _ZN7rocprim17ROCPRIM_400000_NS6detail17trampoline_kernelINS0_14default_configENS1_22reduce_config_selectorIlEEZNS1_11reduce_implILb1ES3_PlS7_lN6hipcub16HIPCUB_304000_NS6detail34convert_binary_result_type_wrapperINS9_3SumENS9_22TransformInputIteratorIb7NonZeroIdEPdlEElEEEE10hipError_tPvRmT1_T2_T3_mT4_P12ihipStream_tbEUlT_E0_NS1_11comp_targetILNS1_3genE2ELNS1_11target_archE906ELNS1_3gpuE6ELNS1_3repE0EEENS1_30default_config_static_selectorELNS0_4arch9wavefront6targetE1EEEvSM_.uses_vcc, 0
	.set _ZN7rocprim17ROCPRIM_400000_NS6detail17trampoline_kernelINS0_14default_configENS1_22reduce_config_selectorIlEEZNS1_11reduce_implILb1ES3_PlS7_lN6hipcub16HIPCUB_304000_NS6detail34convert_binary_result_type_wrapperINS9_3SumENS9_22TransformInputIteratorIb7NonZeroIdEPdlEElEEEE10hipError_tPvRmT1_T2_T3_mT4_P12ihipStream_tbEUlT_E0_NS1_11comp_targetILNS1_3genE2ELNS1_11target_archE906ELNS1_3gpuE6ELNS1_3repE0EEENS1_30default_config_static_selectorELNS0_4arch9wavefront6targetE1EEEvSM_.uses_flat_scratch, 0
	.set _ZN7rocprim17ROCPRIM_400000_NS6detail17trampoline_kernelINS0_14default_configENS1_22reduce_config_selectorIlEEZNS1_11reduce_implILb1ES3_PlS7_lN6hipcub16HIPCUB_304000_NS6detail34convert_binary_result_type_wrapperINS9_3SumENS9_22TransformInputIteratorIb7NonZeroIdEPdlEElEEEE10hipError_tPvRmT1_T2_T3_mT4_P12ihipStream_tbEUlT_E0_NS1_11comp_targetILNS1_3genE2ELNS1_11target_archE906ELNS1_3gpuE6ELNS1_3repE0EEENS1_30default_config_static_selectorELNS0_4arch9wavefront6targetE1EEEvSM_.has_dyn_sized_stack, 0
	.set _ZN7rocprim17ROCPRIM_400000_NS6detail17trampoline_kernelINS0_14default_configENS1_22reduce_config_selectorIlEEZNS1_11reduce_implILb1ES3_PlS7_lN6hipcub16HIPCUB_304000_NS6detail34convert_binary_result_type_wrapperINS9_3SumENS9_22TransformInputIteratorIb7NonZeroIdEPdlEElEEEE10hipError_tPvRmT1_T2_T3_mT4_P12ihipStream_tbEUlT_E0_NS1_11comp_targetILNS1_3genE2ELNS1_11target_archE906ELNS1_3gpuE6ELNS1_3repE0EEENS1_30default_config_static_selectorELNS0_4arch9wavefront6targetE1EEEvSM_.has_recursion, 0
	.set _ZN7rocprim17ROCPRIM_400000_NS6detail17trampoline_kernelINS0_14default_configENS1_22reduce_config_selectorIlEEZNS1_11reduce_implILb1ES3_PlS7_lN6hipcub16HIPCUB_304000_NS6detail34convert_binary_result_type_wrapperINS9_3SumENS9_22TransformInputIteratorIb7NonZeroIdEPdlEElEEEE10hipError_tPvRmT1_T2_T3_mT4_P12ihipStream_tbEUlT_E0_NS1_11comp_targetILNS1_3genE2ELNS1_11target_archE906ELNS1_3gpuE6ELNS1_3repE0EEENS1_30default_config_static_selectorELNS0_4arch9wavefront6targetE1EEEvSM_.has_indirect_call, 0
	.section	.AMDGPU.csdata,"",@progbits
; Kernel info:
; codeLenInByte = 0
; TotalNumSgprs: 6
; NumVgprs: 0
; NumAgprs: 0
; TotalNumVgprs: 0
; ScratchSize: 0
; MemoryBound: 0
; FloatMode: 240
; IeeeMode: 1
; LDSByteSize: 0 bytes/workgroup (compile time only)
; SGPRBlocks: 0
; VGPRBlocks: 0
; NumSGPRsForWavesPerEU: 6
; NumVGPRsForWavesPerEU: 1
; AccumOffset: 4
; Occupancy: 8
; WaveLimiterHint : 0
; COMPUTE_PGM_RSRC2:SCRATCH_EN: 0
; COMPUTE_PGM_RSRC2:USER_SGPR: 2
; COMPUTE_PGM_RSRC2:TRAP_HANDLER: 0
; COMPUTE_PGM_RSRC2:TGID_X_EN: 1
; COMPUTE_PGM_RSRC2:TGID_Y_EN: 0
; COMPUTE_PGM_RSRC2:TGID_Z_EN: 0
; COMPUTE_PGM_RSRC2:TIDIG_COMP_CNT: 0
; COMPUTE_PGM_RSRC3_GFX90A:ACCUM_OFFSET: 0
; COMPUTE_PGM_RSRC3_GFX90A:TG_SPLIT: 0
	.section	.text._ZN7rocprim17ROCPRIM_400000_NS6detail17trampoline_kernelINS0_14default_configENS1_22reduce_config_selectorIlEEZNS1_11reduce_implILb1ES3_PlS7_lN6hipcub16HIPCUB_304000_NS6detail34convert_binary_result_type_wrapperINS9_3SumENS9_22TransformInputIteratorIb7NonZeroIdEPdlEElEEEE10hipError_tPvRmT1_T2_T3_mT4_P12ihipStream_tbEUlT_E0_NS1_11comp_targetILNS1_3genE10ELNS1_11target_archE1201ELNS1_3gpuE5ELNS1_3repE0EEENS1_30default_config_static_selectorELNS0_4arch9wavefront6targetE1EEEvSM_,"axG",@progbits,_ZN7rocprim17ROCPRIM_400000_NS6detail17trampoline_kernelINS0_14default_configENS1_22reduce_config_selectorIlEEZNS1_11reduce_implILb1ES3_PlS7_lN6hipcub16HIPCUB_304000_NS6detail34convert_binary_result_type_wrapperINS9_3SumENS9_22TransformInputIteratorIb7NonZeroIdEPdlEElEEEE10hipError_tPvRmT1_T2_T3_mT4_P12ihipStream_tbEUlT_E0_NS1_11comp_targetILNS1_3genE10ELNS1_11target_archE1201ELNS1_3gpuE5ELNS1_3repE0EEENS1_30default_config_static_selectorELNS0_4arch9wavefront6targetE1EEEvSM_,comdat
	.protected	_ZN7rocprim17ROCPRIM_400000_NS6detail17trampoline_kernelINS0_14default_configENS1_22reduce_config_selectorIlEEZNS1_11reduce_implILb1ES3_PlS7_lN6hipcub16HIPCUB_304000_NS6detail34convert_binary_result_type_wrapperINS9_3SumENS9_22TransformInputIteratorIb7NonZeroIdEPdlEElEEEE10hipError_tPvRmT1_T2_T3_mT4_P12ihipStream_tbEUlT_E0_NS1_11comp_targetILNS1_3genE10ELNS1_11target_archE1201ELNS1_3gpuE5ELNS1_3repE0EEENS1_30default_config_static_selectorELNS0_4arch9wavefront6targetE1EEEvSM_ ; -- Begin function _ZN7rocprim17ROCPRIM_400000_NS6detail17trampoline_kernelINS0_14default_configENS1_22reduce_config_selectorIlEEZNS1_11reduce_implILb1ES3_PlS7_lN6hipcub16HIPCUB_304000_NS6detail34convert_binary_result_type_wrapperINS9_3SumENS9_22TransformInputIteratorIb7NonZeroIdEPdlEElEEEE10hipError_tPvRmT1_T2_T3_mT4_P12ihipStream_tbEUlT_E0_NS1_11comp_targetILNS1_3genE10ELNS1_11target_archE1201ELNS1_3gpuE5ELNS1_3repE0EEENS1_30default_config_static_selectorELNS0_4arch9wavefront6targetE1EEEvSM_
	.globl	_ZN7rocprim17ROCPRIM_400000_NS6detail17trampoline_kernelINS0_14default_configENS1_22reduce_config_selectorIlEEZNS1_11reduce_implILb1ES3_PlS7_lN6hipcub16HIPCUB_304000_NS6detail34convert_binary_result_type_wrapperINS9_3SumENS9_22TransformInputIteratorIb7NonZeroIdEPdlEElEEEE10hipError_tPvRmT1_T2_T3_mT4_P12ihipStream_tbEUlT_E0_NS1_11comp_targetILNS1_3genE10ELNS1_11target_archE1201ELNS1_3gpuE5ELNS1_3repE0EEENS1_30default_config_static_selectorELNS0_4arch9wavefront6targetE1EEEvSM_
	.p2align	8
	.type	_ZN7rocprim17ROCPRIM_400000_NS6detail17trampoline_kernelINS0_14default_configENS1_22reduce_config_selectorIlEEZNS1_11reduce_implILb1ES3_PlS7_lN6hipcub16HIPCUB_304000_NS6detail34convert_binary_result_type_wrapperINS9_3SumENS9_22TransformInputIteratorIb7NonZeroIdEPdlEElEEEE10hipError_tPvRmT1_T2_T3_mT4_P12ihipStream_tbEUlT_E0_NS1_11comp_targetILNS1_3genE10ELNS1_11target_archE1201ELNS1_3gpuE5ELNS1_3repE0EEENS1_30default_config_static_selectorELNS0_4arch9wavefront6targetE1EEEvSM_,@function
_ZN7rocprim17ROCPRIM_400000_NS6detail17trampoline_kernelINS0_14default_configENS1_22reduce_config_selectorIlEEZNS1_11reduce_implILb1ES3_PlS7_lN6hipcub16HIPCUB_304000_NS6detail34convert_binary_result_type_wrapperINS9_3SumENS9_22TransformInputIteratorIb7NonZeroIdEPdlEElEEEE10hipError_tPvRmT1_T2_T3_mT4_P12ihipStream_tbEUlT_E0_NS1_11comp_targetILNS1_3genE10ELNS1_11target_archE1201ELNS1_3gpuE5ELNS1_3repE0EEENS1_30default_config_static_selectorELNS0_4arch9wavefront6targetE1EEEvSM_: ; @_ZN7rocprim17ROCPRIM_400000_NS6detail17trampoline_kernelINS0_14default_configENS1_22reduce_config_selectorIlEEZNS1_11reduce_implILb1ES3_PlS7_lN6hipcub16HIPCUB_304000_NS6detail34convert_binary_result_type_wrapperINS9_3SumENS9_22TransformInputIteratorIb7NonZeroIdEPdlEElEEEE10hipError_tPvRmT1_T2_T3_mT4_P12ihipStream_tbEUlT_E0_NS1_11comp_targetILNS1_3genE10ELNS1_11target_archE1201ELNS1_3gpuE5ELNS1_3repE0EEENS1_30default_config_static_selectorELNS0_4arch9wavefront6targetE1EEEvSM_
; %bb.0:
	.section	.rodata,"a",@progbits
	.p2align	6, 0x0
	.amdhsa_kernel _ZN7rocprim17ROCPRIM_400000_NS6detail17trampoline_kernelINS0_14default_configENS1_22reduce_config_selectorIlEEZNS1_11reduce_implILb1ES3_PlS7_lN6hipcub16HIPCUB_304000_NS6detail34convert_binary_result_type_wrapperINS9_3SumENS9_22TransformInputIteratorIb7NonZeroIdEPdlEElEEEE10hipError_tPvRmT1_T2_T3_mT4_P12ihipStream_tbEUlT_E0_NS1_11comp_targetILNS1_3genE10ELNS1_11target_archE1201ELNS1_3gpuE5ELNS1_3repE0EEENS1_30default_config_static_selectorELNS0_4arch9wavefront6targetE1EEEvSM_
		.amdhsa_group_segment_fixed_size 0
		.amdhsa_private_segment_fixed_size 0
		.amdhsa_kernarg_size 64
		.amdhsa_user_sgpr_count 2
		.amdhsa_user_sgpr_dispatch_ptr 0
		.amdhsa_user_sgpr_queue_ptr 0
		.amdhsa_user_sgpr_kernarg_segment_ptr 1
		.amdhsa_user_sgpr_dispatch_id 0
		.amdhsa_user_sgpr_kernarg_preload_length 0
		.amdhsa_user_sgpr_kernarg_preload_offset 0
		.amdhsa_user_sgpr_private_segment_size 0
		.amdhsa_uses_dynamic_stack 0
		.amdhsa_enable_private_segment 0
		.amdhsa_system_sgpr_workgroup_id_x 1
		.amdhsa_system_sgpr_workgroup_id_y 0
		.amdhsa_system_sgpr_workgroup_id_z 0
		.amdhsa_system_sgpr_workgroup_info 0
		.amdhsa_system_vgpr_workitem_id 0
		.amdhsa_next_free_vgpr 1
		.amdhsa_next_free_sgpr 0
		.amdhsa_accum_offset 4
		.amdhsa_reserve_vcc 0
		.amdhsa_float_round_mode_32 0
		.amdhsa_float_round_mode_16_64 0
		.amdhsa_float_denorm_mode_32 3
		.amdhsa_float_denorm_mode_16_64 3
		.amdhsa_dx10_clamp 1
		.amdhsa_ieee_mode 1
		.amdhsa_fp16_overflow 0
		.amdhsa_tg_split 0
		.amdhsa_exception_fp_ieee_invalid_op 0
		.amdhsa_exception_fp_denorm_src 0
		.amdhsa_exception_fp_ieee_div_zero 0
		.amdhsa_exception_fp_ieee_overflow 0
		.amdhsa_exception_fp_ieee_underflow 0
		.amdhsa_exception_fp_ieee_inexact 0
		.amdhsa_exception_int_div_zero 0
	.end_amdhsa_kernel
	.section	.text._ZN7rocprim17ROCPRIM_400000_NS6detail17trampoline_kernelINS0_14default_configENS1_22reduce_config_selectorIlEEZNS1_11reduce_implILb1ES3_PlS7_lN6hipcub16HIPCUB_304000_NS6detail34convert_binary_result_type_wrapperINS9_3SumENS9_22TransformInputIteratorIb7NonZeroIdEPdlEElEEEE10hipError_tPvRmT1_T2_T3_mT4_P12ihipStream_tbEUlT_E0_NS1_11comp_targetILNS1_3genE10ELNS1_11target_archE1201ELNS1_3gpuE5ELNS1_3repE0EEENS1_30default_config_static_selectorELNS0_4arch9wavefront6targetE1EEEvSM_,"axG",@progbits,_ZN7rocprim17ROCPRIM_400000_NS6detail17trampoline_kernelINS0_14default_configENS1_22reduce_config_selectorIlEEZNS1_11reduce_implILb1ES3_PlS7_lN6hipcub16HIPCUB_304000_NS6detail34convert_binary_result_type_wrapperINS9_3SumENS9_22TransformInputIteratorIb7NonZeroIdEPdlEElEEEE10hipError_tPvRmT1_T2_T3_mT4_P12ihipStream_tbEUlT_E0_NS1_11comp_targetILNS1_3genE10ELNS1_11target_archE1201ELNS1_3gpuE5ELNS1_3repE0EEENS1_30default_config_static_selectorELNS0_4arch9wavefront6targetE1EEEvSM_,comdat
.Lfunc_end290:
	.size	_ZN7rocprim17ROCPRIM_400000_NS6detail17trampoline_kernelINS0_14default_configENS1_22reduce_config_selectorIlEEZNS1_11reduce_implILb1ES3_PlS7_lN6hipcub16HIPCUB_304000_NS6detail34convert_binary_result_type_wrapperINS9_3SumENS9_22TransformInputIteratorIb7NonZeroIdEPdlEElEEEE10hipError_tPvRmT1_T2_T3_mT4_P12ihipStream_tbEUlT_E0_NS1_11comp_targetILNS1_3genE10ELNS1_11target_archE1201ELNS1_3gpuE5ELNS1_3repE0EEENS1_30default_config_static_selectorELNS0_4arch9wavefront6targetE1EEEvSM_, .Lfunc_end290-_ZN7rocprim17ROCPRIM_400000_NS6detail17trampoline_kernelINS0_14default_configENS1_22reduce_config_selectorIlEEZNS1_11reduce_implILb1ES3_PlS7_lN6hipcub16HIPCUB_304000_NS6detail34convert_binary_result_type_wrapperINS9_3SumENS9_22TransformInputIteratorIb7NonZeroIdEPdlEElEEEE10hipError_tPvRmT1_T2_T3_mT4_P12ihipStream_tbEUlT_E0_NS1_11comp_targetILNS1_3genE10ELNS1_11target_archE1201ELNS1_3gpuE5ELNS1_3repE0EEENS1_30default_config_static_selectorELNS0_4arch9wavefront6targetE1EEEvSM_
                                        ; -- End function
	.set _ZN7rocprim17ROCPRIM_400000_NS6detail17trampoline_kernelINS0_14default_configENS1_22reduce_config_selectorIlEEZNS1_11reduce_implILb1ES3_PlS7_lN6hipcub16HIPCUB_304000_NS6detail34convert_binary_result_type_wrapperINS9_3SumENS9_22TransformInputIteratorIb7NonZeroIdEPdlEElEEEE10hipError_tPvRmT1_T2_T3_mT4_P12ihipStream_tbEUlT_E0_NS1_11comp_targetILNS1_3genE10ELNS1_11target_archE1201ELNS1_3gpuE5ELNS1_3repE0EEENS1_30default_config_static_selectorELNS0_4arch9wavefront6targetE1EEEvSM_.num_vgpr, 0
	.set _ZN7rocprim17ROCPRIM_400000_NS6detail17trampoline_kernelINS0_14default_configENS1_22reduce_config_selectorIlEEZNS1_11reduce_implILb1ES3_PlS7_lN6hipcub16HIPCUB_304000_NS6detail34convert_binary_result_type_wrapperINS9_3SumENS9_22TransformInputIteratorIb7NonZeroIdEPdlEElEEEE10hipError_tPvRmT1_T2_T3_mT4_P12ihipStream_tbEUlT_E0_NS1_11comp_targetILNS1_3genE10ELNS1_11target_archE1201ELNS1_3gpuE5ELNS1_3repE0EEENS1_30default_config_static_selectorELNS0_4arch9wavefront6targetE1EEEvSM_.num_agpr, 0
	.set _ZN7rocprim17ROCPRIM_400000_NS6detail17trampoline_kernelINS0_14default_configENS1_22reduce_config_selectorIlEEZNS1_11reduce_implILb1ES3_PlS7_lN6hipcub16HIPCUB_304000_NS6detail34convert_binary_result_type_wrapperINS9_3SumENS9_22TransformInputIteratorIb7NonZeroIdEPdlEElEEEE10hipError_tPvRmT1_T2_T3_mT4_P12ihipStream_tbEUlT_E0_NS1_11comp_targetILNS1_3genE10ELNS1_11target_archE1201ELNS1_3gpuE5ELNS1_3repE0EEENS1_30default_config_static_selectorELNS0_4arch9wavefront6targetE1EEEvSM_.numbered_sgpr, 0
	.set _ZN7rocprim17ROCPRIM_400000_NS6detail17trampoline_kernelINS0_14default_configENS1_22reduce_config_selectorIlEEZNS1_11reduce_implILb1ES3_PlS7_lN6hipcub16HIPCUB_304000_NS6detail34convert_binary_result_type_wrapperINS9_3SumENS9_22TransformInputIteratorIb7NonZeroIdEPdlEElEEEE10hipError_tPvRmT1_T2_T3_mT4_P12ihipStream_tbEUlT_E0_NS1_11comp_targetILNS1_3genE10ELNS1_11target_archE1201ELNS1_3gpuE5ELNS1_3repE0EEENS1_30default_config_static_selectorELNS0_4arch9wavefront6targetE1EEEvSM_.num_named_barrier, 0
	.set _ZN7rocprim17ROCPRIM_400000_NS6detail17trampoline_kernelINS0_14default_configENS1_22reduce_config_selectorIlEEZNS1_11reduce_implILb1ES3_PlS7_lN6hipcub16HIPCUB_304000_NS6detail34convert_binary_result_type_wrapperINS9_3SumENS9_22TransformInputIteratorIb7NonZeroIdEPdlEElEEEE10hipError_tPvRmT1_T2_T3_mT4_P12ihipStream_tbEUlT_E0_NS1_11comp_targetILNS1_3genE10ELNS1_11target_archE1201ELNS1_3gpuE5ELNS1_3repE0EEENS1_30default_config_static_selectorELNS0_4arch9wavefront6targetE1EEEvSM_.private_seg_size, 0
	.set _ZN7rocprim17ROCPRIM_400000_NS6detail17trampoline_kernelINS0_14default_configENS1_22reduce_config_selectorIlEEZNS1_11reduce_implILb1ES3_PlS7_lN6hipcub16HIPCUB_304000_NS6detail34convert_binary_result_type_wrapperINS9_3SumENS9_22TransformInputIteratorIb7NonZeroIdEPdlEElEEEE10hipError_tPvRmT1_T2_T3_mT4_P12ihipStream_tbEUlT_E0_NS1_11comp_targetILNS1_3genE10ELNS1_11target_archE1201ELNS1_3gpuE5ELNS1_3repE0EEENS1_30default_config_static_selectorELNS0_4arch9wavefront6targetE1EEEvSM_.uses_vcc, 0
	.set _ZN7rocprim17ROCPRIM_400000_NS6detail17trampoline_kernelINS0_14default_configENS1_22reduce_config_selectorIlEEZNS1_11reduce_implILb1ES3_PlS7_lN6hipcub16HIPCUB_304000_NS6detail34convert_binary_result_type_wrapperINS9_3SumENS9_22TransformInputIteratorIb7NonZeroIdEPdlEElEEEE10hipError_tPvRmT1_T2_T3_mT4_P12ihipStream_tbEUlT_E0_NS1_11comp_targetILNS1_3genE10ELNS1_11target_archE1201ELNS1_3gpuE5ELNS1_3repE0EEENS1_30default_config_static_selectorELNS0_4arch9wavefront6targetE1EEEvSM_.uses_flat_scratch, 0
	.set _ZN7rocprim17ROCPRIM_400000_NS6detail17trampoline_kernelINS0_14default_configENS1_22reduce_config_selectorIlEEZNS1_11reduce_implILb1ES3_PlS7_lN6hipcub16HIPCUB_304000_NS6detail34convert_binary_result_type_wrapperINS9_3SumENS9_22TransformInputIteratorIb7NonZeroIdEPdlEElEEEE10hipError_tPvRmT1_T2_T3_mT4_P12ihipStream_tbEUlT_E0_NS1_11comp_targetILNS1_3genE10ELNS1_11target_archE1201ELNS1_3gpuE5ELNS1_3repE0EEENS1_30default_config_static_selectorELNS0_4arch9wavefront6targetE1EEEvSM_.has_dyn_sized_stack, 0
	.set _ZN7rocprim17ROCPRIM_400000_NS6detail17trampoline_kernelINS0_14default_configENS1_22reduce_config_selectorIlEEZNS1_11reduce_implILb1ES3_PlS7_lN6hipcub16HIPCUB_304000_NS6detail34convert_binary_result_type_wrapperINS9_3SumENS9_22TransformInputIteratorIb7NonZeroIdEPdlEElEEEE10hipError_tPvRmT1_T2_T3_mT4_P12ihipStream_tbEUlT_E0_NS1_11comp_targetILNS1_3genE10ELNS1_11target_archE1201ELNS1_3gpuE5ELNS1_3repE0EEENS1_30default_config_static_selectorELNS0_4arch9wavefront6targetE1EEEvSM_.has_recursion, 0
	.set _ZN7rocprim17ROCPRIM_400000_NS6detail17trampoline_kernelINS0_14default_configENS1_22reduce_config_selectorIlEEZNS1_11reduce_implILb1ES3_PlS7_lN6hipcub16HIPCUB_304000_NS6detail34convert_binary_result_type_wrapperINS9_3SumENS9_22TransformInputIteratorIb7NonZeroIdEPdlEElEEEE10hipError_tPvRmT1_T2_T3_mT4_P12ihipStream_tbEUlT_E0_NS1_11comp_targetILNS1_3genE10ELNS1_11target_archE1201ELNS1_3gpuE5ELNS1_3repE0EEENS1_30default_config_static_selectorELNS0_4arch9wavefront6targetE1EEEvSM_.has_indirect_call, 0
	.section	.AMDGPU.csdata,"",@progbits
; Kernel info:
; codeLenInByte = 0
; TotalNumSgprs: 6
; NumVgprs: 0
; NumAgprs: 0
; TotalNumVgprs: 0
; ScratchSize: 0
; MemoryBound: 0
; FloatMode: 240
; IeeeMode: 1
; LDSByteSize: 0 bytes/workgroup (compile time only)
; SGPRBlocks: 0
; VGPRBlocks: 0
; NumSGPRsForWavesPerEU: 6
; NumVGPRsForWavesPerEU: 1
; AccumOffset: 4
; Occupancy: 8
; WaveLimiterHint : 0
; COMPUTE_PGM_RSRC2:SCRATCH_EN: 0
; COMPUTE_PGM_RSRC2:USER_SGPR: 2
; COMPUTE_PGM_RSRC2:TRAP_HANDLER: 0
; COMPUTE_PGM_RSRC2:TGID_X_EN: 1
; COMPUTE_PGM_RSRC2:TGID_Y_EN: 0
; COMPUTE_PGM_RSRC2:TGID_Z_EN: 0
; COMPUTE_PGM_RSRC2:TIDIG_COMP_CNT: 0
; COMPUTE_PGM_RSRC3_GFX90A:ACCUM_OFFSET: 0
; COMPUTE_PGM_RSRC3_GFX90A:TG_SPLIT: 0
	.section	.text._ZN7rocprim17ROCPRIM_400000_NS6detail17trampoline_kernelINS0_14default_configENS1_22reduce_config_selectorIlEEZNS1_11reduce_implILb1ES3_PlS7_lN6hipcub16HIPCUB_304000_NS6detail34convert_binary_result_type_wrapperINS9_3SumENS9_22TransformInputIteratorIb7NonZeroIdEPdlEElEEEE10hipError_tPvRmT1_T2_T3_mT4_P12ihipStream_tbEUlT_E0_NS1_11comp_targetILNS1_3genE10ELNS1_11target_archE1200ELNS1_3gpuE4ELNS1_3repE0EEENS1_30default_config_static_selectorELNS0_4arch9wavefront6targetE1EEEvSM_,"axG",@progbits,_ZN7rocprim17ROCPRIM_400000_NS6detail17trampoline_kernelINS0_14default_configENS1_22reduce_config_selectorIlEEZNS1_11reduce_implILb1ES3_PlS7_lN6hipcub16HIPCUB_304000_NS6detail34convert_binary_result_type_wrapperINS9_3SumENS9_22TransformInputIteratorIb7NonZeroIdEPdlEElEEEE10hipError_tPvRmT1_T2_T3_mT4_P12ihipStream_tbEUlT_E0_NS1_11comp_targetILNS1_3genE10ELNS1_11target_archE1200ELNS1_3gpuE4ELNS1_3repE0EEENS1_30default_config_static_selectorELNS0_4arch9wavefront6targetE1EEEvSM_,comdat
	.protected	_ZN7rocprim17ROCPRIM_400000_NS6detail17trampoline_kernelINS0_14default_configENS1_22reduce_config_selectorIlEEZNS1_11reduce_implILb1ES3_PlS7_lN6hipcub16HIPCUB_304000_NS6detail34convert_binary_result_type_wrapperINS9_3SumENS9_22TransformInputIteratorIb7NonZeroIdEPdlEElEEEE10hipError_tPvRmT1_T2_T3_mT4_P12ihipStream_tbEUlT_E0_NS1_11comp_targetILNS1_3genE10ELNS1_11target_archE1200ELNS1_3gpuE4ELNS1_3repE0EEENS1_30default_config_static_selectorELNS0_4arch9wavefront6targetE1EEEvSM_ ; -- Begin function _ZN7rocprim17ROCPRIM_400000_NS6detail17trampoline_kernelINS0_14default_configENS1_22reduce_config_selectorIlEEZNS1_11reduce_implILb1ES3_PlS7_lN6hipcub16HIPCUB_304000_NS6detail34convert_binary_result_type_wrapperINS9_3SumENS9_22TransformInputIteratorIb7NonZeroIdEPdlEElEEEE10hipError_tPvRmT1_T2_T3_mT4_P12ihipStream_tbEUlT_E0_NS1_11comp_targetILNS1_3genE10ELNS1_11target_archE1200ELNS1_3gpuE4ELNS1_3repE0EEENS1_30default_config_static_selectorELNS0_4arch9wavefront6targetE1EEEvSM_
	.globl	_ZN7rocprim17ROCPRIM_400000_NS6detail17trampoline_kernelINS0_14default_configENS1_22reduce_config_selectorIlEEZNS1_11reduce_implILb1ES3_PlS7_lN6hipcub16HIPCUB_304000_NS6detail34convert_binary_result_type_wrapperINS9_3SumENS9_22TransformInputIteratorIb7NonZeroIdEPdlEElEEEE10hipError_tPvRmT1_T2_T3_mT4_P12ihipStream_tbEUlT_E0_NS1_11comp_targetILNS1_3genE10ELNS1_11target_archE1200ELNS1_3gpuE4ELNS1_3repE0EEENS1_30default_config_static_selectorELNS0_4arch9wavefront6targetE1EEEvSM_
	.p2align	8
	.type	_ZN7rocprim17ROCPRIM_400000_NS6detail17trampoline_kernelINS0_14default_configENS1_22reduce_config_selectorIlEEZNS1_11reduce_implILb1ES3_PlS7_lN6hipcub16HIPCUB_304000_NS6detail34convert_binary_result_type_wrapperINS9_3SumENS9_22TransformInputIteratorIb7NonZeroIdEPdlEElEEEE10hipError_tPvRmT1_T2_T3_mT4_P12ihipStream_tbEUlT_E0_NS1_11comp_targetILNS1_3genE10ELNS1_11target_archE1200ELNS1_3gpuE4ELNS1_3repE0EEENS1_30default_config_static_selectorELNS0_4arch9wavefront6targetE1EEEvSM_,@function
_ZN7rocprim17ROCPRIM_400000_NS6detail17trampoline_kernelINS0_14default_configENS1_22reduce_config_selectorIlEEZNS1_11reduce_implILb1ES3_PlS7_lN6hipcub16HIPCUB_304000_NS6detail34convert_binary_result_type_wrapperINS9_3SumENS9_22TransformInputIteratorIb7NonZeroIdEPdlEElEEEE10hipError_tPvRmT1_T2_T3_mT4_P12ihipStream_tbEUlT_E0_NS1_11comp_targetILNS1_3genE10ELNS1_11target_archE1200ELNS1_3gpuE4ELNS1_3repE0EEENS1_30default_config_static_selectorELNS0_4arch9wavefront6targetE1EEEvSM_: ; @_ZN7rocprim17ROCPRIM_400000_NS6detail17trampoline_kernelINS0_14default_configENS1_22reduce_config_selectorIlEEZNS1_11reduce_implILb1ES3_PlS7_lN6hipcub16HIPCUB_304000_NS6detail34convert_binary_result_type_wrapperINS9_3SumENS9_22TransformInputIteratorIb7NonZeroIdEPdlEElEEEE10hipError_tPvRmT1_T2_T3_mT4_P12ihipStream_tbEUlT_E0_NS1_11comp_targetILNS1_3genE10ELNS1_11target_archE1200ELNS1_3gpuE4ELNS1_3repE0EEENS1_30default_config_static_selectorELNS0_4arch9wavefront6targetE1EEEvSM_
; %bb.0:
	.section	.rodata,"a",@progbits
	.p2align	6, 0x0
	.amdhsa_kernel _ZN7rocprim17ROCPRIM_400000_NS6detail17trampoline_kernelINS0_14default_configENS1_22reduce_config_selectorIlEEZNS1_11reduce_implILb1ES3_PlS7_lN6hipcub16HIPCUB_304000_NS6detail34convert_binary_result_type_wrapperINS9_3SumENS9_22TransformInputIteratorIb7NonZeroIdEPdlEElEEEE10hipError_tPvRmT1_T2_T3_mT4_P12ihipStream_tbEUlT_E0_NS1_11comp_targetILNS1_3genE10ELNS1_11target_archE1200ELNS1_3gpuE4ELNS1_3repE0EEENS1_30default_config_static_selectorELNS0_4arch9wavefront6targetE1EEEvSM_
		.amdhsa_group_segment_fixed_size 0
		.amdhsa_private_segment_fixed_size 0
		.amdhsa_kernarg_size 64
		.amdhsa_user_sgpr_count 2
		.amdhsa_user_sgpr_dispatch_ptr 0
		.amdhsa_user_sgpr_queue_ptr 0
		.amdhsa_user_sgpr_kernarg_segment_ptr 1
		.amdhsa_user_sgpr_dispatch_id 0
		.amdhsa_user_sgpr_kernarg_preload_length 0
		.amdhsa_user_sgpr_kernarg_preload_offset 0
		.amdhsa_user_sgpr_private_segment_size 0
		.amdhsa_uses_dynamic_stack 0
		.amdhsa_enable_private_segment 0
		.amdhsa_system_sgpr_workgroup_id_x 1
		.amdhsa_system_sgpr_workgroup_id_y 0
		.amdhsa_system_sgpr_workgroup_id_z 0
		.amdhsa_system_sgpr_workgroup_info 0
		.amdhsa_system_vgpr_workitem_id 0
		.amdhsa_next_free_vgpr 1
		.amdhsa_next_free_sgpr 0
		.amdhsa_accum_offset 4
		.amdhsa_reserve_vcc 0
		.amdhsa_float_round_mode_32 0
		.amdhsa_float_round_mode_16_64 0
		.amdhsa_float_denorm_mode_32 3
		.amdhsa_float_denorm_mode_16_64 3
		.amdhsa_dx10_clamp 1
		.amdhsa_ieee_mode 1
		.amdhsa_fp16_overflow 0
		.amdhsa_tg_split 0
		.amdhsa_exception_fp_ieee_invalid_op 0
		.amdhsa_exception_fp_denorm_src 0
		.amdhsa_exception_fp_ieee_div_zero 0
		.amdhsa_exception_fp_ieee_overflow 0
		.amdhsa_exception_fp_ieee_underflow 0
		.amdhsa_exception_fp_ieee_inexact 0
		.amdhsa_exception_int_div_zero 0
	.end_amdhsa_kernel
	.section	.text._ZN7rocprim17ROCPRIM_400000_NS6detail17trampoline_kernelINS0_14default_configENS1_22reduce_config_selectorIlEEZNS1_11reduce_implILb1ES3_PlS7_lN6hipcub16HIPCUB_304000_NS6detail34convert_binary_result_type_wrapperINS9_3SumENS9_22TransformInputIteratorIb7NonZeroIdEPdlEElEEEE10hipError_tPvRmT1_T2_T3_mT4_P12ihipStream_tbEUlT_E0_NS1_11comp_targetILNS1_3genE10ELNS1_11target_archE1200ELNS1_3gpuE4ELNS1_3repE0EEENS1_30default_config_static_selectorELNS0_4arch9wavefront6targetE1EEEvSM_,"axG",@progbits,_ZN7rocprim17ROCPRIM_400000_NS6detail17trampoline_kernelINS0_14default_configENS1_22reduce_config_selectorIlEEZNS1_11reduce_implILb1ES3_PlS7_lN6hipcub16HIPCUB_304000_NS6detail34convert_binary_result_type_wrapperINS9_3SumENS9_22TransformInputIteratorIb7NonZeroIdEPdlEElEEEE10hipError_tPvRmT1_T2_T3_mT4_P12ihipStream_tbEUlT_E0_NS1_11comp_targetILNS1_3genE10ELNS1_11target_archE1200ELNS1_3gpuE4ELNS1_3repE0EEENS1_30default_config_static_selectorELNS0_4arch9wavefront6targetE1EEEvSM_,comdat
.Lfunc_end291:
	.size	_ZN7rocprim17ROCPRIM_400000_NS6detail17trampoline_kernelINS0_14default_configENS1_22reduce_config_selectorIlEEZNS1_11reduce_implILb1ES3_PlS7_lN6hipcub16HIPCUB_304000_NS6detail34convert_binary_result_type_wrapperINS9_3SumENS9_22TransformInputIteratorIb7NonZeroIdEPdlEElEEEE10hipError_tPvRmT1_T2_T3_mT4_P12ihipStream_tbEUlT_E0_NS1_11comp_targetILNS1_3genE10ELNS1_11target_archE1200ELNS1_3gpuE4ELNS1_3repE0EEENS1_30default_config_static_selectorELNS0_4arch9wavefront6targetE1EEEvSM_, .Lfunc_end291-_ZN7rocprim17ROCPRIM_400000_NS6detail17trampoline_kernelINS0_14default_configENS1_22reduce_config_selectorIlEEZNS1_11reduce_implILb1ES3_PlS7_lN6hipcub16HIPCUB_304000_NS6detail34convert_binary_result_type_wrapperINS9_3SumENS9_22TransformInputIteratorIb7NonZeroIdEPdlEElEEEE10hipError_tPvRmT1_T2_T3_mT4_P12ihipStream_tbEUlT_E0_NS1_11comp_targetILNS1_3genE10ELNS1_11target_archE1200ELNS1_3gpuE4ELNS1_3repE0EEENS1_30default_config_static_selectorELNS0_4arch9wavefront6targetE1EEEvSM_
                                        ; -- End function
	.set _ZN7rocprim17ROCPRIM_400000_NS6detail17trampoline_kernelINS0_14default_configENS1_22reduce_config_selectorIlEEZNS1_11reduce_implILb1ES3_PlS7_lN6hipcub16HIPCUB_304000_NS6detail34convert_binary_result_type_wrapperINS9_3SumENS9_22TransformInputIteratorIb7NonZeroIdEPdlEElEEEE10hipError_tPvRmT1_T2_T3_mT4_P12ihipStream_tbEUlT_E0_NS1_11comp_targetILNS1_3genE10ELNS1_11target_archE1200ELNS1_3gpuE4ELNS1_3repE0EEENS1_30default_config_static_selectorELNS0_4arch9wavefront6targetE1EEEvSM_.num_vgpr, 0
	.set _ZN7rocprim17ROCPRIM_400000_NS6detail17trampoline_kernelINS0_14default_configENS1_22reduce_config_selectorIlEEZNS1_11reduce_implILb1ES3_PlS7_lN6hipcub16HIPCUB_304000_NS6detail34convert_binary_result_type_wrapperINS9_3SumENS9_22TransformInputIteratorIb7NonZeroIdEPdlEElEEEE10hipError_tPvRmT1_T2_T3_mT4_P12ihipStream_tbEUlT_E0_NS1_11comp_targetILNS1_3genE10ELNS1_11target_archE1200ELNS1_3gpuE4ELNS1_3repE0EEENS1_30default_config_static_selectorELNS0_4arch9wavefront6targetE1EEEvSM_.num_agpr, 0
	.set _ZN7rocprim17ROCPRIM_400000_NS6detail17trampoline_kernelINS0_14default_configENS1_22reduce_config_selectorIlEEZNS1_11reduce_implILb1ES3_PlS7_lN6hipcub16HIPCUB_304000_NS6detail34convert_binary_result_type_wrapperINS9_3SumENS9_22TransformInputIteratorIb7NonZeroIdEPdlEElEEEE10hipError_tPvRmT1_T2_T3_mT4_P12ihipStream_tbEUlT_E0_NS1_11comp_targetILNS1_3genE10ELNS1_11target_archE1200ELNS1_3gpuE4ELNS1_3repE0EEENS1_30default_config_static_selectorELNS0_4arch9wavefront6targetE1EEEvSM_.numbered_sgpr, 0
	.set _ZN7rocprim17ROCPRIM_400000_NS6detail17trampoline_kernelINS0_14default_configENS1_22reduce_config_selectorIlEEZNS1_11reduce_implILb1ES3_PlS7_lN6hipcub16HIPCUB_304000_NS6detail34convert_binary_result_type_wrapperINS9_3SumENS9_22TransformInputIteratorIb7NonZeroIdEPdlEElEEEE10hipError_tPvRmT1_T2_T3_mT4_P12ihipStream_tbEUlT_E0_NS1_11comp_targetILNS1_3genE10ELNS1_11target_archE1200ELNS1_3gpuE4ELNS1_3repE0EEENS1_30default_config_static_selectorELNS0_4arch9wavefront6targetE1EEEvSM_.num_named_barrier, 0
	.set _ZN7rocprim17ROCPRIM_400000_NS6detail17trampoline_kernelINS0_14default_configENS1_22reduce_config_selectorIlEEZNS1_11reduce_implILb1ES3_PlS7_lN6hipcub16HIPCUB_304000_NS6detail34convert_binary_result_type_wrapperINS9_3SumENS9_22TransformInputIteratorIb7NonZeroIdEPdlEElEEEE10hipError_tPvRmT1_T2_T3_mT4_P12ihipStream_tbEUlT_E0_NS1_11comp_targetILNS1_3genE10ELNS1_11target_archE1200ELNS1_3gpuE4ELNS1_3repE0EEENS1_30default_config_static_selectorELNS0_4arch9wavefront6targetE1EEEvSM_.private_seg_size, 0
	.set _ZN7rocprim17ROCPRIM_400000_NS6detail17trampoline_kernelINS0_14default_configENS1_22reduce_config_selectorIlEEZNS1_11reduce_implILb1ES3_PlS7_lN6hipcub16HIPCUB_304000_NS6detail34convert_binary_result_type_wrapperINS9_3SumENS9_22TransformInputIteratorIb7NonZeroIdEPdlEElEEEE10hipError_tPvRmT1_T2_T3_mT4_P12ihipStream_tbEUlT_E0_NS1_11comp_targetILNS1_3genE10ELNS1_11target_archE1200ELNS1_3gpuE4ELNS1_3repE0EEENS1_30default_config_static_selectorELNS0_4arch9wavefront6targetE1EEEvSM_.uses_vcc, 0
	.set _ZN7rocprim17ROCPRIM_400000_NS6detail17trampoline_kernelINS0_14default_configENS1_22reduce_config_selectorIlEEZNS1_11reduce_implILb1ES3_PlS7_lN6hipcub16HIPCUB_304000_NS6detail34convert_binary_result_type_wrapperINS9_3SumENS9_22TransformInputIteratorIb7NonZeroIdEPdlEElEEEE10hipError_tPvRmT1_T2_T3_mT4_P12ihipStream_tbEUlT_E0_NS1_11comp_targetILNS1_3genE10ELNS1_11target_archE1200ELNS1_3gpuE4ELNS1_3repE0EEENS1_30default_config_static_selectorELNS0_4arch9wavefront6targetE1EEEvSM_.uses_flat_scratch, 0
	.set _ZN7rocprim17ROCPRIM_400000_NS6detail17trampoline_kernelINS0_14default_configENS1_22reduce_config_selectorIlEEZNS1_11reduce_implILb1ES3_PlS7_lN6hipcub16HIPCUB_304000_NS6detail34convert_binary_result_type_wrapperINS9_3SumENS9_22TransformInputIteratorIb7NonZeroIdEPdlEElEEEE10hipError_tPvRmT1_T2_T3_mT4_P12ihipStream_tbEUlT_E0_NS1_11comp_targetILNS1_3genE10ELNS1_11target_archE1200ELNS1_3gpuE4ELNS1_3repE0EEENS1_30default_config_static_selectorELNS0_4arch9wavefront6targetE1EEEvSM_.has_dyn_sized_stack, 0
	.set _ZN7rocprim17ROCPRIM_400000_NS6detail17trampoline_kernelINS0_14default_configENS1_22reduce_config_selectorIlEEZNS1_11reduce_implILb1ES3_PlS7_lN6hipcub16HIPCUB_304000_NS6detail34convert_binary_result_type_wrapperINS9_3SumENS9_22TransformInputIteratorIb7NonZeroIdEPdlEElEEEE10hipError_tPvRmT1_T2_T3_mT4_P12ihipStream_tbEUlT_E0_NS1_11comp_targetILNS1_3genE10ELNS1_11target_archE1200ELNS1_3gpuE4ELNS1_3repE0EEENS1_30default_config_static_selectorELNS0_4arch9wavefront6targetE1EEEvSM_.has_recursion, 0
	.set _ZN7rocprim17ROCPRIM_400000_NS6detail17trampoline_kernelINS0_14default_configENS1_22reduce_config_selectorIlEEZNS1_11reduce_implILb1ES3_PlS7_lN6hipcub16HIPCUB_304000_NS6detail34convert_binary_result_type_wrapperINS9_3SumENS9_22TransformInputIteratorIb7NonZeroIdEPdlEElEEEE10hipError_tPvRmT1_T2_T3_mT4_P12ihipStream_tbEUlT_E0_NS1_11comp_targetILNS1_3genE10ELNS1_11target_archE1200ELNS1_3gpuE4ELNS1_3repE0EEENS1_30default_config_static_selectorELNS0_4arch9wavefront6targetE1EEEvSM_.has_indirect_call, 0
	.section	.AMDGPU.csdata,"",@progbits
; Kernel info:
; codeLenInByte = 0
; TotalNumSgprs: 6
; NumVgprs: 0
; NumAgprs: 0
; TotalNumVgprs: 0
; ScratchSize: 0
; MemoryBound: 0
; FloatMode: 240
; IeeeMode: 1
; LDSByteSize: 0 bytes/workgroup (compile time only)
; SGPRBlocks: 0
; VGPRBlocks: 0
; NumSGPRsForWavesPerEU: 6
; NumVGPRsForWavesPerEU: 1
; AccumOffset: 4
; Occupancy: 8
; WaveLimiterHint : 0
; COMPUTE_PGM_RSRC2:SCRATCH_EN: 0
; COMPUTE_PGM_RSRC2:USER_SGPR: 2
; COMPUTE_PGM_RSRC2:TRAP_HANDLER: 0
; COMPUTE_PGM_RSRC2:TGID_X_EN: 1
; COMPUTE_PGM_RSRC2:TGID_Y_EN: 0
; COMPUTE_PGM_RSRC2:TGID_Z_EN: 0
; COMPUTE_PGM_RSRC2:TIDIG_COMP_CNT: 0
; COMPUTE_PGM_RSRC3_GFX90A:ACCUM_OFFSET: 0
; COMPUTE_PGM_RSRC3_GFX90A:TG_SPLIT: 0
	.section	.text._ZN7rocprim17ROCPRIM_400000_NS6detail17trampoline_kernelINS0_14default_configENS1_22reduce_config_selectorIlEEZNS1_11reduce_implILb1ES3_PlS7_lN6hipcub16HIPCUB_304000_NS6detail34convert_binary_result_type_wrapperINS9_3SumENS9_22TransformInputIteratorIb7NonZeroIdEPdlEElEEEE10hipError_tPvRmT1_T2_T3_mT4_P12ihipStream_tbEUlT_E0_NS1_11comp_targetILNS1_3genE9ELNS1_11target_archE1100ELNS1_3gpuE3ELNS1_3repE0EEENS1_30default_config_static_selectorELNS0_4arch9wavefront6targetE1EEEvSM_,"axG",@progbits,_ZN7rocprim17ROCPRIM_400000_NS6detail17trampoline_kernelINS0_14default_configENS1_22reduce_config_selectorIlEEZNS1_11reduce_implILb1ES3_PlS7_lN6hipcub16HIPCUB_304000_NS6detail34convert_binary_result_type_wrapperINS9_3SumENS9_22TransformInputIteratorIb7NonZeroIdEPdlEElEEEE10hipError_tPvRmT1_T2_T3_mT4_P12ihipStream_tbEUlT_E0_NS1_11comp_targetILNS1_3genE9ELNS1_11target_archE1100ELNS1_3gpuE3ELNS1_3repE0EEENS1_30default_config_static_selectorELNS0_4arch9wavefront6targetE1EEEvSM_,comdat
	.protected	_ZN7rocprim17ROCPRIM_400000_NS6detail17trampoline_kernelINS0_14default_configENS1_22reduce_config_selectorIlEEZNS1_11reduce_implILb1ES3_PlS7_lN6hipcub16HIPCUB_304000_NS6detail34convert_binary_result_type_wrapperINS9_3SumENS9_22TransformInputIteratorIb7NonZeroIdEPdlEElEEEE10hipError_tPvRmT1_T2_T3_mT4_P12ihipStream_tbEUlT_E0_NS1_11comp_targetILNS1_3genE9ELNS1_11target_archE1100ELNS1_3gpuE3ELNS1_3repE0EEENS1_30default_config_static_selectorELNS0_4arch9wavefront6targetE1EEEvSM_ ; -- Begin function _ZN7rocprim17ROCPRIM_400000_NS6detail17trampoline_kernelINS0_14default_configENS1_22reduce_config_selectorIlEEZNS1_11reduce_implILb1ES3_PlS7_lN6hipcub16HIPCUB_304000_NS6detail34convert_binary_result_type_wrapperINS9_3SumENS9_22TransformInputIteratorIb7NonZeroIdEPdlEElEEEE10hipError_tPvRmT1_T2_T3_mT4_P12ihipStream_tbEUlT_E0_NS1_11comp_targetILNS1_3genE9ELNS1_11target_archE1100ELNS1_3gpuE3ELNS1_3repE0EEENS1_30default_config_static_selectorELNS0_4arch9wavefront6targetE1EEEvSM_
	.globl	_ZN7rocprim17ROCPRIM_400000_NS6detail17trampoline_kernelINS0_14default_configENS1_22reduce_config_selectorIlEEZNS1_11reduce_implILb1ES3_PlS7_lN6hipcub16HIPCUB_304000_NS6detail34convert_binary_result_type_wrapperINS9_3SumENS9_22TransformInputIteratorIb7NonZeroIdEPdlEElEEEE10hipError_tPvRmT1_T2_T3_mT4_P12ihipStream_tbEUlT_E0_NS1_11comp_targetILNS1_3genE9ELNS1_11target_archE1100ELNS1_3gpuE3ELNS1_3repE0EEENS1_30default_config_static_selectorELNS0_4arch9wavefront6targetE1EEEvSM_
	.p2align	8
	.type	_ZN7rocprim17ROCPRIM_400000_NS6detail17trampoline_kernelINS0_14default_configENS1_22reduce_config_selectorIlEEZNS1_11reduce_implILb1ES3_PlS7_lN6hipcub16HIPCUB_304000_NS6detail34convert_binary_result_type_wrapperINS9_3SumENS9_22TransformInputIteratorIb7NonZeroIdEPdlEElEEEE10hipError_tPvRmT1_T2_T3_mT4_P12ihipStream_tbEUlT_E0_NS1_11comp_targetILNS1_3genE9ELNS1_11target_archE1100ELNS1_3gpuE3ELNS1_3repE0EEENS1_30default_config_static_selectorELNS0_4arch9wavefront6targetE1EEEvSM_,@function
_ZN7rocprim17ROCPRIM_400000_NS6detail17trampoline_kernelINS0_14default_configENS1_22reduce_config_selectorIlEEZNS1_11reduce_implILb1ES3_PlS7_lN6hipcub16HIPCUB_304000_NS6detail34convert_binary_result_type_wrapperINS9_3SumENS9_22TransformInputIteratorIb7NonZeroIdEPdlEElEEEE10hipError_tPvRmT1_T2_T3_mT4_P12ihipStream_tbEUlT_E0_NS1_11comp_targetILNS1_3genE9ELNS1_11target_archE1100ELNS1_3gpuE3ELNS1_3repE0EEENS1_30default_config_static_selectorELNS0_4arch9wavefront6targetE1EEEvSM_: ; @_ZN7rocprim17ROCPRIM_400000_NS6detail17trampoline_kernelINS0_14default_configENS1_22reduce_config_selectorIlEEZNS1_11reduce_implILb1ES3_PlS7_lN6hipcub16HIPCUB_304000_NS6detail34convert_binary_result_type_wrapperINS9_3SumENS9_22TransformInputIteratorIb7NonZeroIdEPdlEElEEEE10hipError_tPvRmT1_T2_T3_mT4_P12ihipStream_tbEUlT_E0_NS1_11comp_targetILNS1_3genE9ELNS1_11target_archE1100ELNS1_3gpuE3ELNS1_3repE0EEENS1_30default_config_static_selectorELNS0_4arch9wavefront6targetE1EEEvSM_
; %bb.0:
	.section	.rodata,"a",@progbits
	.p2align	6, 0x0
	.amdhsa_kernel _ZN7rocprim17ROCPRIM_400000_NS6detail17trampoline_kernelINS0_14default_configENS1_22reduce_config_selectorIlEEZNS1_11reduce_implILb1ES3_PlS7_lN6hipcub16HIPCUB_304000_NS6detail34convert_binary_result_type_wrapperINS9_3SumENS9_22TransformInputIteratorIb7NonZeroIdEPdlEElEEEE10hipError_tPvRmT1_T2_T3_mT4_P12ihipStream_tbEUlT_E0_NS1_11comp_targetILNS1_3genE9ELNS1_11target_archE1100ELNS1_3gpuE3ELNS1_3repE0EEENS1_30default_config_static_selectorELNS0_4arch9wavefront6targetE1EEEvSM_
		.amdhsa_group_segment_fixed_size 0
		.amdhsa_private_segment_fixed_size 0
		.amdhsa_kernarg_size 64
		.amdhsa_user_sgpr_count 2
		.amdhsa_user_sgpr_dispatch_ptr 0
		.amdhsa_user_sgpr_queue_ptr 0
		.amdhsa_user_sgpr_kernarg_segment_ptr 1
		.amdhsa_user_sgpr_dispatch_id 0
		.amdhsa_user_sgpr_kernarg_preload_length 0
		.amdhsa_user_sgpr_kernarg_preload_offset 0
		.amdhsa_user_sgpr_private_segment_size 0
		.amdhsa_uses_dynamic_stack 0
		.amdhsa_enable_private_segment 0
		.amdhsa_system_sgpr_workgroup_id_x 1
		.amdhsa_system_sgpr_workgroup_id_y 0
		.amdhsa_system_sgpr_workgroup_id_z 0
		.amdhsa_system_sgpr_workgroup_info 0
		.amdhsa_system_vgpr_workitem_id 0
		.amdhsa_next_free_vgpr 1
		.amdhsa_next_free_sgpr 0
		.amdhsa_accum_offset 4
		.amdhsa_reserve_vcc 0
		.amdhsa_float_round_mode_32 0
		.amdhsa_float_round_mode_16_64 0
		.amdhsa_float_denorm_mode_32 3
		.amdhsa_float_denorm_mode_16_64 3
		.amdhsa_dx10_clamp 1
		.amdhsa_ieee_mode 1
		.amdhsa_fp16_overflow 0
		.amdhsa_tg_split 0
		.amdhsa_exception_fp_ieee_invalid_op 0
		.amdhsa_exception_fp_denorm_src 0
		.amdhsa_exception_fp_ieee_div_zero 0
		.amdhsa_exception_fp_ieee_overflow 0
		.amdhsa_exception_fp_ieee_underflow 0
		.amdhsa_exception_fp_ieee_inexact 0
		.amdhsa_exception_int_div_zero 0
	.end_amdhsa_kernel
	.section	.text._ZN7rocprim17ROCPRIM_400000_NS6detail17trampoline_kernelINS0_14default_configENS1_22reduce_config_selectorIlEEZNS1_11reduce_implILb1ES3_PlS7_lN6hipcub16HIPCUB_304000_NS6detail34convert_binary_result_type_wrapperINS9_3SumENS9_22TransformInputIteratorIb7NonZeroIdEPdlEElEEEE10hipError_tPvRmT1_T2_T3_mT4_P12ihipStream_tbEUlT_E0_NS1_11comp_targetILNS1_3genE9ELNS1_11target_archE1100ELNS1_3gpuE3ELNS1_3repE0EEENS1_30default_config_static_selectorELNS0_4arch9wavefront6targetE1EEEvSM_,"axG",@progbits,_ZN7rocprim17ROCPRIM_400000_NS6detail17trampoline_kernelINS0_14default_configENS1_22reduce_config_selectorIlEEZNS1_11reduce_implILb1ES3_PlS7_lN6hipcub16HIPCUB_304000_NS6detail34convert_binary_result_type_wrapperINS9_3SumENS9_22TransformInputIteratorIb7NonZeroIdEPdlEElEEEE10hipError_tPvRmT1_T2_T3_mT4_P12ihipStream_tbEUlT_E0_NS1_11comp_targetILNS1_3genE9ELNS1_11target_archE1100ELNS1_3gpuE3ELNS1_3repE0EEENS1_30default_config_static_selectorELNS0_4arch9wavefront6targetE1EEEvSM_,comdat
.Lfunc_end292:
	.size	_ZN7rocprim17ROCPRIM_400000_NS6detail17trampoline_kernelINS0_14default_configENS1_22reduce_config_selectorIlEEZNS1_11reduce_implILb1ES3_PlS7_lN6hipcub16HIPCUB_304000_NS6detail34convert_binary_result_type_wrapperINS9_3SumENS9_22TransformInputIteratorIb7NonZeroIdEPdlEElEEEE10hipError_tPvRmT1_T2_T3_mT4_P12ihipStream_tbEUlT_E0_NS1_11comp_targetILNS1_3genE9ELNS1_11target_archE1100ELNS1_3gpuE3ELNS1_3repE0EEENS1_30default_config_static_selectorELNS0_4arch9wavefront6targetE1EEEvSM_, .Lfunc_end292-_ZN7rocprim17ROCPRIM_400000_NS6detail17trampoline_kernelINS0_14default_configENS1_22reduce_config_selectorIlEEZNS1_11reduce_implILb1ES3_PlS7_lN6hipcub16HIPCUB_304000_NS6detail34convert_binary_result_type_wrapperINS9_3SumENS9_22TransformInputIteratorIb7NonZeroIdEPdlEElEEEE10hipError_tPvRmT1_T2_T3_mT4_P12ihipStream_tbEUlT_E0_NS1_11comp_targetILNS1_3genE9ELNS1_11target_archE1100ELNS1_3gpuE3ELNS1_3repE0EEENS1_30default_config_static_selectorELNS0_4arch9wavefront6targetE1EEEvSM_
                                        ; -- End function
	.set _ZN7rocprim17ROCPRIM_400000_NS6detail17trampoline_kernelINS0_14default_configENS1_22reduce_config_selectorIlEEZNS1_11reduce_implILb1ES3_PlS7_lN6hipcub16HIPCUB_304000_NS6detail34convert_binary_result_type_wrapperINS9_3SumENS9_22TransformInputIteratorIb7NonZeroIdEPdlEElEEEE10hipError_tPvRmT1_T2_T3_mT4_P12ihipStream_tbEUlT_E0_NS1_11comp_targetILNS1_3genE9ELNS1_11target_archE1100ELNS1_3gpuE3ELNS1_3repE0EEENS1_30default_config_static_selectorELNS0_4arch9wavefront6targetE1EEEvSM_.num_vgpr, 0
	.set _ZN7rocprim17ROCPRIM_400000_NS6detail17trampoline_kernelINS0_14default_configENS1_22reduce_config_selectorIlEEZNS1_11reduce_implILb1ES3_PlS7_lN6hipcub16HIPCUB_304000_NS6detail34convert_binary_result_type_wrapperINS9_3SumENS9_22TransformInputIteratorIb7NonZeroIdEPdlEElEEEE10hipError_tPvRmT1_T2_T3_mT4_P12ihipStream_tbEUlT_E0_NS1_11comp_targetILNS1_3genE9ELNS1_11target_archE1100ELNS1_3gpuE3ELNS1_3repE0EEENS1_30default_config_static_selectorELNS0_4arch9wavefront6targetE1EEEvSM_.num_agpr, 0
	.set _ZN7rocprim17ROCPRIM_400000_NS6detail17trampoline_kernelINS0_14default_configENS1_22reduce_config_selectorIlEEZNS1_11reduce_implILb1ES3_PlS7_lN6hipcub16HIPCUB_304000_NS6detail34convert_binary_result_type_wrapperINS9_3SumENS9_22TransformInputIteratorIb7NonZeroIdEPdlEElEEEE10hipError_tPvRmT1_T2_T3_mT4_P12ihipStream_tbEUlT_E0_NS1_11comp_targetILNS1_3genE9ELNS1_11target_archE1100ELNS1_3gpuE3ELNS1_3repE0EEENS1_30default_config_static_selectorELNS0_4arch9wavefront6targetE1EEEvSM_.numbered_sgpr, 0
	.set _ZN7rocprim17ROCPRIM_400000_NS6detail17trampoline_kernelINS0_14default_configENS1_22reduce_config_selectorIlEEZNS1_11reduce_implILb1ES3_PlS7_lN6hipcub16HIPCUB_304000_NS6detail34convert_binary_result_type_wrapperINS9_3SumENS9_22TransformInputIteratorIb7NonZeroIdEPdlEElEEEE10hipError_tPvRmT1_T2_T3_mT4_P12ihipStream_tbEUlT_E0_NS1_11comp_targetILNS1_3genE9ELNS1_11target_archE1100ELNS1_3gpuE3ELNS1_3repE0EEENS1_30default_config_static_selectorELNS0_4arch9wavefront6targetE1EEEvSM_.num_named_barrier, 0
	.set _ZN7rocprim17ROCPRIM_400000_NS6detail17trampoline_kernelINS0_14default_configENS1_22reduce_config_selectorIlEEZNS1_11reduce_implILb1ES3_PlS7_lN6hipcub16HIPCUB_304000_NS6detail34convert_binary_result_type_wrapperINS9_3SumENS9_22TransformInputIteratorIb7NonZeroIdEPdlEElEEEE10hipError_tPvRmT1_T2_T3_mT4_P12ihipStream_tbEUlT_E0_NS1_11comp_targetILNS1_3genE9ELNS1_11target_archE1100ELNS1_3gpuE3ELNS1_3repE0EEENS1_30default_config_static_selectorELNS0_4arch9wavefront6targetE1EEEvSM_.private_seg_size, 0
	.set _ZN7rocprim17ROCPRIM_400000_NS6detail17trampoline_kernelINS0_14default_configENS1_22reduce_config_selectorIlEEZNS1_11reduce_implILb1ES3_PlS7_lN6hipcub16HIPCUB_304000_NS6detail34convert_binary_result_type_wrapperINS9_3SumENS9_22TransformInputIteratorIb7NonZeroIdEPdlEElEEEE10hipError_tPvRmT1_T2_T3_mT4_P12ihipStream_tbEUlT_E0_NS1_11comp_targetILNS1_3genE9ELNS1_11target_archE1100ELNS1_3gpuE3ELNS1_3repE0EEENS1_30default_config_static_selectorELNS0_4arch9wavefront6targetE1EEEvSM_.uses_vcc, 0
	.set _ZN7rocprim17ROCPRIM_400000_NS6detail17trampoline_kernelINS0_14default_configENS1_22reduce_config_selectorIlEEZNS1_11reduce_implILb1ES3_PlS7_lN6hipcub16HIPCUB_304000_NS6detail34convert_binary_result_type_wrapperINS9_3SumENS9_22TransformInputIteratorIb7NonZeroIdEPdlEElEEEE10hipError_tPvRmT1_T2_T3_mT4_P12ihipStream_tbEUlT_E0_NS1_11comp_targetILNS1_3genE9ELNS1_11target_archE1100ELNS1_3gpuE3ELNS1_3repE0EEENS1_30default_config_static_selectorELNS0_4arch9wavefront6targetE1EEEvSM_.uses_flat_scratch, 0
	.set _ZN7rocprim17ROCPRIM_400000_NS6detail17trampoline_kernelINS0_14default_configENS1_22reduce_config_selectorIlEEZNS1_11reduce_implILb1ES3_PlS7_lN6hipcub16HIPCUB_304000_NS6detail34convert_binary_result_type_wrapperINS9_3SumENS9_22TransformInputIteratorIb7NonZeroIdEPdlEElEEEE10hipError_tPvRmT1_T2_T3_mT4_P12ihipStream_tbEUlT_E0_NS1_11comp_targetILNS1_3genE9ELNS1_11target_archE1100ELNS1_3gpuE3ELNS1_3repE0EEENS1_30default_config_static_selectorELNS0_4arch9wavefront6targetE1EEEvSM_.has_dyn_sized_stack, 0
	.set _ZN7rocprim17ROCPRIM_400000_NS6detail17trampoline_kernelINS0_14default_configENS1_22reduce_config_selectorIlEEZNS1_11reduce_implILb1ES3_PlS7_lN6hipcub16HIPCUB_304000_NS6detail34convert_binary_result_type_wrapperINS9_3SumENS9_22TransformInputIteratorIb7NonZeroIdEPdlEElEEEE10hipError_tPvRmT1_T2_T3_mT4_P12ihipStream_tbEUlT_E0_NS1_11comp_targetILNS1_3genE9ELNS1_11target_archE1100ELNS1_3gpuE3ELNS1_3repE0EEENS1_30default_config_static_selectorELNS0_4arch9wavefront6targetE1EEEvSM_.has_recursion, 0
	.set _ZN7rocprim17ROCPRIM_400000_NS6detail17trampoline_kernelINS0_14default_configENS1_22reduce_config_selectorIlEEZNS1_11reduce_implILb1ES3_PlS7_lN6hipcub16HIPCUB_304000_NS6detail34convert_binary_result_type_wrapperINS9_3SumENS9_22TransformInputIteratorIb7NonZeroIdEPdlEElEEEE10hipError_tPvRmT1_T2_T3_mT4_P12ihipStream_tbEUlT_E0_NS1_11comp_targetILNS1_3genE9ELNS1_11target_archE1100ELNS1_3gpuE3ELNS1_3repE0EEENS1_30default_config_static_selectorELNS0_4arch9wavefront6targetE1EEEvSM_.has_indirect_call, 0
	.section	.AMDGPU.csdata,"",@progbits
; Kernel info:
; codeLenInByte = 0
; TotalNumSgprs: 6
; NumVgprs: 0
; NumAgprs: 0
; TotalNumVgprs: 0
; ScratchSize: 0
; MemoryBound: 0
; FloatMode: 240
; IeeeMode: 1
; LDSByteSize: 0 bytes/workgroup (compile time only)
; SGPRBlocks: 0
; VGPRBlocks: 0
; NumSGPRsForWavesPerEU: 6
; NumVGPRsForWavesPerEU: 1
; AccumOffset: 4
; Occupancy: 8
; WaveLimiterHint : 0
; COMPUTE_PGM_RSRC2:SCRATCH_EN: 0
; COMPUTE_PGM_RSRC2:USER_SGPR: 2
; COMPUTE_PGM_RSRC2:TRAP_HANDLER: 0
; COMPUTE_PGM_RSRC2:TGID_X_EN: 1
; COMPUTE_PGM_RSRC2:TGID_Y_EN: 0
; COMPUTE_PGM_RSRC2:TGID_Z_EN: 0
; COMPUTE_PGM_RSRC2:TIDIG_COMP_CNT: 0
; COMPUTE_PGM_RSRC3_GFX90A:ACCUM_OFFSET: 0
; COMPUTE_PGM_RSRC3_GFX90A:TG_SPLIT: 0
	.section	.text._ZN7rocprim17ROCPRIM_400000_NS6detail17trampoline_kernelINS0_14default_configENS1_22reduce_config_selectorIlEEZNS1_11reduce_implILb1ES3_PlS7_lN6hipcub16HIPCUB_304000_NS6detail34convert_binary_result_type_wrapperINS9_3SumENS9_22TransformInputIteratorIb7NonZeroIdEPdlEElEEEE10hipError_tPvRmT1_T2_T3_mT4_P12ihipStream_tbEUlT_E0_NS1_11comp_targetILNS1_3genE8ELNS1_11target_archE1030ELNS1_3gpuE2ELNS1_3repE0EEENS1_30default_config_static_selectorELNS0_4arch9wavefront6targetE1EEEvSM_,"axG",@progbits,_ZN7rocprim17ROCPRIM_400000_NS6detail17trampoline_kernelINS0_14default_configENS1_22reduce_config_selectorIlEEZNS1_11reduce_implILb1ES3_PlS7_lN6hipcub16HIPCUB_304000_NS6detail34convert_binary_result_type_wrapperINS9_3SumENS9_22TransformInputIteratorIb7NonZeroIdEPdlEElEEEE10hipError_tPvRmT1_T2_T3_mT4_P12ihipStream_tbEUlT_E0_NS1_11comp_targetILNS1_3genE8ELNS1_11target_archE1030ELNS1_3gpuE2ELNS1_3repE0EEENS1_30default_config_static_selectorELNS0_4arch9wavefront6targetE1EEEvSM_,comdat
	.protected	_ZN7rocprim17ROCPRIM_400000_NS6detail17trampoline_kernelINS0_14default_configENS1_22reduce_config_selectorIlEEZNS1_11reduce_implILb1ES3_PlS7_lN6hipcub16HIPCUB_304000_NS6detail34convert_binary_result_type_wrapperINS9_3SumENS9_22TransformInputIteratorIb7NonZeroIdEPdlEElEEEE10hipError_tPvRmT1_T2_T3_mT4_P12ihipStream_tbEUlT_E0_NS1_11comp_targetILNS1_3genE8ELNS1_11target_archE1030ELNS1_3gpuE2ELNS1_3repE0EEENS1_30default_config_static_selectorELNS0_4arch9wavefront6targetE1EEEvSM_ ; -- Begin function _ZN7rocprim17ROCPRIM_400000_NS6detail17trampoline_kernelINS0_14default_configENS1_22reduce_config_selectorIlEEZNS1_11reduce_implILb1ES3_PlS7_lN6hipcub16HIPCUB_304000_NS6detail34convert_binary_result_type_wrapperINS9_3SumENS9_22TransformInputIteratorIb7NonZeroIdEPdlEElEEEE10hipError_tPvRmT1_T2_T3_mT4_P12ihipStream_tbEUlT_E0_NS1_11comp_targetILNS1_3genE8ELNS1_11target_archE1030ELNS1_3gpuE2ELNS1_3repE0EEENS1_30default_config_static_selectorELNS0_4arch9wavefront6targetE1EEEvSM_
	.globl	_ZN7rocprim17ROCPRIM_400000_NS6detail17trampoline_kernelINS0_14default_configENS1_22reduce_config_selectorIlEEZNS1_11reduce_implILb1ES3_PlS7_lN6hipcub16HIPCUB_304000_NS6detail34convert_binary_result_type_wrapperINS9_3SumENS9_22TransformInputIteratorIb7NonZeroIdEPdlEElEEEE10hipError_tPvRmT1_T2_T3_mT4_P12ihipStream_tbEUlT_E0_NS1_11comp_targetILNS1_3genE8ELNS1_11target_archE1030ELNS1_3gpuE2ELNS1_3repE0EEENS1_30default_config_static_selectorELNS0_4arch9wavefront6targetE1EEEvSM_
	.p2align	8
	.type	_ZN7rocprim17ROCPRIM_400000_NS6detail17trampoline_kernelINS0_14default_configENS1_22reduce_config_selectorIlEEZNS1_11reduce_implILb1ES3_PlS7_lN6hipcub16HIPCUB_304000_NS6detail34convert_binary_result_type_wrapperINS9_3SumENS9_22TransformInputIteratorIb7NonZeroIdEPdlEElEEEE10hipError_tPvRmT1_T2_T3_mT4_P12ihipStream_tbEUlT_E0_NS1_11comp_targetILNS1_3genE8ELNS1_11target_archE1030ELNS1_3gpuE2ELNS1_3repE0EEENS1_30default_config_static_selectorELNS0_4arch9wavefront6targetE1EEEvSM_,@function
_ZN7rocprim17ROCPRIM_400000_NS6detail17trampoline_kernelINS0_14default_configENS1_22reduce_config_selectorIlEEZNS1_11reduce_implILb1ES3_PlS7_lN6hipcub16HIPCUB_304000_NS6detail34convert_binary_result_type_wrapperINS9_3SumENS9_22TransformInputIteratorIb7NonZeroIdEPdlEElEEEE10hipError_tPvRmT1_T2_T3_mT4_P12ihipStream_tbEUlT_E0_NS1_11comp_targetILNS1_3genE8ELNS1_11target_archE1030ELNS1_3gpuE2ELNS1_3repE0EEENS1_30default_config_static_selectorELNS0_4arch9wavefront6targetE1EEEvSM_: ; @_ZN7rocprim17ROCPRIM_400000_NS6detail17trampoline_kernelINS0_14default_configENS1_22reduce_config_selectorIlEEZNS1_11reduce_implILb1ES3_PlS7_lN6hipcub16HIPCUB_304000_NS6detail34convert_binary_result_type_wrapperINS9_3SumENS9_22TransformInputIteratorIb7NonZeroIdEPdlEElEEEE10hipError_tPvRmT1_T2_T3_mT4_P12ihipStream_tbEUlT_E0_NS1_11comp_targetILNS1_3genE8ELNS1_11target_archE1030ELNS1_3gpuE2ELNS1_3repE0EEENS1_30default_config_static_selectorELNS0_4arch9wavefront6targetE1EEEvSM_
; %bb.0:
	.section	.rodata,"a",@progbits
	.p2align	6, 0x0
	.amdhsa_kernel _ZN7rocprim17ROCPRIM_400000_NS6detail17trampoline_kernelINS0_14default_configENS1_22reduce_config_selectorIlEEZNS1_11reduce_implILb1ES3_PlS7_lN6hipcub16HIPCUB_304000_NS6detail34convert_binary_result_type_wrapperINS9_3SumENS9_22TransformInputIteratorIb7NonZeroIdEPdlEElEEEE10hipError_tPvRmT1_T2_T3_mT4_P12ihipStream_tbEUlT_E0_NS1_11comp_targetILNS1_3genE8ELNS1_11target_archE1030ELNS1_3gpuE2ELNS1_3repE0EEENS1_30default_config_static_selectorELNS0_4arch9wavefront6targetE1EEEvSM_
		.amdhsa_group_segment_fixed_size 0
		.amdhsa_private_segment_fixed_size 0
		.amdhsa_kernarg_size 64
		.amdhsa_user_sgpr_count 2
		.amdhsa_user_sgpr_dispatch_ptr 0
		.amdhsa_user_sgpr_queue_ptr 0
		.amdhsa_user_sgpr_kernarg_segment_ptr 1
		.amdhsa_user_sgpr_dispatch_id 0
		.amdhsa_user_sgpr_kernarg_preload_length 0
		.amdhsa_user_sgpr_kernarg_preload_offset 0
		.amdhsa_user_sgpr_private_segment_size 0
		.amdhsa_uses_dynamic_stack 0
		.amdhsa_enable_private_segment 0
		.amdhsa_system_sgpr_workgroup_id_x 1
		.amdhsa_system_sgpr_workgroup_id_y 0
		.amdhsa_system_sgpr_workgroup_id_z 0
		.amdhsa_system_sgpr_workgroup_info 0
		.amdhsa_system_vgpr_workitem_id 0
		.amdhsa_next_free_vgpr 1
		.amdhsa_next_free_sgpr 0
		.amdhsa_accum_offset 4
		.amdhsa_reserve_vcc 0
		.amdhsa_float_round_mode_32 0
		.amdhsa_float_round_mode_16_64 0
		.amdhsa_float_denorm_mode_32 3
		.amdhsa_float_denorm_mode_16_64 3
		.amdhsa_dx10_clamp 1
		.amdhsa_ieee_mode 1
		.amdhsa_fp16_overflow 0
		.amdhsa_tg_split 0
		.amdhsa_exception_fp_ieee_invalid_op 0
		.amdhsa_exception_fp_denorm_src 0
		.amdhsa_exception_fp_ieee_div_zero 0
		.amdhsa_exception_fp_ieee_overflow 0
		.amdhsa_exception_fp_ieee_underflow 0
		.amdhsa_exception_fp_ieee_inexact 0
		.amdhsa_exception_int_div_zero 0
	.end_amdhsa_kernel
	.section	.text._ZN7rocprim17ROCPRIM_400000_NS6detail17trampoline_kernelINS0_14default_configENS1_22reduce_config_selectorIlEEZNS1_11reduce_implILb1ES3_PlS7_lN6hipcub16HIPCUB_304000_NS6detail34convert_binary_result_type_wrapperINS9_3SumENS9_22TransformInputIteratorIb7NonZeroIdEPdlEElEEEE10hipError_tPvRmT1_T2_T3_mT4_P12ihipStream_tbEUlT_E0_NS1_11comp_targetILNS1_3genE8ELNS1_11target_archE1030ELNS1_3gpuE2ELNS1_3repE0EEENS1_30default_config_static_selectorELNS0_4arch9wavefront6targetE1EEEvSM_,"axG",@progbits,_ZN7rocprim17ROCPRIM_400000_NS6detail17trampoline_kernelINS0_14default_configENS1_22reduce_config_selectorIlEEZNS1_11reduce_implILb1ES3_PlS7_lN6hipcub16HIPCUB_304000_NS6detail34convert_binary_result_type_wrapperINS9_3SumENS9_22TransformInputIteratorIb7NonZeroIdEPdlEElEEEE10hipError_tPvRmT1_T2_T3_mT4_P12ihipStream_tbEUlT_E0_NS1_11comp_targetILNS1_3genE8ELNS1_11target_archE1030ELNS1_3gpuE2ELNS1_3repE0EEENS1_30default_config_static_selectorELNS0_4arch9wavefront6targetE1EEEvSM_,comdat
.Lfunc_end293:
	.size	_ZN7rocprim17ROCPRIM_400000_NS6detail17trampoline_kernelINS0_14default_configENS1_22reduce_config_selectorIlEEZNS1_11reduce_implILb1ES3_PlS7_lN6hipcub16HIPCUB_304000_NS6detail34convert_binary_result_type_wrapperINS9_3SumENS9_22TransformInputIteratorIb7NonZeroIdEPdlEElEEEE10hipError_tPvRmT1_T2_T3_mT4_P12ihipStream_tbEUlT_E0_NS1_11comp_targetILNS1_3genE8ELNS1_11target_archE1030ELNS1_3gpuE2ELNS1_3repE0EEENS1_30default_config_static_selectorELNS0_4arch9wavefront6targetE1EEEvSM_, .Lfunc_end293-_ZN7rocprim17ROCPRIM_400000_NS6detail17trampoline_kernelINS0_14default_configENS1_22reduce_config_selectorIlEEZNS1_11reduce_implILb1ES3_PlS7_lN6hipcub16HIPCUB_304000_NS6detail34convert_binary_result_type_wrapperINS9_3SumENS9_22TransformInputIteratorIb7NonZeroIdEPdlEElEEEE10hipError_tPvRmT1_T2_T3_mT4_P12ihipStream_tbEUlT_E0_NS1_11comp_targetILNS1_3genE8ELNS1_11target_archE1030ELNS1_3gpuE2ELNS1_3repE0EEENS1_30default_config_static_selectorELNS0_4arch9wavefront6targetE1EEEvSM_
                                        ; -- End function
	.set _ZN7rocprim17ROCPRIM_400000_NS6detail17trampoline_kernelINS0_14default_configENS1_22reduce_config_selectorIlEEZNS1_11reduce_implILb1ES3_PlS7_lN6hipcub16HIPCUB_304000_NS6detail34convert_binary_result_type_wrapperINS9_3SumENS9_22TransformInputIteratorIb7NonZeroIdEPdlEElEEEE10hipError_tPvRmT1_T2_T3_mT4_P12ihipStream_tbEUlT_E0_NS1_11comp_targetILNS1_3genE8ELNS1_11target_archE1030ELNS1_3gpuE2ELNS1_3repE0EEENS1_30default_config_static_selectorELNS0_4arch9wavefront6targetE1EEEvSM_.num_vgpr, 0
	.set _ZN7rocprim17ROCPRIM_400000_NS6detail17trampoline_kernelINS0_14default_configENS1_22reduce_config_selectorIlEEZNS1_11reduce_implILb1ES3_PlS7_lN6hipcub16HIPCUB_304000_NS6detail34convert_binary_result_type_wrapperINS9_3SumENS9_22TransformInputIteratorIb7NonZeroIdEPdlEElEEEE10hipError_tPvRmT1_T2_T3_mT4_P12ihipStream_tbEUlT_E0_NS1_11comp_targetILNS1_3genE8ELNS1_11target_archE1030ELNS1_3gpuE2ELNS1_3repE0EEENS1_30default_config_static_selectorELNS0_4arch9wavefront6targetE1EEEvSM_.num_agpr, 0
	.set _ZN7rocprim17ROCPRIM_400000_NS6detail17trampoline_kernelINS0_14default_configENS1_22reduce_config_selectorIlEEZNS1_11reduce_implILb1ES3_PlS7_lN6hipcub16HIPCUB_304000_NS6detail34convert_binary_result_type_wrapperINS9_3SumENS9_22TransformInputIteratorIb7NonZeroIdEPdlEElEEEE10hipError_tPvRmT1_T2_T3_mT4_P12ihipStream_tbEUlT_E0_NS1_11comp_targetILNS1_3genE8ELNS1_11target_archE1030ELNS1_3gpuE2ELNS1_3repE0EEENS1_30default_config_static_selectorELNS0_4arch9wavefront6targetE1EEEvSM_.numbered_sgpr, 0
	.set _ZN7rocprim17ROCPRIM_400000_NS6detail17trampoline_kernelINS0_14default_configENS1_22reduce_config_selectorIlEEZNS1_11reduce_implILb1ES3_PlS7_lN6hipcub16HIPCUB_304000_NS6detail34convert_binary_result_type_wrapperINS9_3SumENS9_22TransformInputIteratorIb7NonZeroIdEPdlEElEEEE10hipError_tPvRmT1_T2_T3_mT4_P12ihipStream_tbEUlT_E0_NS1_11comp_targetILNS1_3genE8ELNS1_11target_archE1030ELNS1_3gpuE2ELNS1_3repE0EEENS1_30default_config_static_selectorELNS0_4arch9wavefront6targetE1EEEvSM_.num_named_barrier, 0
	.set _ZN7rocprim17ROCPRIM_400000_NS6detail17trampoline_kernelINS0_14default_configENS1_22reduce_config_selectorIlEEZNS1_11reduce_implILb1ES3_PlS7_lN6hipcub16HIPCUB_304000_NS6detail34convert_binary_result_type_wrapperINS9_3SumENS9_22TransformInputIteratorIb7NonZeroIdEPdlEElEEEE10hipError_tPvRmT1_T2_T3_mT4_P12ihipStream_tbEUlT_E0_NS1_11comp_targetILNS1_3genE8ELNS1_11target_archE1030ELNS1_3gpuE2ELNS1_3repE0EEENS1_30default_config_static_selectorELNS0_4arch9wavefront6targetE1EEEvSM_.private_seg_size, 0
	.set _ZN7rocprim17ROCPRIM_400000_NS6detail17trampoline_kernelINS0_14default_configENS1_22reduce_config_selectorIlEEZNS1_11reduce_implILb1ES3_PlS7_lN6hipcub16HIPCUB_304000_NS6detail34convert_binary_result_type_wrapperINS9_3SumENS9_22TransformInputIteratorIb7NonZeroIdEPdlEElEEEE10hipError_tPvRmT1_T2_T3_mT4_P12ihipStream_tbEUlT_E0_NS1_11comp_targetILNS1_3genE8ELNS1_11target_archE1030ELNS1_3gpuE2ELNS1_3repE0EEENS1_30default_config_static_selectorELNS0_4arch9wavefront6targetE1EEEvSM_.uses_vcc, 0
	.set _ZN7rocprim17ROCPRIM_400000_NS6detail17trampoline_kernelINS0_14default_configENS1_22reduce_config_selectorIlEEZNS1_11reduce_implILb1ES3_PlS7_lN6hipcub16HIPCUB_304000_NS6detail34convert_binary_result_type_wrapperINS9_3SumENS9_22TransformInputIteratorIb7NonZeroIdEPdlEElEEEE10hipError_tPvRmT1_T2_T3_mT4_P12ihipStream_tbEUlT_E0_NS1_11comp_targetILNS1_3genE8ELNS1_11target_archE1030ELNS1_3gpuE2ELNS1_3repE0EEENS1_30default_config_static_selectorELNS0_4arch9wavefront6targetE1EEEvSM_.uses_flat_scratch, 0
	.set _ZN7rocprim17ROCPRIM_400000_NS6detail17trampoline_kernelINS0_14default_configENS1_22reduce_config_selectorIlEEZNS1_11reduce_implILb1ES3_PlS7_lN6hipcub16HIPCUB_304000_NS6detail34convert_binary_result_type_wrapperINS9_3SumENS9_22TransformInputIteratorIb7NonZeroIdEPdlEElEEEE10hipError_tPvRmT1_T2_T3_mT4_P12ihipStream_tbEUlT_E0_NS1_11comp_targetILNS1_3genE8ELNS1_11target_archE1030ELNS1_3gpuE2ELNS1_3repE0EEENS1_30default_config_static_selectorELNS0_4arch9wavefront6targetE1EEEvSM_.has_dyn_sized_stack, 0
	.set _ZN7rocprim17ROCPRIM_400000_NS6detail17trampoline_kernelINS0_14default_configENS1_22reduce_config_selectorIlEEZNS1_11reduce_implILb1ES3_PlS7_lN6hipcub16HIPCUB_304000_NS6detail34convert_binary_result_type_wrapperINS9_3SumENS9_22TransformInputIteratorIb7NonZeroIdEPdlEElEEEE10hipError_tPvRmT1_T2_T3_mT4_P12ihipStream_tbEUlT_E0_NS1_11comp_targetILNS1_3genE8ELNS1_11target_archE1030ELNS1_3gpuE2ELNS1_3repE0EEENS1_30default_config_static_selectorELNS0_4arch9wavefront6targetE1EEEvSM_.has_recursion, 0
	.set _ZN7rocprim17ROCPRIM_400000_NS6detail17trampoline_kernelINS0_14default_configENS1_22reduce_config_selectorIlEEZNS1_11reduce_implILb1ES3_PlS7_lN6hipcub16HIPCUB_304000_NS6detail34convert_binary_result_type_wrapperINS9_3SumENS9_22TransformInputIteratorIb7NonZeroIdEPdlEElEEEE10hipError_tPvRmT1_T2_T3_mT4_P12ihipStream_tbEUlT_E0_NS1_11comp_targetILNS1_3genE8ELNS1_11target_archE1030ELNS1_3gpuE2ELNS1_3repE0EEENS1_30default_config_static_selectorELNS0_4arch9wavefront6targetE1EEEvSM_.has_indirect_call, 0
	.section	.AMDGPU.csdata,"",@progbits
; Kernel info:
; codeLenInByte = 0
; TotalNumSgprs: 6
; NumVgprs: 0
; NumAgprs: 0
; TotalNumVgprs: 0
; ScratchSize: 0
; MemoryBound: 0
; FloatMode: 240
; IeeeMode: 1
; LDSByteSize: 0 bytes/workgroup (compile time only)
; SGPRBlocks: 0
; VGPRBlocks: 0
; NumSGPRsForWavesPerEU: 6
; NumVGPRsForWavesPerEU: 1
; AccumOffset: 4
; Occupancy: 8
; WaveLimiterHint : 0
; COMPUTE_PGM_RSRC2:SCRATCH_EN: 0
; COMPUTE_PGM_RSRC2:USER_SGPR: 2
; COMPUTE_PGM_RSRC2:TRAP_HANDLER: 0
; COMPUTE_PGM_RSRC2:TGID_X_EN: 1
; COMPUTE_PGM_RSRC2:TGID_Y_EN: 0
; COMPUTE_PGM_RSRC2:TGID_Z_EN: 0
; COMPUTE_PGM_RSRC2:TIDIG_COMP_CNT: 0
; COMPUTE_PGM_RSRC3_GFX90A:ACCUM_OFFSET: 0
; COMPUTE_PGM_RSRC3_GFX90A:TG_SPLIT: 0
	.section	.text._ZN7rocprim17ROCPRIM_400000_NS6detail17trampoline_kernelINS0_14default_configENS1_22reduce_config_selectorIlEEZNS1_11reduce_implILb1ES3_PlS7_lN6hipcub16HIPCUB_304000_NS6detail34convert_binary_result_type_wrapperINS9_3SumENS9_22TransformInputIteratorIb7NonZeroIdEPdlEElEEEE10hipError_tPvRmT1_T2_T3_mT4_P12ihipStream_tbEUlT_E1_NS1_11comp_targetILNS1_3genE0ELNS1_11target_archE4294967295ELNS1_3gpuE0ELNS1_3repE0EEENS1_30default_config_static_selectorELNS0_4arch9wavefront6targetE1EEEvSM_,"axG",@progbits,_ZN7rocprim17ROCPRIM_400000_NS6detail17trampoline_kernelINS0_14default_configENS1_22reduce_config_selectorIlEEZNS1_11reduce_implILb1ES3_PlS7_lN6hipcub16HIPCUB_304000_NS6detail34convert_binary_result_type_wrapperINS9_3SumENS9_22TransformInputIteratorIb7NonZeroIdEPdlEElEEEE10hipError_tPvRmT1_T2_T3_mT4_P12ihipStream_tbEUlT_E1_NS1_11comp_targetILNS1_3genE0ELNS1_11target_archE4294967295ELNS1_3gpuE0ELNS1_3repE0EEENS1_30default_config_static_selectorELNS0_4arch9wavefront6targetE1EEEvSM_,comdat
	.protected	_ZN7rocprim17ROCPRIM_400000_NS6detail17trampoline_kernelINS0_14default_configENS1_22reduce_config_selectorIlEEZNS1_11reduce_implILb1ES3_PlS7_lN6hipcub16HIPCUB_304000_NS6detail34convert_binary_result_type_wrapperINS9_3SumENS9_22TransformInputIteratorIb7NonZeroIdEPdlEElEEEE10hipError_tPvRmT1_T2_T3_mT4_P12ihipStream_tbEUlT_E1_NS1_11comp_targetILNS1_3genE0ELNS1_11target_archE4294967295ELNS1_3gpuE0ELNS1_3repE0EEENS1_30default_config_static_selectorELNS0_4arch9wavefront6targetE1EEEvSM_ ; -- Begin function _ZN7rocprim17ROCPRIM_400000_NS6detail17trampoline_kernelINS0_14default_configENS1_22reduce_config_selectorIlEEZNS1_11reduce_implILb1ES3_PlS7_lN6hipcub16HIPCUB_304000_NS6detail34convert_binary_result_type_wrapperINS9_3SumENS9_22TransformInputIteratorIb7NonZeroIdEPdlEElEEEE10hipError_tPvRmT1_T2_T3_mT4_P12ihipStream_tbEUlT_E1_NS1_11comp_targetILNS1_3genE0ELNS1_11target_archE4294967295ELNS1_3gpuE0ELNS1_3repE0EEENS1_30default_config_static_selectorELNS0_4arch9wavefront6targetE1EEEvSM_
	.globl	_ZN7rocprim17ROCPRIM_400000_NS6detail17trampoline_kernelINS0_14default_configENS1_22reduce_config_selectorIlEEZNS1_11reduce_implILb1ES3_PlS7_lN6hipcub16HIPCUB_304000_NS6detail34convert_binary_result_type_wrapperINS9_3SumENS9_22TransformInputIteratorIb7NonZeroIdEPdlEElEEEE10hipError_tPvRmT1_T2_T3_mT4_P12ihipStream_tbEUlT_E1_NS1_11comp_targetILNS1_3genE0ELNS1_11target_archE4294967295ELNS1_3gpuE0ELNS1_3repE0EEENS1_30default_config_static_selectorELNS0_4arch9wavefront6targetE1EEEvSM_
	.p2align	8
	.type	_ZN7rocprim17ROCPRIM_400000_NS6detail17trampoline_kernelINS0_14default_configENS1_22reduce_config_selectorIlEEZNS1_11reduce_implILb1ES3_PlS7_lN6hipcub16HIPCUB_304000_NS6detail34convert_binary_result_type_wrapperINS9_3SumENS9_22TransformInputIteratorIb7NonZeroIdEPdlEElEEEE10hipError_tPvRmT1_T2_T3_mT4_P12ihipStream_tbEUlT_E1_NS1_11comp_targetILNS1_3genE0ELNS1_11target_archE4294967295ELNS1_3gpuE0ELNS1_3repE0EEENS1_30default_config_static_selectorELNS0_4arch9wavefront6targetE1EEEvSM_,@function
_ZN7rocprim17ROCPRIM_400000_NS6detail17trampoline_kernelINS0_14default_configENS1_22reduce_config_selectorIlEEZNS1_11reduce_implILb1ES3_PlS7_lN6hipcub16HIPCUB_304000_NS6detail34convert_binary_result_type_wrapperINS9_3SumENS9_22TransformInputIteratorIb7NonZeroIdEPdlEElEEEE10hipError_tPvRmT1_T2_T3_mT4_P12ihipStream_tbEUlT_E1_NS1_11comp_targetILNS1_3genE0ELNS1_11target_archE4294967295ELNS1_3gpuE0ELNS1_3repE0EEENS1_30default_config_static_selectorELNS0_4arch9wavefront6targetE1EEEvSM_: ; @_ZN7rocprim17ROCPRIM_400000_NS6detail17trampoline_kernelINS0_14default_configENS1_22reduce_config_selectorIlEEZNS1_11reduce_implILb1ES3_PlS7_lN6hipcub16HIPCUB_304000_NS6detail34convert_binary_result_type_wrapperINS9_3SumENS9_22TransformInputIteratorIb7NonZeroIdEPdlEElEEEE10hipError_tPvRmT1_T2_T3_mT4_P12ihipStream_tbEUlT_E1_NS1_11comp_targetILNS1_3genE0ELNS1_11target_archE4294967295ELNS1_3gpuE0ELNS1_3repE0EEENS1_30default_config_static_selectorELNS0_4arch9wavefront6targetE1EEEvSM_
; %bb.0:
	s_load_dword s33, s[0:1], 0x4
	s_load_dwordx8 s[36:43], s[0:1], 0x8
	s_waitcnt lgkmcnt(0)
	s_cmp_lt_i32 s33, 4
	s_cbranch_scc1 .LBB294_10
; %bb.1:
	s_cmp_gt_i32 s33, 7
	s_cbranch_scc0 .LBB294_11
; %bb.2:
	s_cmp_gt_i32 s33, 15
	s_cbranch_scc0 .LBB294_12
; %bb.3:
	s_mov_b64 s[30:31], 0
	s_cmp_eq_u32 s33, 16
	s_mov_b64 s[0:1], 0
                                        ; implicit-def: $vgpr2_vgpr3
                                        ; implicit-def: $vgpr4_vgpr5
	s_cbranch_scc0 .LBB294_13
; %bb.4:
	s_mov_b32 s3, 0
	s_lshl_b32 s0, s2, 12
	s_mov_b32 s1, s3
	s_lshr_b64 s[4:5], s[38:39], 12
	s_lshl_b64 s[6:7], s[0:1], 3
	s_add_u32 s34, s36, s6
	s_addc_u32 s35, s37, s7
	s_cmp_lg_u64 s[4:5], s[2:3]
	s_cbranch_scc0 .LBB294_21
; %bb.5:
	v_lshlrev_b32_e32 v2, 3, v0
	v_mov_b32_e32 v3, 0
	v_lshl_add_u64 v[4:5], s[34:35], 0, v[2:3]
	global_load_dwordx2 v[6:7], v2, s[34:35]
	global_load_dwordx2 v[8:9], v2, s[34:35] offset:2048
	v_add_co_u32_e32 v10, vcc, 0x1000, v4
	v_mov_b32_e32 v38, v3
	s_nop 0
	v_addc_co_u32_e32 v11, vcc, 0, v5, vcc
	v_add_co_u32_e32 v12, vcc, 0x2000, v4
	v_mov_b32_e32 v40, v3
	s_nop 0
	v_addc_co_u32_e32 v13, vcc, 0, v5, vcc
	global_load_dwordx2 v[14:15], v[10:11], off
	global_load_dwordx2 v[16:17], v[10:11], off offset:2048
	global_load_dwordx2 v[18:19], v[12:13], off
	global_load_dwordx2 v[20:21], v[12:13], off offset:2048
	v_add_co_u32_e32 v10, vcc, 0x3000, v4
	v_mov_b32_e32 v42, v3
	s_nop 0
	v_addc_co_u32_e32 v11, vcc, 0, v5, vcc
	v_add_co_u32_e32 v12, vcc, 0x4000, v4
	v_mov_b32_e32 v44, v3
	s_nop 0
	v_addc_co_u32_e32 v13, vcc, 0, v5, vcc
	global_load_dwordx2 v[22:23], v[10:11], off
	global_load_dwordx2 v[24:25], v[10:11], off offset:2048
	global_load_dwordx2 v[26:27], v[12:13], off
	global_load_dwordx2 v[28:29], v[12:13], off offset:2048
	v_add_co_u32_e32 v10, vcc, 0x5000, v4
	v_mbcnt_lo_u32_b32 v1, -1, 0
	s_nop 0
	v_addc_co_u32_e32 v11, vcc, 0, v5, vcc
	v_add_co_u32_e32 v12, vcc, 0x6000, v4
	v_mov_b32_e32 v46, v3
	s_nop 0
	v_addc_co_u32_e32 v13, vcc, 0, v5, vcc
	global_load_dwordx2 v[30:31], v[10:11], off
	global_load_dwordx2 v[32:33], v[10:11], off offset:2048
	global_load_dwordx2 v[34:35], v[12:13], off
	global_load_dwordx2 v[36:37], v[12:13], off offset:2048
	v_add_co_u32_e32 v4, vcc, 0x7000, v4
	v_mbcnt_hi_u32_b32 v1, -1, v1
	s_nop 0
	v_addc_co_u32_e32 v5, vcc, 0, v5, vcc
	global_load_dwordx2 v[10:11], v[4:5], off
	global_load_dwordx2 v[12:13], v[4:5], off offset:2048
	v_lshlrev_b32_e32 v4, 2, v1
	v_or_b32_e32 v5, 0xfc, v4
	v_cmp_eq_u32_e32 vcc, 0, v1
	s_waitcnt vmcnt(14)
	v_lshl_add_u64 v[6:7], v[8:9], 0, v[6:7]
	s_waitcnt vmcnt(13)
	v_lshl_add_u64 v[6:7], v[6:7], 0, v[14:15]
	;; [unrolled: 2-line block ×15, first 2 shown]
	s_nop 1
	v_mov_b32_dpp v2, v6 quad_perm:[1,0,3,2] row_mask:0xf bank_mask:0xf bound_ctrl:1
	v_mov_b32_dpp v39, v7 quad_perm:[1,0,3,2] row_mask:0xf bank_mask:0xf bound_ctrl:1
	v_lshl_add_u64 v[6:7], v[6:7], 0, v[2:3]
	v_lshl_add_u64 v[8:9], v[38:39], 0, v[6:7]
	s_nop 0
	v_mov_b32_dpp v2, v6 quad_perm:[2,3,0,1] row_mask:0xf bank_mask:0xf bound_ctrl:1
	v_mov_b32_dpp v41, v9 quad_perm:[2,3,0,1] row_mask:0xf bank_mask:0xf bound_ctrl:1
	v_lshl_add_u64 v[6:7], v[8:9], 0, v[2:3]
	v_lshl_add_u64 v[8:9], v[6:7], 0, v[40:41]
	s_nop 0
	v_mov_b32_dpp v2, v6 row_ror:4 row_mask:0xf bank_mask:0xf bound_ctrl:1
	v_mov_b32_dpp v43, v9 row_ror:4 row_mask:0xf bank_mask:0xf bound_ctrl:1
	v_lshl_add_u64 v[6:7], v[8:9], 0, v[2:3]
	v_lshl_add_u64 v[8:9], v[6:7], 0, v[42:43]
	s_nop 0
	v_mov_b32_dpp v2, v6 row_ror:8 row_mask:0xf bank_mask:0xf bound_ctrl:1
	v_mov_b32_dpp v45, v9 row_ror:8 row_mask:0xf bank_mask:0xf bound_ctrl:1
	v_lshl_add_u64 v[6:7], v[8:9], 0, v[2:3]
	v_lshl_add_u64 v[8:9], v[6:7], 0, v[44:45]
	s_nop 0
	v_mov_b32_dpp v2, v6 row_bcast:15 row_mask:0xf bank_mask:0xf bound_ctrl:1
	v_mov_b32_dpp v47, v9 row_bcast:15 row_mask:0xf bank_mask:0xf bound_ctrl:1
	v_lshl_add_u64 v[6:7], v[8:9], 0, v[2:3]
	v_lshl_add_u64 v[8:9], v[6:7], 0, v[46:47]
	s_nop 0
	v_mov_b32_dpp v2, v6 row_bcast:31 row_mask:0xf bank_mask:0xf bound_ctrl:1
	v_lshl_add_u64 v[2:3], v[8:9], 0, v[2:3]
	ds_bpermute_b32 v2, v5, v2
	s_nop 0
	v_add_u32_dpp v3, v9, v3 row_bcast:31 row_mask:0xf bank_mask:0xf bound_ctrl:1
	ds_bpermute_b32 v3, v5, v3
	s_and_saveexec_b64 s[4:5], vcc
	s_cbranch_execz .LBB294_7
; %bb.6:
	v_lshrrev_b32_e32 v5, 3, v0
	v_and_b32_e32 v5, 24, v5
	s_waitcnt lgkmcnt(0)
	ds_write_b64 v5, v[2:3]
.LBB294_7:
	s_or_b64 exec, exec, s[4:5]
	v_cmp_gt_u32_e32 vcc, 64, v0
	s_waitcnt lgkmcnt(0)
	s_barrier
	s_and_saveexec_b64 s[4:5], vcc
	s_cbranch_execz .LBB294_9
; %bb.8:
	v_and_b32_e32 v5, 3, v1
	v_lshlrev_b32_e32 v2, 3, v5
	ds_read_b64 v[2:3], v2
	v_cmp_ne_u32_e32 vcc, 3, v5
	v_mov_b32_e32 v8, 0
	v_mov_b32_e32 v7, v8
	v_addc_co_u32_e32 v1, vcc, 0, v1, vcc
	v_lshlrev_b32_e32 v1, 2, v1
	s_waitcnt lgkmcnt(0)
	ds_bpermute_b32 v6, v1, v2
	ds_bpermute_b32 v9, v1, v3
	v_or_b32_e32 v1, 8, v4
	s_waitcnt lgkmcnt(1)
	v_lshl_add_u64 v[2:3], v[2:3], 0, v[6:7]
	s_waitcnt lgkmcnt(0)
	v_lshl_add_u64 v[4:5], v[8:9], 0, v[2:3]
	ds_bpermute_b32 v2, v1, v2
	ds_bpermute_b32 v9, v1, v5
	v_mov_b32_e32 v3, v8
	s_waitcnt lgkmcnt(1)
	v_lshl_add_u64 v[2:3], v[4:5], 0, v[2:3]
	s_waitcnt lgkmcnt(0)
	v_lshl_add_u64 v[2:3], v[2:3], 0, v[8:9]
.LBB294_9:
	s_or_b64 exec, exec, s[4:5]
	s_mov_b64 s[4:5], 0
	s_branch .LBB294_22
.LBB294_10:
	s_mov_b64 s[0:1], 0
                                        ; implicit-def: $vgpr2_vgpr3
                                        ; implicit-def: $vgpr4_vgpr5
	s_cbranch_execnz .LBB294_121
	s_branch .LBB294_166
.LBB294_11:
	s_mov_b64 s[0:1], 0
                                        ; implicit-def: $vgpr2_vgpr3
                                        ; implicit-def: $vgpr4_vgpr5
	s_cbranch_execnz .LBB294_94
	s_branch .LBB294_120
.LBB294_12:
	s_mov_b64 s[30:31], -1
	s_mov_b64 s[0:1], 0
                                        ; implicit-def: $vgpr2_vgpr3
                                        ; implicit-def: $vgpr4_vgpr5
.LBB294_13:
	s_and_b64 vcc, exec, s[30:31]
	s_cbranch_vccz .LBB294_93
.LBB294_14:
	s_cmp_eq_u32 s33, 8
                                        ; implicit-def: $vgpr2_vgpr3
                                        ; implicit-def: $vgpr4_vgpr5
	s_cbranch_scc0 .LBB294_93
; %bb.15:
	s_mov_b32 s3, 0
	s_lshl_b32 s0, s2, 11
	s_mov_b32 s1, s3
	s_lshr_b64 s[4:5], s[38:39], 11
	s_lshl_b64 s[6:7], s[0:1], 3
	s_add_u32 s14, s36, s6
	s_addc_u32 s15, s37, s7
	s_cmp_lg_u64 s[4:5], s[2:3]
	s_cbranch_scc0 .LBB294_65
; %bb.16:
	v_lshlrev_b32_e32 v2, 3, v0
	v_mov_b32_e32 v3, 0
	v_lshl_add_u64 v[4:5], s[14:15], 0, v[2:3]
	s_waitcnt lgkmcnt(0)
	global_load_dwordx2 v[6:7], v2, s[14:15]
	global_load_dwordx2 v[8:9], v2, s[14:15] offset:2048
	v_add_co_u32_e32 v10, vcc, 0x1000, v4
	v_mov_b32_e32 v22, v3
	s_nop 0
	v_addc_co_u32_e32 v11, vcc, 0, v5, vcc
	v_add_co_u32_e32 v12, vcc, 0x2000, v4
	v_mov_b32_e32 v24, v3
	s_nop 0
	v_addc_co_u32_e32 v13, vcc, 0, v5, vcc
	global_load_dwordx2 v[14:15], v[10:11], off
	global_load_dwordx2 v[16:17], v[10:11], off offset:2048
	global_load_dwordx2 v[18:19], v[12:13], off
	global_load_dwordx2 v[20:21], v[12:13], off offset:2048
	v_add_co_u32_e32 v4, vcc, 0x3000, v4
	v_mov_b32_e32 v26, v3
	s_nop 0
	v_addc_co_u32_e32 v5, vcc, 0, v5, vcc
	global_load_dwordx2 v[10:11], v[4:5], off
	global_load_dwordx2 v[12:13], v[4:5], off offset:2048
	v_mov_b32_e32 v28, v3
	v_mbcnt_lo_u32_b32 v1, -1, 0
	v_mov_b32_e32 v30, v3
	v_mbcnt_hi_u32_b32 v1, -1, v1
	v_lshlrev_b32_e32 v4, 2, v1
	v_or_b32_e32 v5, 0xfc, v4
	v_cmp_eq_u32_e32 vcc, 0, v1
	s_waitcnt vmcnt(6)
	v_lshl_add_u64 v[6:7], v[8:9], 0, v[6:7]
	s_waitcnt vmcnt(5)
	v_lshl_add_u64 v[6:7], v[6:7], 0, v[14:15]
	;; [unrolled: 2-line block ×7, first 2 shown]
	s_nop 1
	v_mov_b32_dpp v2, v6 quad_perm:[1,0,3,2] row_mask:0xf bank_mask:0xf bound_ctrl:1
	v_mov_b32_dpp v23, v7 quad_perm:[1,0,3,2] row_mask:0xf bank_mask:0xf bound_ctrl:1
	v_lshl_add_u64 v[6:7], v[6:7], 0, v[2:3]
	v_lshl_add_u64 v[8:9], v[22:23], 0, v[6:7]
	s_nop 0
	v_mov_b32_dpp v2, v6 quad_perm:[2,3,0,1] row_mask:0xf bank_mask:0xf bound_ctrl:1
	v_mov_b32_dpp v25, v9 quad_perm:[2,3,0,1] row_mask:0xf bank_mask:0xf bound_ctrl:1
	v_lshl_add_u64 v[6:7], v[8:9], 0, v[2:3]
	v_lshl_add_u64 v[8:9], v[6:7], 0, v[24:25]
	s_nop 0
	v_mov_b32_dpp v2, v6 row_ror:4 row_mask:0xf bank_mask:0xf bound_ctrl:1
	v_mov_b32_dpp v27, v9 row_ror:4 row_mask:0xf bank_mask:0xf bound_ctrl:1
	v_lshl_add_u64 v[6:7], v[8:9], 0, v[2:3]
	v_lshl_add_u64 v[8:9], v[6:7], 0, v[26:27]
	s_nop 0
	v_mov_b32_dpp v2, v6 row_ror:8 row_mask:0xf bank_mask:0xf bound_ctrl:1
	v_mov_b32_dpp v29, v9 row_ror:8 row_mask:0xf bank_mask:0xf bound_ctrl:1
	v_lshl_add_u64 v[6:7], v[8:9], 0, v[2:3]
	v_lshl_add_u64 v[8:9], v[6:7], 0, v[28:29]
	s_nop 0
	v_mov_b32_dpp v2, v6 row_bcast:15 row_mask:0xf bank_mask:0xf bound_ctrl:1
	v_mov_b32_dpp v31, v9 row_bcast:15 row_mask:0xf bank_mask:0xf bound_ctrl:1
	v_lshl_add_u64 v[6:7], v[8:9], 0, v[2:3]
	v_lshl_add_u64 v[8:9], v[6:7], 0, v[30:31]
	s_nop 0
	v_mov_b32_dpp v2, v6 row_bcast:31 row_mask:0xf bank_mask:0xf bound_ctrl:1
	v_lshl_add_u64 v[2:3], v[8:9], 0, v[2:3]
	ds_bpermute_b32 v2, v5, v2
	s_nop 0
	v_add_u32_dpp v3, v9, v3 row_bcast:31 row_mask:0xf bank_mask:0xf bound_ctrl:1
	ds_bpermute_b32 v3, v5, v3
	s_and_saveexec_b64 s[4:5], vcc
	s_cbranch_execz .LBB294_18
; %bb.17:
	v_lshrrev_b32_e32 v5, 3, v0
	v_and_b32_e32 v5, 24, v5
	s_waitcnt lgkmcnt(0)
	ds_write_b64 v5, v[2:3] offset:128
.LBB294_18:
	s_or_b64 exec, exec, s[4:5]
	v_cmp_gt_u32_e32 vcc, 64, v0
	s_waitcnt lgkmcnt(0)
	s_barrier
	s_and_saveexec_b64 s[4:5], vcc
	s_cbranch_execz .LBB294_20
; %bb.19:
	v_and_b32_e32 v5, 3, v1
	v_lshlrev_b32_e32 v2, 3, v5
	ds_read_b64 v[2:3], v2 offset:128
	v_cmp_ne_u32_e32 vcc, 3, v5
	v_mov_b32_e32 v8, 0
	v_mov_b32_e32 v7, v8
	v_addc_co_u32_e32 v1, vcc, 0, v1, vcc
	v_lshlrev_b32_e32 v1, 2, v1
	s_waitcnt lgkmcnt(0)
	ds_bpermute_b32 v6, v1, v2
	ds_bpermute_b32 v9, v1, v3
	v_or_b32_e32 v1, 8, v4
	s_waitcnt lgkmcnt(1)
	v_lshl_add_u64 v[2:3], v[2:3], 0, v[6:7]
	s_waitcnt lgkmcnt(0)
	v_lshl_add_u64 v[4:5], v[8:9], 0, v[2:3]
	ds_bpermute_b32 v2, v1, v2
	ds_bpermute_b32 v9, v1, v5
	v_mov_b32_e32 v3, v8
	s_waitcnt lgkmcnt(1)
	v_lshl_add_u64 v[2:3], v[4:5], 0, v[2:3]
	s_waitcnt lgkmcnt(0)
	v_lshl_add_u64 v[2:3], v[2:3], 0, v[8:9]
.LBB294_20:
	s_or_b64 exec, exec, s[4:5]
	s_mov_b64 s[4:5], 0
	s_branch .LBB294_66
.LBB294_21:
	s_mov_b64 s[4:5], -1
                                        ; implicit-def: $vgpr2_vgpr3
.LBB294_22:
	s_and_b64 vcc, exec, s[4:5]
	s_cbranch_vccz .LBB294_64
; %bb.23:
	s_sub_i32 s46, s38, s0
	v_mov_b32_e32 v2, 0
	v_cmp_gt_u32_e32 vcc, s46, v0
	v_mov_b32_e32 v3, v2
	v_mov_b32_e32 v4, v2
	;; [unrolled: 1-line block ×31, first 2 shown]
	s_and_saveexec_b64 s[0:1], vcc
	s_cbranch_execz .LBB294_25
; %bb.24:
	v_lshlrev_b32_e32 v1, 3, v0
	global_load_dwordx2 v[4:5], v1, s[34:35]
	v_mov_b32_e32 v6, v2
	v_mov_b32_e32 v7, v2
	;; [unrolled: 1-line block ×30, first 2 shown]
	s_waitcnt vmcnt(0)
	v_mov_b64_e32 v[2:3], v[4:5]
	v_mov_b64_e32 v[4:5], v[6:7]
	;; [unrolled: 1-line block ×16, first 2 shown]
.LBB294_25:
	s_or_b64 exec, exec, s[0:1]
	v_or_b32_e32 v1, 0x100, v0
	v_cmp_gt_u32_e32 vcc, s46, v1
	s_and_saveexec_b64 s[0:1], vcc
	s_cbranch_execz .LBB294_27
; %bb.26:
	v_lshlrev_b32_e32 v1, 3, v0
	global_load_dwordx2 v[4:5], v1, s[34:35] offset:2048
.LBB294_27:
	s_or_b64 exec, exec, s[0:1]
	v_or_b32_e32 v1, 0x200, v0
	v_cmp_gt_u32_e64 s[0:1], s46, v1
	s_and_saveexec_b64 s[4:5], s[0:1]
	s_cbranch_execz .LBB294_29
; %bb.28:
	v_lshlrev_b32_e32 v1, 3, v1
	global_load_dwordx2 v[6:7], v1, s[34:35]
.LBB294_29:
	s_or_b64 exec, exec, s[4:5]
	v_or_b32_e32 v1, 0x300, v0
	v_cmp_gt_u32_e64 s[4:5], s46, v1
	s_and_saveexec_b64 s[6:7], s[4:5]
	s_cbranch_execz .LBB294_31
; %bb.30:
	v_lshlrev_b32_e32 v1, 3, v1
	global_load_dwordx2 v[8:9], v1, s[34:35]
.LBB294_31:
	;; [unrolled: 9-line block ×14, first 2 shown]
	s_or_b64 exec, exec, s[44:45]
	s_waitcnt vmcnt(0)
	v_cndmask_b32_e32 v5, 0, v5, vcc
	v_cndmask_b32_e32 v4, 0, v4, vcc
	v_lshl_add_u64 v[2:3], v[4:5], 0, v[2:3]
	v_cndmask_b32_e64 v5, 0, v7, s[0:1]
	v_cndmask_b32_e64 v4, 0, v6, s[0:1]
	v_lshl_add_u64 v[2:3], v[2:3], 0, v[4:5]
	v_cndmask_b32_e64 v5, 0, v9, s[4:5]
	v_cndmask_b32_e64 v4, 0, v8, s[4:5]
	v_lshl_add_u64 v[2:3], v[2:3], 0, v[4:5]
	v_cndmask_b32_e64 v5, 0, v11, s[6:7]
	v_cndmask_b32_e64 v4, 0, v10, s[6:7]
	v_lshl_add_u64 v[2:3], v[2:3], 0, v[4:5]
	v_cndmask_b32_e64 v5, 0, v13, s[8:9]
	v_cndmask_b32_e64 v4, 0, v12, s[8:9]
	v_lshl_add_u64 v[2:3], v[2:3], 0, v[4:5]
	v_cndmask_b32_e64 v5, 0, v15, s[10:11]
	v_cndmask_b32_e64 v4, 0, v14, s[10:11]
	v_lshl_add_u64 v[2:3], v[2:3], 0, v[4:5]
	v_cndmask_b32_e64 v5, 0, v17, s[12:13]
	v_cndmask_b32_e64 v4, 0, v16, s[12:13]
	v_lshl_add_u64 v[2:3], v[2:3], 0, v[4:5]
	v_cndmask_b32_e64 v5, 0, v19, s[14:15]
	v_cndmask_b32_e64 v4, 0, v18, s[14:15]
	v_lshl_add_u64 v[2:3], v[2:3], 0, v[4:5]
	v_cndmask_b32_e64 v5, 0, v21, s[16:17]
	v_cndmask_b32_e64 v4, 0, v20, s[16:17]
	v_lshl_add_u64 v[2:3], v[2:3], 0, v[4:5]
	v_cndmask_b32_e64 v5, 0, v23, s[18:19]
	v_cndmask_b32_e64 v4, 0, v22, s[18:19]
	v_lshl_add_u64 v[2:3], v[2:3], 0, v[4:5]
	v_cndmask_b32_e64 v5, 0, v25, s[20:21]
	v_cndmask_b32_e64 v4, 0, v24, s[20:21]
	v_lshl_add_u64 v[2:3], v[2:3], 0, v[4:5]
	v_cndmask_b32_e64 v5, 0, v27, s[22:23]
	v_cndmask_b32_e64 v4, 0, v26, s[22:23]
	v_lshl_add_u64 v[2:3], v[2:3], 0, v[4:5]
	v_cndmask_b32_e64 v5, 0, v29, s[24:25]
	v_cndmask_b32_e64 v4, 0, v28, s[24:25]
	v_mbcnt_lo_u32_b32 v1, -1, 0
	v_lshl_add_u64 v[2:3], v[2:3], 0, v[4:5]
	v_cndmask_b32_e64 v5, 0, v31, s[26:27]
	v_cndmask_b32_e64 v4, 0, v30, s[26:27]
	v_mbcnt_hi_u32_b32 v1, -1, v1
	v_lshl_add_u64 v[2:3], v[2:3], 0, v[4:5]
	v_cndmask_b32_e64 v5, 0, v33, s[28:29]
	v_cndmask_b32_e64 v4, 0, v32, s[28:29]
	v_and_b32_e32 v9, 63, v1
	v_lshl_add_u64 v[2:3], v[2:3], 0, v[4:5]
	s_min_u32 s6, s46, 0x100
	v_and_b32_e32 v4, 0xc0, v0
	v_cmp_ne_u32_e32 vcc, 63, v9
	v_sub_u32_e64 v8, s6, v4 clamp
	v_mov_b32_e32 v6, 0
	v_addc_co_u32_e32 v4, vcc, 0, v1, vcc
	v_lshlrev_b32_e32 v5, 2, v4
	ds_bpermute_b32 v4, v5, v2
	ds_bpermute_b32 v7, v5, v3
	v_add_u32_e32 v10, 1, v9
	v_mov_b32_e32 v5, v6
	v_cmp_lt_u32_e64 s[0:1], v10, v8
	s_waitcnt lgkmcnt(1)
	v_lshl_add_u64 v[4:5], v[2:3], 0, v[4:5]
	v_cmp_gt_u32_e32 vcc, 62, v9
	s_waitcnt lgkmcnt(0)
	v_lshl_add_u64 v[6:7], v[4:5], 0, v[6:7]
	v_cndmask_b32_e64 v12, v2, v4, s[0:1]
	v_cndmask_b32_e64 v4, 0, 2, vcc
	v_cndmask_b32_e64 v5, v3, v7, s[0:1]
	v_add_lshl_u32 v4, v4, v1, 2
	ds_bpermute_b32 v10, v4, v12
	ds_bpermute_b32 v11, v4, v5
	v_cndmask_b32_e64 v4, v2, v6, s[0:1]
	v_add_u32_e32 v13, 2, v9
	v_cmp_lt_u32_e32 vcc, v13, v8
	v_cmp_gt_u32_e64 s[4:5], 60, v9
	s_waitcnt lgkmcnt(0)
	v_lshl_add_u64 v[6:7], v[10:11], 0, v[4:5]
	v_cndmask_b32_e32 v5, v5, v7, vcc
	v_cndmask_b32_e64 v7, 0, 4, s[4:5]
	v_cndmask_b32_e32 v12, v12, v6, vcc
	v_add_lshl_u32 v7, v7, v1, 2
	ds_bpermute_b32 v10, v7, v12
	ds_bpermute_b32 v11, v7, v5
	v_cndmask_b32_e32 v4, v4, v6, vcc
	v_add_u32_e32 v13, 4, v9
	v_cmp_lt_u32_e32 vcc, v13, v8
	v_cmp_gt_u32_e64 s[4:5], 56, v9
	s_waitcnt lgkmcnt(0)
	v_lshl_add_u64 v[6:7], v[10:11], 0, v[4:5]
	v_cndmask_b32_e32 v5, v5, v7, vcc
	v_cndmask_b32_e64 v7, 0, 8, s[4:5]
	v_cndmask_b32_e32 v12, v12, v6, vcc
	v_add_lshl_u32 v7, v7, v1, 2
	ds_bpermute_b32 v10, v7, v12
	ds_bpermute_b32 v11, v7, v5
	v_cndmask_b32_e32 v4, v4, v6, vcc
	;; [unrolled: 12-line block ×3, first 2 shown]
	v_add_u32_e32 v13, 16, v9
	v_cmp_lt_u32_e32 vcc, v13, v8
	s_waitcnt lgkmcnt(0)
	v_lshl_add_u64 v[6:7], v[10:11], 0, v[4:5]
	v_lshlrev_b32_e32 v10, 2, v1
	v_cndmask_b32_e32 v13, v5, v7, vcc
	v_cndmask_b32_e32 v11, v12, v6, vcc
	v_or_b32_e32 v12, 0x80, v10
	ds_bpermute_b32 v11, v12, v11
	ds_bpermute_b32 v12, v12, v13
	s_and_saveexec_b64 s[4:5], s[0:1]
	s_cbranch_execz .LBB294_57
; %bb.56:
	v_add_u32_e32 v9, 32, v9
	v_cndmask_b32_e32 v3, v5, v7, vcc
	v_cndmask_b32_e32 v2, v4, v6, vcc
	v_cmp_lt_u32_e32 vcc, v9, v8
	s_waitcnt lgkmcnt(0)
	s_nop 0
	v_cndmask_b32_e32 v5, 0, v12, vcc
	v_cndmask_b32_e32 v4, 0, v11, vcc
	v_lshl_add_u64 v[2:3], v[2:3], 0, v[4:5]
.LBB294_57:
	s_or_b64 exec, exec, s[4:5]
	v_cmp_eq_u32_e32 vcc, 0, v1
	s_and_saveexec_b64 s[0:1], vcc
; %bb.58:
	v_lshrrev_b32_e32 v4, 3, v0
	v_and_b32_e32 v4, 24, v4
	ds_write_b64 v4, v[2:3] offset:160
; %bb.59:
	s_or_b64 exec, exec, s[0:1]
	v_cmp_gt_u32_e32 vcc, 4, v0
	s_waitcnt lgkmcnt(0)
	s_barrier
	s_and_saveexec_b64 s[0:1], vcc
	s_cbranch_execz .LBB294_63
; %bb.60:
	v_lshlrev_b32_e32 v2, 3, v1
	ds_read_b64 v[2:3], v2 offset:160
	v_and_b32_e32 v6, 3, v1
	v_cmp_ne_u32_e32 vcc, 3, v6
	v_mov_b32_e32 v8, 0
	s_add_i32 s6, s6, 63
	v_addc_co_u32_e32 v1, vcc, 0, v1, vcc
	v_lshlrev_b32_e32 v1, 2, v1
	s_waitcnt lgkmcnt(0)
	ds_bpermute_b32 v4, v1, v2
	ds_bpermute_b32 v9, v1, v3
	v_mov_b32_e32 v5, v8
	s_lshr_b32 s6, s6, 6
	v_add_u32_e32 v1, 1, v6
	s_waitcnt lgkmcnt(1)
	v_lshl_add_u64 v[12:13], v[2:3], 0, v[4:5]
	s_waitcnt lgkmcnt(0)
	v_lshl_add_u64 v[4:5], v[8:9], 0, v[12:13]
	v_cmp_gt_u32_e32 vcc, s6, v1
	v_or_b32_e32 v8, 8, v10
	s_nop 0
	v_cndmask_b32_e32 v7, v3, v5, vcc
	v_cndmask_b32_e32 v1, v2, v12, vcc
	ds_bpermute_b32 v1, v8, v1
	ds_bpermute_b32 v7, v8, v7
	s_and_saveexec_b64 s[4:5], vcc
	s_cbranch_execz .LBB294_62
; %bb.61:
	v_add_u32_e32 v2, 2, v6
	v_cmp_gt_u32_e32 vcc, s6, v2
	s_waitcnt lgkmcnt(0)
	s_nop 0
	v_cndmask_b32_e32 v3, 0, v7, vcc
	v_cndmask_b32_e32 v2, 0, v1, vcc
	v_lshl_add_u64 v[2:3], v[2:3], 0, v[4:5]
.LBB294_62:
	s_or_b64 exec, exec, s[4:5]
.LBB294_63:
	s_or_b64 exec, exec, s[0:1]
.LBB294_64:
	v_cmp_eq_u32_e64 s[0:1], 0, v0
	v_mov_b64_e32 v[4:5], s[2:3]
	s_and_b64 vcc, exec, s[30:31]
	s_cbranch_vccnz .LBB294_14
	s_branch .LBB294_93
.LBB294_65:
	s_mov_b64 s[4:5], -1
                                        ; implicit-def: $vgpr2_vgpr3
.LBB294_66:
	s_and_b64 vcc, exec, s[4:5]
	s_cbranch_vccz .LBB294_92
; %bb.67:
	s_sub_i32 s18, s38, s0
	v_mov_b32_e32 v2, 0
	v_cmp_gt_u32_e32 vcc, s18, v0
	v_mov_b32_e32 v3, v2
	v_mov_b32_e32 v4, v2
	;; [unrolled: 1-line block ×4, first 2 shown]
	s_waitcnt lgkmcnt(0)
	v_mov_b32_e32 v7, v2
	v_mov_b32_e32 v8, v2
	;; [unrolled: 1-line block ×11, first 2 shown]
	s_and_saveexec_b64 s[0:1], vcc
	s_cbranch_execz .LBB294_69
; %bb.68:
	v_lshlrev_b32_e32 v1, 3, v0
	global_load_dwordx2 v[4:5], v1, s[14:15]
	v_mov_b32_e32 v6, v2
	v_mov_b32_e32 v7, v2
	v_mov_b32_e32 v8, v2
	v_mov_b32_e32 v9, v2
	v_mov_b32_e32 v10, v2
	v_mov_b32_e32 v11, v2
	v_mov_b32_e32 v12, v2
	v_mov_b32_e32 v13, v2
	v_mov_b32_e32 v14, v2
	v_mov_b32_e32 v15, v2
	v_mov_b32_e32 v16, v2
	v_mov_b32_e32 v17, v2
	v_mov_b32_e32 v18, v2
	v_mov_b32_e32 v19, v2
	s_waitcnt vmcnt(0)
	v_mov_b64_e32 v[2:3], v[4:5]
	v_mov_b64_e32 v[4:5], v[6:7]
	;; [unrolled: 1-line block ×8, first 2 shown]
.LBB294_69:
	s_or_b64 exec, exec, s[0:1]
	v_or_b32_e32 v1, 0x100, v0
	v_cmp_gt_u32_e32 vcc, s18, v1
	s_and_saveexec_b64 s[0:1], vcc
	s_cbranch_execz .LBB294_71
; %bb.70:
	v_lshlrev_b32_e32 v1, 3, v0
	global_load_dwordx2 v[4:5], v1, s[14:15] offset:2048
.LBB294_71:
	s_or_b64 exec, exec, s[0:1]
	v_or_b32_e32 v1, 0x200, v0
	v_cmp_gt_u32_e64 s[0:1], s18, v1
	s_and_saveexec_b64 s[4:5], s[0:1]
	s_cbranch_execz .LBB294_73
; %bb.72:
	v_lshlrev_b32_e32 v1, 3, v1
	global_load_dwordx2 v[6:7], v1, s[14:15]
.LBB294_73:
	s_or_b64 exec, exec, s[4:5]
	v_or_b32_e32 v1, 0x300, v0
	v_cmp_gt_u32_e64 s[4:5], s18, v1
	s_and_saveexec_b64 s[6:7], s[4:5]
	s_cbranch_execz .LBB294_75
; %bb.74:
	v_lshlrev_b32_e32 v1, 3, v1
	global_load_dwordx2 v[8:9], v1, s[14:15]
.LBB294_75:
	;; [unrolled: 9-line block ×6, first 2 shown]
	s_or_b64 exec, exec, s[16:17]
	s_waitcnt vmcnt(0)
	v_cndmask_b32_e32 v5, 0, v5, vcc
	v_cndmask_b32_e32 v4, 0, v4, vcc
	v_lshl_add_u64 v[2:3], v[4:5], 0, v[2:3]
	v_cndmask_b32_e64 v5, 0, v7, s[0:1]
	v_cndmask_b32_e64 v4, 0, v6, s[0:1]
	v_lshl_add_u64 v[2:3], v[2:3], 0, v[4:5]
	v_cndmask_b32_e64 v5, 0, v9, s[4:5]
	v_cndmask_b32_e64 v4, 0, v8, s[4:5]
	v_lshl_add_u64 v[2:3], v[2:3], 0, v[4:5]
	v_cndmask_b32_e64 v5, 0, v11, s[6:7]
	v_cndmask_b32_e64 v4, 0, v10, s[6:7]
	v_lshl_add_u64 v[2:3], v[2:3], 0, v[4:5]
	v_cndmask_b32_e64 v5, 0, v13, s[8:9]
	v_cndmask_b32_e64 v4, 0, v12, s[8:9]
	v_mbcnt_lo_u32_b32 v1, -1, 0
	v_lshl_add_u64 v[2:3], v[2:3], 0, v[4:5]
	v_cndmask_b32_e64 v5, 0, v15, s[10:11]
	v_cndmask_b32_e64 v4, 0, v14, s[10:11]
	v_mbcnt_hi_u32_b32 v1, -1, v1
	v_lshl_add_u64 v[2:3], v[2:3], 0, v[4:5]
	v_cndmask_b32_e64 v5, 0, v17, s[12:13]
	v_cndmask_b32_e64 v4, 0, v16, s[12:13]
	v_and_b32_e32 v9, 63, v1
	v_lshl_add_u64 v[2:3], v[2:3], 0, v[4:5]
	s_min_u32 s6, s18, 0x100
	v_and_b32_e32 v4, 0xc0, v0
	v_cmp_ne_u32_e32 vcc, 63, v9
	v_sub_u32_e64 v8, s6, v4 clamp
	v_mov_b32_e32 v6, 0
	v_addc_co_u32_e32 v4, vcc, 0, v1, vcc
	v_lshlrev_b32_e32 v5, 2, v4
	ds_bpermute_b32 v4, v5, v2
	ds_bpermute_b32 v7, v5, v3
	v_add_u32_e32 v10, 1, v9
	v_mov_b32_e32 v5, v6
	v_cmp_lt_u32_e64 s[0:1], v10, v8
	s_waitcnt lgkmcnt(1)
	v_lshl_add_u64 v[4:5], v[2:3], 0, v[4:5]
	v_cmp_gt_u32_e32 vcc, 62, v9
	s_waitcnt lgkmcnt(0)
	v_lshl_add_u64 v[6:7], v[4:5], 0, v[6:7]
	v_cndmask_b32_e64 v12, v2, v4, s[0:1]
	v_cndmask_b32_e64 v4, 0, 2, vcc
	v_cndmask_b32_e64 v5, v3, v7, s[0:1]
	v_add_lshl_u32 v4, v4, v1, 2
	ds_bpermute_b32 v10, v4, v12
	ds_bpermute_b32 v11, v4, v5
	v_cndmask_b32_e64 v4, v2, v6, s[0:1]
	v_add_u32_e32 v13, 2, v9
	v_cmp_lt_u32_e32 vcc, v13, v8
	v_cmp_gt_u32_e64 s[4:5], 60, v9
	s_waitcnt lgkmcnt(0)
	v_lshl_add_u64 v[6:7], v[10:11], 0, v[4:5]
	v_cndmask_b32_e32 v5, v5, v7, vcc
	v_cndmask_b32_e64 v7, 0, 4, s[4:5]
	v_cndmask_b32_e32 v12, v12, v6, vcc
	v_add_lshl_u32 v7, v7, v1, 2
	ds_bpermute_b32 v10, v7, v12
	ds_bpermute_b32 v11, v7, v5
	v_cndmask_b32_e32 v4, v4, v6, vcc
	v_add_u32_e32 v13, 4, v9
	v_cmp_lt_u32_e32 vcc, v13, v8
	v_cmp_gt_u32_e64 s[4:5], 56, v9
	s_waitcnt lgkmcnt(0)
	v_lshl_add_u64 v[6:7], v[10:11], 0, v[4:5]
	v_cndmask_b32_e32 v5, v5, v7, vcc
	v_cndmask_b32_e64 v7, 0, 8, s[4:5]
	v_cndmask_b32_e32 v12, v12, v6, vcc
	v_add_lshl_u32 v7, v7, v1, 2
	ds_bpermute_b32 v10, v7, v12
	ds_bpermute_b32 v11, v7, v5
	v_cndmask_b32_e32 v4, v4, v6, vcc
	;; [unrolled: 12-line block ×3, first 2 shown]
	v_add_u32_e32 v13, 16, v9
	v_cmp_lt_u32_e32 vcc, v13, v8
	s_waitcnt lgkmcnt(0)
	v_lshl_add_u64 v[6:7], v[10:11], 0, v[4:5]
	v_lshlrev_b32_e32 v10, 2, v1
	v_cndmask_b32_e32 v13, v5, v7, vcc
	v_cndmask_b32_e32 v11, v12, v6, vcc
	v_or_b32_e32 v12, 0x80, v10
	ds_bpermute_b32 v11, v12, v11
	ds_bpermute_b32 v12, v12, v13
	s_and_saveexec_b64 s[4:5], s[0:1]
	s_cbranch_execz .LBB294_85
; %bb.84:
	v_add_u32_e32 v9, 32, v9
	v_cndmask_b32_e32 v3, v5, v7, vcc
	v_cndmask_b32_e32 v2, v4, v6, vcc
	v_cmp_lt_u32_e32 vcc, v9, v8
	s_waitcnt lgkmcnt(0)
	s_nop 0
	v_cndmask_b32_e32 v5, 0, v12, vcc
	v_cndmask_b32_e32 v4, 0, v11, vcc
	v_lshl_add_u64 v[2:3], v[2:3], 0, v[4:5]
.LBB294_85:
	s_or_b64 exec, exec, s[4:5]
	v_cmp_eq_u32_e32 vcc, 0, v1
	s_and_saveexec_b64 s[0:1], vcc
; %bb.86:
	v_lshrrev_b32_e32 v4, 3, v0
	v_and_b32_e32 v4, 24, v4
	ds_write_b64 v4, v[2:3] offset:160
; %bb.87:
	s_or_b64 exec, exec, s[0:1]
	v_cmp_gt_u32_e32 vcc, 4, v0
	s_waitcnt lgkmcnt(0)
	s_barrier
	s_and_saveexec_b64 s[0:1], vcc
	s_cbranch_execz .LBB294_91
; %bb.88:
	v_lshlrev_b32_e32 v2, 3, v1
	ds_read_b64 v[2:3], v2 offset:160
	v_and_b32_e32 v6, 3, v1
	v_cmp_ne_u32_e32 vcc, 3, v6
	v_mov_b32_e32 v8, 0
	s_add_i32 s6, s6, 63
	v_addc_co_u32_e32 v1, vcc, 0, v1, vcc
	v_lshlrev_b32_e32 v1, 2, v1
	s_waitcnt lgkmcnt(0)
	ds_bpermute_b32 v4, v1, v2
	ds_bpermute_b32 v9, v1, v3
	v_mov_b32_e32 v5, v8
	s_lshr_b32 s6, s6, 6
	v_add_u32_e32 v1, 1, v6
	s_waitcnt lgkmcnt(1)
	v_lshl_add_u64 v[12:13], v[2:3], 0, v[4:5]
	s_waitcnt lgkmcnt(0)
	v_lshl_add_u64 v[4:5], v[8:9], 0, v[12:13]
	v_cmp_gt_u32_e32 vcc, s6, v1
	v_or_b32_e32 v8, 8, v10
	s_nop 0
	v_cndmask_b32_e32 v7, v3, v5, vcc
	v_cndmask_b32_e32 v1, v2, v12, vcc
	ds_bpermute_b32 v1, v8, v1
	ds_bpermute_b32 v7, v8, v7
	s_and_saveexec_b64 s[4:5], vcc
	s_cbranch_execz .LBB294_90
; %bb.89:
	v_add_u32_e32 v2, 2, v6
	v_cmp_gt_u32_e32 vcc, s6, v2
	s_waitcnt lgkmcnt(0)
	s_nop 0
	v_cndmask_b32_e32 v3, 0, v7, vcc
	v_cndmask_b32_e32 v2, 0, v1, vcc
	v_lshl_add_u64 v[2:3], v[2:3], 0, v[4:5]
.LBB294_90:
	s_or_b64 exec, exec, s[4:5]
.LBB294_91:
	s_or_b64 exec, exec, s[0:1]
.LBB294_92:
	v_cmp_eq_u32_e64 s[0:1], 0, v0
	v_mov_b64_e32 v[4:5], s[2:3]
.LBB294_93:
	s_branch .LBB294_120
.LBB294_94:
	s_cmp_eq_u32 s33, 4
                                        ; implicit-def: $vgpr2_vgpr3
                                        ; implicit-def: $vgpr4_vgpr5
	s_cbranch_scc0 .LBB294_120
; %bb.95:
	s_mov_b32 s3, 0
	s_lshl_b32 s0, s2, 10
	s_mov_b32 s1, s3
	s_lshr_b64 s[4:5], s[38:39], 10
	s_lshl_b64 s[6:7], s[0:1], 3
	s_add_u32 s6, s36, s6
	s_addc_u32 s7, s37, s7
	s_cmp_lg_u64 s[4:5], s[2:3]
	s_cbranch_scc0 .LBB294_101
; %bb.96:
	v_lshlrev_b32_e32 v2, 3, v0
	v_mov_b32_e32 v3, 0
	v_lshl_add_u64 v[4:5], s[6:7], 0, v[2:3]
	v_add_co_u32_e32 v4, vcc, 0x1000, v4
	v_mov_b32_e32 v14, v3
	s_nop 0
	v_addc_co_u32_e32 v5, vcc, 0, v5, vcc
	s_waitcnt lgkmcnt(0)
	global_load_dwordx2 v[6:7], v2, s[6:7]
	global_load_dwordx2 v[8:9], v2, s[6:7] offset:2048
	global_load_dwordx2 v[10:11], v[4:5], off
	global_load_dwordx2 v[12:13], v[4:5], off offset:2048
	v_mov_b32_e32 v16, v3
	v_mov_b32_e32 v18, v3
	;; [unrolled: 1-line block ×3, first 2 shown]
	v_mbcnt_lo_u32_b32 v1, -1, 0
	v_mov_b32_e32 v22, v3
	v_mbcnt_hi_u32_b32 v1, -1, v1
	v_lshlrev_b32_e32 v4, 2, v1
	v_or_b32_e32 v5, 0xfc, v4
	v_cmp_eq_u32_e32 vcc, 0, v1
	s_waitcnt vmcnt(2)
	v_lshl_add_u64 v[6:7], v[8:9], 0, v[6:7]
	s_waitcnt vmcnt(1)
	v_lshl_add_u64 v[6:7], v[6:7], 0, v[10:11]
	;; [unrolled: 2-line block ×3, first 2 shown]
	s_nop 1
	v_mov_b32_dpp v2, v6 quad_perm:[1,0,3,2] row_mask:0xf bank_mask:0xf bound_ctrl:1
	v_mov_b32_dpp v15, v7 quad_perm:[1,0,3,2] row_mask:0xf bank_mask:0xf bound_ctrl:1
	v_lshl_add_u64 v[6:7], v[6:7], 0, v[2:3]
	v_lshl_add_u64 v[8:9], v[14:15], 0, v[6:7]
	s_nop 0
	v_mov_b32_dpp v2, v6 quad_perm:[2,3,0,1] row_mask:0xf bank_mask:0xf bound_ctrl:1
	v_mov_b32_dpp v17, v9 quad_perm:[2,3,0,1] row_mask:0xf bank_mask:0xf bound_ctrl:1
	v_lshl_add_u64 v[6:7], v[8:9], 0, v[2:3]
	v_lshl_add_u64 v[8:9], v[6:7], 0, v[16:17]
	s_nop 0
	v_mov_b32_dpp v2, v6 row_ror:4 row_mask:0xf bank_mask:0xf bound_ctrl:1
	v_mov_b32_dpp v19, v9 row_ror:4 row_mask:0xf bank_mask:0xf bound_ctrl:1
	v_lshl_add_u64 v[6:7], v[8:9], 0, v[2:3]
	v_lshl_add_u64 v[8:9], v[6:7], 0, v[18:19]
	s_nop 0
	v_mov_b32_dpp v2, v6 row_ror:8 row_mask:0xf bank_mask:0xf bound_ctrl:1
	v_mov_b32_dpp v21, v9 row_ror:8 row_mask:0xf bank_mask:0xf bound_ctrl:1
	v_lshl_add_u64 v[6:7], v[8:9], 0, v[2:3]
	v_lshl_add_u64 v[8:9], v[6:7], 0, v[20:21]
	s_nop 0
	v_mov_b32_dpp v2, v6 row_bcast:15 row_mask:0xf bank_mask:0xf bound_ctrl:1
	v_mov_b32_dpp v23, v9 row_bcast:15 row_mask:0xf bank_mask:0xf bound_ctrl:1
	v_lshl_add_u64 v[6:7], v[8:9], 0, v[2:3]
	v_lshl_add_u64 v[8:9], v[6:7], 0, v[22:23]
	s_nop 0
	v_mov_b32_dpp v2, v6 row_bcast:31 row_mask:0xf bank_mask:0xf bound_ctrl:1
	v_lshl_add_u64 v[2:3], v[8:9], 0, v[2:3]
	ds_bpermute_b32 v2, v5, v2
	s_nop 0
	v_add_u32_dpp v3, v9, v3 row_bcast:31 row_mask:0xf bank_mask:0xf bound_ctrl:1
	ds_bpermute_b32 v3, v5, v3
	s_and_saveexec_b64 s[4:5], vcc
	s_cbranch_execz .LBB294_98
; %bb.97:
	v_lshrrev_b32_e32 v5, 3, v0
	v_and_b32_e32 v5, 24, v5
	s_waitcnt lgkmcnt(0)
	ds_write_b64 v5, v[2:3] offset:96
.LBB294_98:
	s_or_b64 exec, exec, s[4:5]
	v_cmp_gt_u32_e32 vcc, 64, v0
	s_waitcnt lgkmcnt(0)
	s_barrier
	s_and_saveexec_b64 s[4:5], vcc
	s_cbranch_execz .LBB294_100
; %bb.99:
	v_and_b32_e32 v5, 3, v1
	v_lshlrev_b32_e32 v2, 3, v5
	ds_read_b64 v[2:3], v2 offset:96
	v_cmp_ne_u32_e32 vcc, 3, v5
	v_mov_b32_e32 v8, 0
	v_mov_b32_e32 v7, v8
	v_addc_co_u32_e32 v1, vcc, 0, v1, vcc
	v_lshlrev_b32_e32 v1, 2, v1
	s_waitcnt lgkmcnt(0)
	ds_bpermute_b32 v6, v1, v2
	ds_bpermute_b32 v9, v1, v3
	v_or_b32_e32 v1, 8, v4
	s_waitcnt lgkmcnt(1)
	v_lshl_add_u64 v[2:3], v[2:3], 0, v[6:7]
	s_waitcnt lgkmcnt(0)
	v_lshl_add_u64 v[4:5], v[8:9], 0, v[2:3]
	ds_bpermute_b32 v2, v1, v2
	ds_bpermute_b32 v9, v1, v5
	v_mov_b32_e32 v3, v8
	s_waitcnt lgkmcnt(1)
	v_lshl_add_u64 v[2:3], v[4:5], 0, v[2:3]
	s_waitcnt lgkmcnt(0)
	v_lshl_add_u64 v[2:3], v[2:3], 0, v[8:9]
.LBB294_100:
	s_or_b64 exec, exec, s[4:5]
	s_branch .LBB294_119
.LBB294_101:
                                        ; implicit-def: $vgpr2_vgpr3
	s_cbranch_execz .LBB294_119
; %bb.102:
	s_sub_i32 s10, s38, s0
	v_mov_b32_e32 v2, 0
	v_cmp_gt_u32_e32 vcc, s10, v0
	v_mov_b32_e32 v3, v2
	v_mov_b32_e32 v4, v2
	;; [unrolled: 1-line block ×4, first 2 shown]
	s_waitcnt lgkmcnt(0)
	v_mov_b32_e32 v7, v2
	v_mov_b32_e32 v8, v2
	;; [unrolled: 1-line block ×3, first 2 shown]
	s_and_saveexec_b64 s[0:1], vcc
	s_cbranch_execz .LBB294_104
; %bb.103:
	v_lshlrev_b32_e32 v1, 3, v0
	global_load_dwordx2 v[4:5], v1, s[6:7]
	v_mov_b32_e32 v6, v2
	v_mov_b32_e32 v7, v2
	;; [unrolled: 1-line block ×6, first 2 shown]
	s_waitcnt vmcnt(0)
	v_mov_b64_e32 v[2:3], v[4:5]
	v_mov_b64_e32 v[4:5], v[6:7]
	;; [unrolled: 1-line block ×4, first 2 shown]
.LBB294_104:
	s_or_b64 exec, exec, s[0:1]
	v_or_b32_e32 v1, 0x100, v0
	v_cmp_gt_u32_e32 vcc, s10, v1
	s_and_saveexec_b64 s[0:1], vcc
	s_cbranch_execz .LBB294_106
; %bb.105:
	v_lshlrev_b32_e32 v1, 3, v0
	global_load_dwordx2 v[4:5], v1, s[6:7] offset:2048
.LBB294_106:
	s_or_b64 exec, exec, s[0:1]
	v_or_b32_e32 v1, 0x200, v0
	v_cmp_gt_u32_e64 s[0:1], s10, v1
	s_and_saveexec_b64 s[4:5], s[0:1]
	s_cbranch_execz .LBB294_108
; %bb.107:
	v_lshlrev_b32_e32 v1, 3, v1
	global_load_dwordx2 v[6:7], v1, s[6:7]
.LBB294_108:
	s_or_b64 exec, exec, s[4:5]
	v_or_b32_e32 v1, 0x300, v0
	v_cmp_gt_u32_e64 s[4:5], s10, v1
	s_and_saveexec_b64 s[8:9], s[4:5]
	s_cbranch_execz .LBB294_110
; %bb.109:
	v_lshlrev_b32_e32 v1, 3, v1
	global_load_dwordx2 v[8:9], v1, s[6:7]
.LBB294_110:
	s_or_b64 exec, exec, s[8:9]
	s_waitcnt vmcnt(0)
	v_cndmask_b32_e32 v5, 0, v5, vcc
	v_cndmask_b32_e32 v4, 0, v4, vcc
	v_mbcnt_lo_u32_b32 v1, -1, 0
	v_lshl_add_u64 v[2:3], v[4:5], 0, v[2:3]
	v_cndmask_b32_e64 v5, 0, v7, s[0:1]
	v_cndmask_b32_e64 v4, 0, v6, s[0:1]
	v_mbcnt_hi_u32_b32 v1, -1, v1
	v_lshl_add_u64 v[2:3], v[2:3], 0, v[4:5]
	v_cndmask_b32_e64 v5, 0, v9, s[4:5]
	v_cndmask_b32_e64 v4, 0, v8, s[4:5]
	v_and_b32_e32 v9, 63, v1
	v_lshl_add_u64 v[2:3], v[2:3], 0, v[4:5]
	s_min_u32 s6, s10, 0x100
	v_and_b32_e32 v4, 0xc0, v0
	v_cmp_ne_u32_e32 vcc, 63, v9
	v_sub_u32_e64 v8, s6, v4 clamp
	v_mov_b32_e32 v6, 0
	v_addc_co_u32_e32 v4, vcc, 0, v1, vcc
	v_lshlrev_b32_e32 v5, 2, v4
	ds_bpermute_b32 v4, v5, v2
	ds_bpermute_b32 v7, v5, v3
	v_add_u32_e32 v10, 1, v9
	v_mov_b32_e32 v5, v6
	v_cmp_lt_u32_e64 s[0:1], v10, v8
	s_waitcnt lgkmcnt(1)
	v_lshl_add_u64 v[4:5], v[2:3], 0, v[4:5]
	v_cmp_gt_u32_e32 vcc, 62, v9
	s_waitcnt lgkmcnt(0)
	v_lshl_add_u64 v[6:7], v[6:7], 0, v[4:5]
	v_cndmask_b32_e64 v12, v2, v4, s[0:1]
	v_cndmask_b32_e64 v4, 0, 2, vcc
	v_cndmask_b32_e64 v5, v3, v7, s[0:1]
	v_add_lshl_u32 v4, v4, v1, 2
	ds_bpermute_b32 v10, v4, v12
	ds_bpermute_b32 v11, v4, v5
	v_cndmask_b32_e64 v4, v2, v6, s[0:1]
	v_add_u32_e32 v13, 2, v9
	v_cmp_lt_u32_e32 vcc, v13, v8
	v_cmp_gt_u32_e64 s[4:5], 60, v9
	s_waitcnt lgkmcnt(0)
	v_lshl_add_u64 v[6:7], v[10:11], 0, v[4:5]
	v_cndmask_b32_e32 v5, v5, v7, vcc
	v_cndmask_b32_e64 v7, 0, 4, s[4:5]
	v_cndmask_b32_e32 v12, v12, v6, vcc
	v_add_lshl_u32 v7, v7, v1, 2
	ds_bpermute_b32 v10, v7, v12
	ds_bpermute_b32 v11, v7, v5
	v_cndmask_b32_e32 v4, v4, v6, vcc
	v_add_u32_e32 v13, 4, v9
	v_cmp_lt_u32_e32 vcc, v13, v8
	v_cmp_gt_u32_e64 s[4:5], 56, v9
	s_waitcnt lgkmcnt(0)
	v_lshl_add_u64 v[6:7], v[10:11], 0, v[4:5]
	v_cndmask_b32_e32 v5, v5, v7, vcc
	v_cndmask_b32_e64 v7, 0, 8, s[4:5]
	v_cndmask_b32_e32 v12, v12, v6, vcc
	v_add_lshl_u32 v7, v7, v1, 2
	ds_bpermute_b32 v10, v7, v12
	ds_bpermute_b32 v11, v7, v5
	v_cndmask_b32_e32 v4, v4, v6, vcc
	v_add_u32_e32 v13, 8, v9
	v_cmp_lt_u32_e32 vcc, v13, v8
	v_cmp_gt_u32_e64 s[4:5], 48, v9
	s_waitcnt lgkmcnt(0)
	v_lshl_add_u64 v[6:7], v[10:11], 0, v[4:5]
	v_cndmask_b32_e32 v5, v5, v7, vcc
	v_cndmask_b32_e64 v7, 0, 16, s[4:5]
	v_cndmask_b32_e32 v12, v12, v6, vcc
	v_add_lshl_u32 v7, v7, v1, 2
	ds_bpermute_b32 v10, v7, v12
	ds_bpermute_b32 v11, v7, v5
	v_cndmask_b32_e32 v4, v4, v6, vcc
	v_add_u32_e32 v13, 16, v9
	v_cmp_lt_u32_e32 vcc, v13, v8
	s_waitcnt lgkmcnt(0)
	v_lshl_add_u64 v[6:7], v[10:11], 0, v[4:5]
	v_lshlrev_b32_e32 v10, 2, v1
	v_cndmask_b32_e32 v13, v5, v7, vcc
	v_cndmask_b32_e32 v11, v12, v6, vcc
	v_or_b32_e32 v12, 0x80, v10
	ds_bpermute_b32 v11, v12, v11
	ds_bpermute_b32 v12, v12, v13
	s_and_saveexec_b64 s[4:5], s[0:1]
	s_cbranch_execz .LBB294_112
; %bb.111:
	v_add_u32_e32 v9, 32, v9
	v_cndmask_b32_e32 v3, v5, v7, vcc
	v_cndmask_b32_e32 v2, v4, v6, vcc
	v_cmp_lt_u32_e32 vcc, v9, v8
	s_waitcnt lgkmcnt(0)
	s_nop 0
	v_cndmask_b32_e32 v5, 0, v12, vcc
	v_cndmask_b32_e32 v4, 0, v11, vcc
	v_lshl_add_u64 v[2:3], v[4:5], 0, v[2:3]
.LBB294_112:
	s_or_b64 exec, exec, s[4:5]
	v_cmp_eq_u32_e32 vcc, 0, v1
	s_and_saveexec_b64 s[0:1], vcc
; %bb.113:
	v_lshrrev_b32_e32 v4, 3, v0
	v_and_b32_e32 v4, 24, v4
	ds_write_b64 v4, v[2:3] offset:160
; %bb.114:
	s_or_b64 exec, exec, s[0:1]
	v_cmp_gt_u32_e32 vcc, 4, v0
	s_waitcnt lgkmcnt(0)
	s_barrier
	s_and_saveexec_b64 s[0:1], vcc
	s_cbranch_execz .LBB294_118
; %bb.115:
	v_lshlrev_b32_e32 v2, 3, v1
	ds_read_b64 v[2:3], v2 offset:160
	v_and_b32_e32 v6, 3, v1
	v_cmp_ne_u32_e32 vcc, 3, v6
	v_mov_b32_e32 v8, 0
	s_add_i32 s6, s6, 63
	v_addc_co_u32_e32 v1, vcc, 0, v1, vcc
	v_lshlrev_b32_e32 v1, 2, v1
	s_waitcnt lgkmcnt(0)
	ds_bpermute_b32 v4, v1, v2
	ds_bpermute_b32 v9, v1, v3
	v_mov_b32_e32 v5, v8
	s_lshr_b32 s6, s6, 6
	v_add_u32_e32 v1, 1, v6
	s_waitcnt lgkmcnt(1)
	v_lshl_add_u64 v[12:13], v[2:3], 0, v[4:5]
	s_waitcnt lgkmcnt(0)
	v_lshl_add_u64 v[4:5], v[8:9], 0, v[12:13]
	v_cmp_gt_u32_e32 vcc, s6, v1
	v_or_b32_e32 v8, 8, v10
	s_nop 0
	v_cndmask_b32_e32 v7, v3, v5, vcc
	v_cndmask_b32_e32 v1, v2, v12, vcc
	ds_bpermute_b32 v1, v8, v1
	ds_bpermute_b32 v7, v8, v7
	s_and_saveexec_b64 s[4:5], vcc
	s_cbranch_execz .LBB294_117
; %bb.116:
	v_add_u32_e32 v2, 2, v6
	v_cmp_gt_u32_e32 vcc, s6, v2
	s_waitcnt lgkmcnt(0)
	s_nop 0
	v_cndmask_b32_e32 v3, 0, v7, vcc
	v_cndmask_b32_e32 v2, 0, v1, vcc
	v_lshl_add_u64 v[2:3], v[2:3], 0, v[4:5]
.LBB294_117:
	s_or_b64 exec, exec, s[4:5]
.LBB294_118:
	s_or_b64 exec, exec, s[0:1]
.LBB294_119:
	v_cmp_eq_u32_e64 s[0:1], 0, v0
	v_mov_b64_e32 v[4:5], s[2:3]
.LBB294_120:
	s_branch .LBB294_166
.LBB294_121:
	s_cmp_gt_i32 s33, 1
	s_cbranch_scc0 .LBB294_129
; %bb.122:
	s_cmp_eq_u32 s33, 2
                                        ; implicit-def: $vgpr2_vgpr3
                                        ; implicit-def: $vgpr4_vgpr5
	s_cbranch_scc0 .LBB294_130
; %bb.123:
	s_mov_b32 s3, 0
	s_lshl_b32 s4, s2, 9
	s_mov_b32 s5, s3
	s_lshr_b64 s[6:7], s[38:39], 9
	s_lshl_b64 s[0:1], s[4:5], 3
	s_add_u32 s0, s36, s0
	s_addc_u32 s1, s37, s1
	s_cmp_lg_u64 s[6:7], s[2:3]
	s_cbranch_scc0 .LBB294_131
; %bb.124:
	s_waitcnt lgkmcnt(1)
	v_lshlrev_b32_e32 v1, 3, v0
	global_load_dwordx2 v[2:3], v1, s[0:1]
	s_waitcnt lgkmcnt(0)
	global_load_dwordx2 v[6:7], v1, s[0:1] offset:2048
	v_mov_b32_e32 v8, 0
	v_mov_b32_e32 v11, v8
	;; [unrolled: 1-line block ×6, first 2 shown]
	v_mbcnt_lo_u32_b32 v1, -1, 0
	v_mbcnt_hi_u32_b32 v1, -1, v1
	v_mov_b32_e32 v21, v8
	v_lshlrev_b32_e32 v4, 2, v1
	v_or_b32_e32 v5, 0xfc, v4
	v_cmp_eq_u32_e32 vcc, 0, v1
	s_waitcnt vmcnt(0)
	v_lshl_add_u64 v[2:3], v[6:7], 0, v[2:3]
	s_nop 1
	v_mov_b32_dpp v10, v2 quad_perm:[1,0,3,2] row_mask:0xf bank_mask:0xf bound_ctrl:1
	v_mov_b32_dpp v9, v3 quad_perm:[1,0,3,2] row_mask:0xf bank_mask:0xf bound_ctrl:1
	v_lshl_add_u64 v[2:3], v[2:3], 0, v[10:11]
	v_lshl_add_u64 v[6:7], v[8:9], 0, v[2:3]
	s_nop 0
	v_mov_b32_dpp v12, v2 quad_perm:[2,3,0,1] row_mask:0xf bank_mask:0xf bound_ctrl:1
	v_mov_b32_dpp v9, v7 quad_perm:[2,3,0,1] row_mask:0xf bank_mask:0xf bound_ctrl:1
	v_lshl_add_u64 v[2:3], v[6:7], 0, v[12:13]
	v_lshl_add_u64 v[6:7], v[2:3], 0, v[8:9]
	s_nop 0
	v_mov_b32_dpp v14, v2 row_ror:4 row_mask:0xf bank_mask:0xf bound_ctrl:1
	v_mov_b32_dpp v9, v7 row_ror:4 row_mask:0xf bank_mask:0xf bound_ctrl:1
	v_lshl_add_u64 v[2:3], v[6:7], 0, v[14:15]
	v_lshl_add_u64 v[6:7], v[2:3], 0, v[8:9]
	s_nop 0
	v_mov_b32_dpp v16, v2 row_ror:8 row_mask:0xf bank_mask:0xf bound_ctrl:1
	v_mov_b32_dpp v9, v7 row_ror:8 row_mask:0xf bank_mask:0xf bound_ctrl:1
	v_lshl_add_u64 v[2:3], v[6:7], 0, v[16:17]
	v_lshl_add_u64 v[6:7], v[2:3], 0, v[8:9]
	s_nop 0
	v_mov_b32_dpp v18, v2 row_bcast:15 row_mask:0xf bank_mask:0xf bound_ctrl:1
	v_mov_b32_dpp v9, v7 row_bcast:15 row_mask:0xf bank_mask:0xf bound_ctrl:1
	v_lshl_add_u64 v[2:3], v[6:7], 0, v[18:19]
	v_lshl_add_u64 v[6:7], v[2:3], 0, v[8:9]
	s_nop 0
	v_mov_b32_dpp v20, v2 row_bcast:31 row_mask:0xf bank_mask:0xf bound_ctrl:1
	v_lshl_add_u64 v[2:3], v[6:7], 0, v[20:21]
	ds_bpermute_b32 v2, v5, v2
	s_nop 0
	v_add_u32_dpp v3, v7, v3 row_bcast:31 row_mask:0xf bank_mask:0xf bound_ctrl:1
	ds_bpermute_b32 v3, v5, v3
	s_and_saveexec_b64 s[6:7], vcc
	s_cbranch_execz .LBB294_126
; %bb.125:
	v_lshrrev_b32_e32 v5, 3, v0
	v_and_b32_e32 v5, 24, v5
	s_waitcnt lgkmcnt(0)
	ds_write_b64 v5, v[2:3] offset:64
.LBB294_126:
	s_or_b64 exec, exec, s[6:7]
	v_cmp_gt_u32_e32 vcc, 64, v0
	s_waitcnt lgkmcnt(0)
	s_barrier
	s_and_saveexec_b64 s[6:7], vcc
	s_cbranch_execz .LBB294_128
; %bb.127:
	v_and_b32_e32 v5, 3, v1
	v_lshlrev_b32_e32 v2, 3, v5
	ds_read_b64 v[2:3], v2 offset:64
	v_cmp_ne_u32_e32 vcc, 3, v5
	v_mov_b32_e32 v8, 0
	v_mov_b32_e32 v7, v8
	v_addc_co_u32_e32 v1, vcc, 0, v1, vcc
	v_lshlrev_b32_e32 v1, 2, v1
	s_waitcnt lgkmcnt(0)
	ds_bpermute_b32 v6, v1, v2
	ds_bpermute_b32 v9, v1, v3
	v_or_b32_e32 v1, 8, v4
	s_waitcnt lgkmcnt(1)
	v_lshl_add_u64 v[2:3], v[2:3], 0, v[6:7]
	s_waitcnt lgkmcnt(0)
	v_lshl_add_u64 v[4:5], v[8:9], 0, v[2:3]
	ds_bpermute_b32 v2, v1, v2
	ds_bpermute_b32 v9, v1, v5
	v_mov_b32_e32 v3, v8
	s_waitcnt lgkmcnt(1)
	v_lshl_add_u64 v[2:3], v[4:5], 0, v[2:3]
	s_waitcnt lgkmcnt(0)
	v_lshl_add_u64 v[2:3], v[2:3], 0, v[8:9]
.LBB294_128:
	s_or_b64 exec, exec, s[6:7]
	s_branch .LBB294_145
.LBB294_129:
                                        ; implicit-def: $vgpr2_vgpr3
                                        ; implicit-def: $vgpr4_vgpr5
	s_cbranch_execnz .LBB294_146
	s_branch .LBB294_166
.LBB294_130:
	s_branch .LBB294_166
.LBB294_131:
                                        ; implicit-def: $vgpr2_vgpr3
	s_cbranch_execz .LBB294_145
; %bb.132:
	s_sub_i32 s6, s38, s4
	v_mov_b32_e32 v2, 0
	v_cmp_gt_u32_e32 vcc, s6, v0
	v_mov_b32_e32 v3, v2
	v_mov_b32_e32 v4, v2
	;; [unrolled: 1-line block ×3, first 2 shown]
	s_and_saveexec_b64 s[4:5], vcc
	s_cbranch_execz .LBB294_134
; %bb.133:
	s_waitcnt lgkmcnt(1)
	v_lshlrev_b32_e32 v1, 3, v0
	global_load_dwordx2 v[4:5], v1, s[0:1]
	v_mov_b32_e32 v6, v2
	s_waitcnt lgkmcnt(0)
	v_mov_b32_e32 v7, v2
	s_waitcnt vmcnt(0)
	v_mov_b64_e32 v[2:3], v[4:5]
	v_mov_b64_e32 v[4:5], v[6:7]
.LBB294_134:
	s_or_b64 exec, exec, s[4:5]
	s_waitcnt lgkmcnt(1)
	v_or_b32_e32 v1, 0x100, v0
	v_cmp_gt_u32_e32 vcc, s6, v1
	s_and_saveexec_b64 s[4:5], vcc
	s_cbranch_execz .LBB294_136
; %bb.135:
	v_lshlrev_b32_e32 v1, 3, v0
	global_load_dwordx2 v[4:5], v1, s[0:1] offset:2048
.LBB294_136:
	s_or_b64 exec, exec, s[4:5]
	v_mbcnt_lo_u32_b32 v1, -1, 0
	v_mbcnt_hi_u32_b32 v1, -1, v1
	s_waitcnt vmcnt(0)
	v_cndmask_b32_e32 v5, 0, v5, vcc
	v_cndmask_b32_e32 v4, 0, v4, vcc
	v_and_b32_e32 v9, 63, v1
	v_lshl_add_u64 v[2:3], v[4:5], 0, v[2:3]
	s_min_u32 s6, s6, 0x100
	v_and_b32_e32 v4, 0xc0, v0
	v_cmp_ne_u32_e32 vcc, 63, v9
	v_sub_u32_e64 v8, s6, v4 clamp
	v_mov_b32_e32 v6, 0
	v_addc_co_u32_e32 v4, vcc, 0, v1, vcc
	v_lshlrev_b32_e32 v5, 2, v4
	ds_bpermute_b32 v4, v5, v2
	s_waitcnt lgkmcnt(1)
	ds_bpermute_b32 v7, v5, v3
	v_add_u32_e32 v10, 1, v9
	v_mov_b32_e32 v5, v6
	v_cmp_lt_u32_e64 s[0:1], v10, v8
	s_waitcnt lgkmcnt(1)
	v_lshl_add_u64 v[4:5], v[2:3], 0, v[4:5]
	v_cmp_gt_u32_e32 vcc, 62, v9
	s_waitcnt lgkmcnt(0)
	v_lshl_add_u64 v[6:7], v[6:7], 0, v[4:5]
	v_cndmask_b32_e64 v12, v2, v4, s[0:1]
	v_cndmask_b32_e64 v4, 0, 2, vcc
	v_cndmask_b32_e64 v5, v3, v7, s[0:1]
	v_add_lshl_u32 v4, v4, v1, 2
	ds_bpermute_b32 v10, v4, v12
	ds_bpermute_b32 v11, v4, v5
	v_cndmask_b32_e64 v4, v2, v6, s[0:1]
	v_add_u32_e32 v13, 2, v9
	v_cmp_lt_u32_e32 vcc, v13, v8
	v_cmp_gt_u32_e64 s[4:5], 60, v9
	s_waitcnt lgkmcnt(0)
	v_lshl_add_u64 v[6:7], v[10:11], 0, v[4:5]
	v_cndmask_b32_e32 v5, v5, v7, vcc
	v_cndmask_b32_e64 v7, 0, 4, s[4:5]
	v_cndmask_b32_e32 v12, v12, v6, vcc
	v_add_lshl_u32 v7, v7, v1, 2
	ds_bpermute_b32 v10, v7, v12
	ds_bpermute_b32 v11, v7, v5
	v_cndmask_b32_e32 v4, v4, v6, vcc
	v_add_u32_e32 v13, 4, v9
	v_cmp_lt_u32_e32 vcc, v13, v8
	v_cmp_gt_u32_e64 s[4:5], 56, v9
	s_waitcnt lgkmcnt(0)
	v_lshl_add_u64 v[6:7], v[10:11], 0, v[4:5]
	v_cndmask_b32_e32 v5, v5, v7, vcc
	v_cndmask_b32_e64 v7, 0, 8, s[4:5]
	v_cndmask_b32_e32 v12, v12, v6, vcc
	v_add_lshl_u32 v7, v7, v1, 2
	ds_bpermute_b32 v10, v7, v12
	ds_bpermute_b32 v11, v7, v5
	v_cndmask_b32_e32 v4, v4, v6, vcc
	;; [unrolled: 12-line block ×3, first 2 shown]
	v_add_u32_e32 v13, 16, v9
	v_cmp_lt_u32_e32 vcc, v13, v8
	s_waitcnt lgkmcnt(0)
	v_lshl_add_u64 v[6:7], v[10:11], 0, v[4:5]
	v_lshlrev_b32_e32 v10, 2, v1
	v_cndmask_b32_e32 v13, v5, v7, vcc
	v_cndmask_b32_e32 v11, v12, v6, vcc
	v_or_b32_e32 v12, 0x80, v10
	ds_bpermute_b32 v11, v12, v11
	ds_bpermute_b32 v12, v12, v13
	s_and_saveexec_b64 s[4:5], s[0:1]
	s_cbranch_execz .LBB294_138
; %bb.137:
	v_add_u32_e32 v9, 32, v9
	v_cndmask_b32_e32 v3, v5, v7, vcc
	v_cndmask_b32_e32 v2, v4, v6, vcc
	v_cmp_lt_u32_e32 vcc, v9, v8
	s_waitcnt lgkmcnt(0)
	s_nop 0
	v_cndmask_b32_e32 v5, 0, v12, vcc
	v_cndmask_b32_e32 v4, 0, v11, vcc
	v_lshl_add_u64 v[2:3], v[4:5], 0, v[2:3]
.LBB294_138:
	s_or_b64 exec, exec, s[4:5]
	v_cmp_eq_u32_e32 vcc, 0, v1
	s_and_saveexec_b64 s[0:1], vcc
; %bb.139:
	v_lshrrev_b32_e32 v4, 3, v0
	v_and_b32_e32 v4, 24, v4
	ds_write_b64 v4, v[2:3] offset:160
; %bb.140:
	s_or_b64 exec, exec, s[0:1]
	v_cmp_gt_u32_e32 vcc, 4, v0
	s_waitcnt lgkmcnt(0)
	s_barrier
	s_and_saveexec_b64 s[0:1], vcc
	s_cbranch_execz .LBB294_144
; %bb.141:
	v_lshlrev_b32_e32 v2, 3, v1
	ds_read_b64 v[2:3], v2 offset:160
	v_and_b32_e32 v6, 3, v1
	v_cmp_ne_u32_e32 vcc, 3, v6
	v_mov_b32_e32 v8, 0
	s_add_i32 s6, s6, 63
	v_addc_co_u32_e32 v1, vcc, 0, v1, vcc
	v_lshlrev_b32_e32 v1, 2, v1
	s_waitcnt lgkmcnt(0)
	ds_bpermute_b32 v4, v1, v2
	ds_bpermute_b32 v9, v1, v3
	v_mov_b32_e32 v5, v8
	s_lshr_b32 s6, s6, 6
	v_add_u32_e32 v1, 1, v6
	s_waitcnt lgkmcnt(1)
	v_lshl_add_u64 v[12:13], v[2:3], 0, v[4:5]
	s_waitcnt lgkmcnt(0)
	v_lshl_add_u64 v[4:5], v[8:9], 0, v[12:13]
	v_cmp_gt_u32_e32 vcc, s6, v1
	v_or_b32_e32 v8, 8, v10
	s_nop 0
	v_cndmask_b32_e32 v7, v3, v5, vcc
	v_cndmask_b32_e32 v1, v2, v12, vcc
	ds_bpermute_b32 v1, v8, v1
	ds_bpermute_b32 v7, v8, v7
	s_and_saveexec_b64 s[4:5], vcc
	s_cbranch_execz .LBB294_143
; %bb.142:
	v_add_u32_e32 v2, 2, v6
	v_cmp_gt_u32_e32 vcc, s6, v2
	s_waitcnt lgkmcnt(0)
	s_nop 0
	v_cndmask_b32_e32 v3, 0, v7, vcc
	v_cndmask_b32_e32 v2, 0, v1, vcc
	v_lshl_add_u64 v[2:3], v[2:3], 0, v[4:5]
.LBB294_143:
	s_or_b64 exec, exec, s[4:5]
.LBB294_144:
	s_or_b64 exec, exec, s[0:1]
.LBB294_145:
	v_cmp_eq_u32_e64 s[0:1], 0, v0
	v_mov_b64_e32 v[4:5], s[2:3]
	s_branch .LBB294_166
.LBB294_146:
	s_cmp_eq_u32 s33, 1
                                        ; implicit-def: $vgpr2_vgpr3
                                        ; implicit-def: $vgpr4_vgpr5
	s_cbranch_scc0 .LBB294_166
; %bb.147:
	s_mov_b32 s1, 0
	s_lshl_b32 s0, s2, 8
	s_mov_b32 s3, s1
	s_lshr_b64 s[4:5], s[38:39], 8
	s_cmp_lg_u64 s[4:5], s[2:3]
	s_waitcnt lgkmcnt(1)
	v_mbcnt_lo_u32_b32 v1, -1, 0
	s_cbranch_scc0 .LBB294_153
; %bb.148:
	s_lshl_b64 s[4:5], s[0:1], 3
	s_add_u32 s4, s36, s4
	s_addc_u32 s5, s37, s5
	v_lshlrev_b32_e32 v2, 3, v0
	global_load_dwordx2 v[2:3], v2, s[4:5]
	v_mov_b32_e32 v6, 0
	v_mov_b32_e32 v9, v6
	v_mov_b32_e32 v11, v6
	v_mov_b32_e32 v13, v6
	v_mov_b32_e32 v15, v6
	v_mov_b32_e32 v17, v6
	v_mbcnt_hi_u32_b32 v4, -1, v1
	v_mov_b32_e32 v19, v6
	v_lshlrev_b32_e32 v5, 2, v4
	v_or_b32_e32 v20, 0xfc, v5
	v_cmp_eq_u32_e32 vcc, 0, v4
	s_waitcnt vmcnt(0)
	v_mov_b32_dpp v8, v2 quad_perm:[1,0,3,2] row_mask:0xf bank_mask:0xf bound_ctrl:1
	s_waitcnt lgkmcnt(0)
	v_mov_b32_dpp v7, v3 quad_perm:[1,0,3,2] row_mask:0xf bank_mask:0xf bound_ctrl:1
	v_lshl_add_u64 v[2:3], v[2:3], 0, v[8:9]
	v_lshl_add_u64 v[8:9], v[6:7], 0, v[2:3]
	s_nop 0
	v_mov_b32_dpp v10, v2 quad_perm:[2,3,0,1] row_mask:0xf bank_mask:0xf bound_ctrl:1
	v_mov_b32_dpp v7, v9 quad_perm:[2,3,0,1] row_mask:0xf bank_mask:0xf bound_ctrl:1
	v_lshl_add_u64 v[2:3], v[8:9], 0, v[10:11]
	v_lshl_add_u64 v[8:9], v[2:3], 0, v[6:7]
	s_nop 0
	v_mov_b32_dpp v12, v2 row_ror:4 row_mask:0xf bank_mask:0xf bound_ctrl:1
	v_mov_b32_dpp v7, v9 row_ror:4 row_mask:0xf bank_mask:0xf bound_ctrl:1
	v_lshl_add_u64 v[2:3], v[8:9], 0, v[12:13]
	v_lshl_add_u64 v[8:9], v[2:3], 0, v[6:7]
	s_nop 0
	v_mov_b32_dpp v14, v2 row_ror:8 row_mask:0xf bank_mask:0xf bound_ctrl:1
	v_mov_b32_dpp v7, v9 row_ror:8 row_mask:0xf bank_mask:0xf bound_ctrl:1
	v_lshl_add_u64 v[2:3], v[8:9], 0, v[14:15]
	v_lshl_add_u64 v[8:9], v[2:3], 0, v[6:7]
	s_nop 0
	v_mov_b32_dpp v16, v2 row_bcast:15 row_mask:0xf bank_mask:0xf bound_ctrl:1
	v_mov_b32_dpp v7, v9 row_bcast:15 row_mask:0xf bank_mask:0xf bound_ctrl:1
	v_lshl_add_u64 v[2:3], v[8:9], 0, v[16:17]
	v_lshl_add_u64 v[6:7], v[2:3], 0, v[6:7]
	s_nop 0
	v_mov_b32_dpp v18, v2 row_bcast:31 row_mask:0xf bank_mask:0xf bound_ctrl:1
	v_lshl_add_u64 v[2:3], v[6:7], 0, v[18:19]
	ds_bpermute_b32 v2, v20, v2
	s_nop 0
	v_add_u32_dpp v3, v7, v3 row_bcast:31 row_mask:0xf bank_mask:0xf bound_ctrl:1
	ds_bpermute_b32 v3, v20, v3
	s_and_saveexec_b64 s[4:5], vcc
	s_cbranch_execz .LBB294_150
; %bb.149:
	v_lshrrev_b32_e32 v6, 3, v0
	v_and_b32_e32 v6, 24, v6
	s_waitcnt lgkmcnt(0)
	ds_write_b64 v6, v[2:3] offset:32
.LBB294_150:
	s_or_b64 exec, exec, s[4:5]
	v_cmp_gt_u32_e32 vcc, 64, v0
	s_waitcnt lgkmcnt(0)
	s_barrier
	s_and_saveexec_b64 s[4:5], vcc
	s_cbranch_execz .LBB294_152
; %bb.151:
	v_and_b32_e32 v6, 3, v4
	v_lshlrev_b32_e32 v2, 3, v6
	ds_read_b64 v[2:3], v2 offset:32
	v_cmp_ne_u32_e32 vcc, 3, v6
	v_or_b32_e32 v8, 8, v5
	s_nop 0
	v_addc_co_u32_e32 v4, vcc, 0, v4, vcc
	v_lshlrev_b32_e32 v6, 2, v4
	s_waitcnt lgkmcnt(0)
	ds_bpermute_b32 v4, v6, v2
	ds_bpermute_b32 v7, v6, v3
	v_mov_b32_e32 v6, 0
	v_mov_b32_e32 v5, v6
	s_waitcnt lgkmcnt(1)
	v_lshl_add_u64 v[2:3], v[2:3], 0, v[4:5]
	s_waitcnt lgkmcnt(0)
	v_lshl_add_u64 v[4:5], v[6:7], 0, v[2:3]
	ds_bpermute_b32 v2, v8, v2
	ds_bpermute_b32 v7, v8, v5
	v_mov_b32_e32 v3, v6
	s_waitcnt lgkmcnt(1)
	v_lshl_add_u64 v[2:3], v[4:5], 0, v[2:3]
	s_waitcnt lgkmcnt(0)
	v_lshl_add_u64 v[2:3], v[2:3], 0, v[6:7]
.LBB294_152:
	s_or_b64 exec, exec, s[4:5]
	s_branch .LBB294_165
.LBB294_153:
                                        ; implicit-def: $vgpr2_vgpr3
	s_cbranch_execz .LBB294_165
; %bb.154:
	s_sub_i32 s6, s38, s0
	v_cmp_gt_u32_e32 vcc, s6, v0
                                        ; implicit-def: $vgpr2_vgpr3
	s_and_saveexec_b64 s[4:5], vcc
	s_cbranch_execz .LBB294_156
; %bb.155:
	s_lshl_b64 s[0:1], s[0:1], 3
	s_add_u32 s0, s36, s0
	s_addc_u32 s1, s37, s1
	v_lshlrev_b32_e32 v2, 3, v0
	global_load_dwordx2 v[2:3], v2, s[0:1]
.LBB294_156:
	s_or_b64 exec, exec, s[4:5]
	v_mbcnt_hi_u32_b32 v1, -1, v1
	v_and_b32_e32 v9, 63, v1
	s_min_u32 s6, s6, 0x100
	v_and_b32_e32 v4, 0xc0, v0
	v_cmp_ne_u32_e32 vcc, 63, v9
	v_sub_u32_e64 v8, s6, v4 clamp
	v_mov_b32_e32 v6, 0
	v_addc_co_u32_e32 v4, vcc, 0, v1, vcc
	v_lshlrev_b32_e32 v5, 2, v4
	s_waitcnt vmcnt(0)
	ds_bpermute_b32 v4, v5, v2
	s_waitcnt lgkmcnt(1)
	ds_bpermute_b32 v7, v5, v3
	v_add_u32_e32 v10, 1, v9
	v_mov_b32_e32 v5, v6
	v_cmp_lt_u32_e64 s[0:1], v10, v8
	s_waitcnt lgkmcnt(1)
	v_lshl_add_u64 v[4:5], v[2:3], 0, v[4:5]
	v_cmp_gt_u32_e32 vcc, 62, v9
	s_waitcnt lgkmcnt(0)
	v_lshl_add_u64 v[6:7], v[6:7], 0, v[4:5]
	v_cndmask_b32_e64 v12, v2, v4, s[0:1]
	v_cndmask_b32_e64 v4, 0, 2, vcc
	v_cndmask_b32_e64 v5, v3, v7, s[0:1]
	v_add_lshl_u32 v4, v4, v1, 2
	ds_bpermute_b32 v10, v4, v12
	ds_bpermute_b32 v11, v4, v5
	v_cndmask_b32_e64 v4, v2, v6, s[0:1]
	v_add_u32_e32 v13, 2, v9
	v_cmp_lt_u32_e32 vcc, v13, v8
	v_cmp_gt_u32_e64 s[4:5], 60, v9
	s_waitcnt lgkmcnt(0)
	v_lshl_add_u64 v[6:7], v[10:11], 0, v[4:5]
	v_cndmask_b32_e32 v5, v5, v7, vcc
	v_cndmask_b32_e64 v7, 0, 4, s[4:5]
	v_cndmask_b32_e32 v12, v12, v6, vcc
	v_add_lshl_u32 v7, v7, v1, 2
	ds_bpermute_b32 v10, v7, v12
	ds_bpermute_b32 v11, v7, v5
	v_cndmask_b32_e32 v4, v4, v6, vcc
	v_add_u32_e32 v13, 4, v9
	v_cmp_lt_u32_e32 vcc, v13, v8
	v_cmp_gt_u32_e64 s[4:5], 56, v9
	s_waitcnt lgkmcnt(0)
	v_lshl_add_u64 v[6:7], v[10:11], 0, v[4:5]
	v_cndmask_b32_e32 v5, v5, v7, vcc
	v_cndmask_b32_e64 v7, 0, 8, s[4:5]
	v_cndmask_b32_e32 v12, v12, v6, vcc
	v_add_lshl_u32 v7, v7, v1, 2
	ds_bpermute_b32 v10, v7, v12
	ds_bpermute_b32 v11, v7, v5
	v_cndmask_b32_e32 v4, v4, v6, vcc
	;; [unrolled: 12-line block ×3, first 2 shown]
	v_add_u32_e32 v13, 16, v9
	v_cmp_lt_u32_e32 vcc, v13, v8
	s_waitcnt lgkmcnt(0)
	v_lshl_add_u64 v[6:7], v[10:11], 0, v[4:5]
	v_lshlrev_b32_e32 v10, 2, v1
	v_cndmask_b32_e32 v13, v5, v7, vcc
	v_cndmask_b32_e32 v11, v12, v6, vcc
	v_or_b32_e32 v12, 0x80, v10
	ds_bpermute_b32 v11, v12, v11
	ds_bpermute_b32 v12, v12, v13
	s_and_saveexec_b64 s[4:5], s[0:1]
	s_cbranch_execz .LBB294_158
; %bb.157:
	v_add_u32_e32 v9, 32, v9
	v_cndmask_b32_e32 v3, v5, v7, vcc
	v_cndmask_b32_e32 v2, v4, v6, vcc
	v_cmp_lt_u32_e32 vcc, v9, v8
	s_waitcnt lgkmcnt(0)
	s_nop 0
	v_cndmask_b32_e32 v5, 0, v12, vcc
	v_cndmask_b32_e32 v4, 0, v11, vcc
	v_lshl_add_u64 v[2:3], v[4:5], 0, v[2:3]
.LBB294_158:
	s_or_b64 exec, exec, s[4:5]
	v_cmp_eq_u32_e32 vcc, 0, v1
	s_and_saveexec_b64 s[0:1], vcc
; %bb.159:
	v_lshrrev_b32_e32 v4, 3, v0
	v_and_b32_e32 v4, 24, v4
	ds_write_b64 v4, v[2:3] offset:160
; %bb.160:
	s_or_b64 exec, exec, s[0:1]
	v_cmp_gt_u32_e32 vcc, 4, v0
	s_waitcnt lgkmcnt(0)
	s_barrier
	s_and_saveexec_b64 s[0:1], vcc
	s_cbranch_execz .LBB294_164
; %bb.161:
	v_lshlrev_b32_e32 v2, 3, v1
	ds_read_b64 v[2:3], v2 offset:160
	v_and_b32_e32 v6, 3, v1
	v_cmp_ne_u32_e32 vcc, 3, v6
	v_mov_b32_e32 v8, 0
	s_add_i32 s6, s6, 63
	v_addc_co_u32_e32 v1, vcc, 0, v1, vcc
	v_lshlrev_b32_e32 v1, 2, v1
	s_waitcnt lgkmcnt(0)
	ds_bpermute_b32 v4, v1, v2
	ds_bpermute_b32 v9, v1, v3
	v_mov_b32_e32 v5, v8
	s_lshr_b32 s6, s6, 6
	v_add_u32_e32 v1, 1, v6
	s_waitcnt lgkmcnt(1)
	v_lshl_add_u64 v[12:13], v[2:3], 0, v[4:5]
	s_waitcnt lgkmcnt(0)
	v_lshl_add_u64 v[4:5], v[8:9], 0, v[12:13]
	v_cmp_gt_u32_e32 vcc, s6, v1
	v_or_b32_e32 v8, 8, v10
	s_nop 0
	v_cndmask_b32_e32 v7, v3, v5, vcc
	v_cndmask_b32_e32 v1, v2, v12, vcc
	ds_bpermute_b32 v1, v8, v1
	ds_bpermute_b32 v7, v8, v7
	s_and_saveexec_b64 s[4:5], vcc
	s_cbranch_execz .LBB294_163
; %bb.162:
	v_add_u32_e32 v2, 2, v6
	v_cmp_gt_u32_e32 vcc, s6, v2
	s_waitcnt lgkmcnt(0)
	s_nop 0
	v_cndmask_b32_e32 v3, 0, v7, vcc
	v_cndmask_b32_e32 v2, 0, v1, vcc
	v_lshl_add_u64 v[2:3], v[2:3], 0, v[4:5]
.LBB294_163:
	s_or_b64 exec, exec, s[4:5]
.LBB294_164:
	s_or_b64 exec, exec, s[0:1]
.LBB294_165:
	v_cmp_eq_u32_e64 s[0:1], 0, v0
	v_mov_b64_e32 v[4:5], s[2:3]
.LBB294_166:
	s_and_saveexec_b64 s[2:3], s[0:1]
	s_cbranch_execz .LBB294_168
; %bb.167:
	s_cmp_lg_u64 s[38:39], 0
	s_cselect_b64 vcc, -1, 0
	s_waitcnt lgkmcnt(1)
	v_lshlrev_b64 v[0:1], 3, v[4:5]
	v_cndmask_b32_e32 v3, 0, v3, vcc
	v_cndmask_b32_e32 v2, 0, v2, vcc
	v_lshl_add_u64 v[0:1], s[40:41], 0, v[0:1]
	v_lshl_add_u64 v[2:3], v[2:3], 0, s[42:43]
	global_store_dwordx2 v[0:1], v[2:3], off
.LBB294_168:
	s_endpgm
	.section	.rodata,"a",@progbits
	.p2align	6, 0x0
	.amdhsa_kernel _ZN7rocprim17ROCPRIM_400000_NS6detail17trampoline_kernelINS0_14default_configENS1_22reduce_config_selectorIlEEZNS1_11reduce_implILb1ES3_PlS7_lN6hipcub16HIPCUB_304000_NS6detail34convert_binary_result_type_wrapperINS9_3SumENS9_22TransformInputIteratorIb7NonZeroIdEPdlEElEEEE10hipError_tPvRmT1_T2_T3_mT4_P12ihipStream_tbEUlT_E1_NS1_11comp_targetILNS1_3genE0ELNS1_11target_archE4294967295ELNS1_3gpuE0ELNS1_3repE0EEENS1_30default_config_static_selectorELNS0_4arch9wavefront6targetE1EEEvSM_
		.amdhsa_group_segment_fixed_size 192
		.amdhsa_private_segment_fixed_size 0
		.amdhsa_kernarg_size 48
		.amdhsa_user_sgpr_count 2
		.amdhsa_user_sgpr_dispatch_ptr 0
		.amdhsa_user_sgpr_queue_ptr 0
		.amdhsa_user_sgpr_kernarg_segment_ptr 1
		.amdhsa_user_sgpr_dispatch_id 0
		.amdhsa_user_sgpr_kernarg_preload_length 0
		.amdhsa_user_sgpr_kernarg_preload_offset 0
		.amdhsa_user_sgpr_private_segment_size 0
		.amdhsa_uses_dynamic_stack 0
		.amdhsa_enable_private_segment 0
		.amdhsa_system_sgpr_workgroup_id_x 1
		.amdhsa_system_sgpr_workgroup_id_y 0
		.amdhsa_system_sgpr_workgroup_id_z 0
		.amdhsa_system_sgpr_workgroup_info 0
		.amdhsa_system_vgpr_workitem_id 0
		.amdhsa_next_free_vgpr 48
		.amdhsa_next_free_sgpr 47
		.amdhsa_accum_offset 48
		.amdhsa_reserve_vcc 1
		.amdhsa_float_round_mode_32 0
		.amdhsa_float_round_mode_16_64 0
		.amdhsa_float_denorm_mode_32 3
		.amdhsa_float_denorm_mode_16_64 3
		.amdhsa_dx10_clamp 1
		.amdhsa_ieee_mode 1
		.amdhsa_fp16_overflow 0
		.amdhsa_tg_split 0
		.amdhsa_exception_fp_ieee_invalid_op 0
		.amdhsa_exception_fp_denorm_src 0
		.amdhsa_exception_fp_ieee_div_zero 0
		.amdhsa_exception_fp_ieee_overflow 0
		.amdhsa_exception_fp_ieee_underflow 0
		.amdhsa_exception_fp_ieee_inexact 0
		.amdhsa_exception_int_div_zero 0
	.end_amdhsa_kernel
	.section	.text._ZN7rocprim17ROCPRIM_400000_NS6detail17trampoline_kernelINS0_14default_configENS1_22reduce_config_selectorIlEEZNS1_11reduce_implILb1ES3_PlS7_lN6hipcub16HIPCUB_304000_NS6detail34convert_binary_result_type_wrapperINS9_3SumENS9_22TransformInputIteratorIb7NonZeroIdEPdlEElEEEE10hipError_tPvRmT1_T2_T3_mT4_P12ihipStream_tbEUlT_E1_NS1_11comp_targetILNS1_3genE0ELNS1_11target_archE4294967295ELNS1_3gpuE0ELNS1_3repE0EEENS1_30default_config_static_selectorELNS0_4arch9wavefront6targetE1EEEvSM_,"axG",@progbits,_ZN7rocprim17ROCPRIM_400000_NS6detail17trampoline_kernelINS0_14default_configENS1_22reduce_config_selectorIlEEZNS1_11reduce_implILb1ES3_PlS7_lN6hipcub16HIPCUB_304000_NS6detail34convert_binary_result_type_wrapperINS9_3SumENS9_22TransformInputIteratorIb7NonZeroIdEPdlEElEEEE10hipError_tPvRmT1_T2_T3_mT4_P12ihipStream_tbEUlT_E1_NS1_11comp_targetILNS1_3genE0ELNS1_11target_archE4294967295ELNS1_3gpuE0ELNS1_3repE0EEENS1_30default_config_static_selectorELNS0_4arch9wavefront6targetE1EEEvSM_,comdat
.Lfunc_end294:
	.size	_ZN7rocprim17ROCPRIM_400000_NS6detail17trampoline_kernelINS0_14default_configENS1_22reduce_config_selectorIlEEZNS1_11reduce_implILb1ES3_PlS7_lN6hipcub16HIPCUB_304000_NS6detail34convert_binary_result_type_wrapperINS9_3SumENS9_22TransformInputIteratorIb7NonZeroIdEPdlEElEEEE10hipError_tPvRmT1_T2_T3_mT4_P12ihipStream_tbEUlT_E1_NS1_11comp_targetILNS1_3genE0ELNS1_11target_archE4294967295ELNS1_3gpuE0ELNS1_3repE0EEENS1_30default_config_static_selectorELNS0_4arch9wavefront6targetE1EEEvSM_, .Lfunc_end294-_ZN7rocprim17ROCPRIM_400000_NS6detail17trampoline_kernelINS0_14default_configENS1_22reduce_config_selectorIlEEZNS1_11reduce_implILb1ES3_PlS7_lN6hipcub16HIPCUB_304000_NS6detail34convert_binary_result_type_wrapperINS9_3SumENS9_22TransformInputIteratorIb7NonZeroIdEPdlEElEEEE10hipError_tPvRmT1_T2_T3_mT4_P12ihipStream_tbEUlT_E1_NS1_11comp_targetILNS1_3genE0ELNS1_11target_archE4294967295ELNS1_3gpuE0ELNS1_3repE0EEENS1_30default_config_static_selectorELNS0_4arch9wavefront6targetE1EEEvSM_
                                        ; -- End function
	.set _ZN7rocprim17ROCPRIM_400000_NS6detail17trampoline_kernelINS0_14default_configENS1_22reduce_config_selectorIlEEZNS1_11reduce_implILb1ES3_PlS7_lN6hipcub16HIPCUB_304000_NS6detail34convert_binary_result_type_wrapperINS9_3SumENS9_22TransformInputIteratorIb7NonZeroIdEPdlEElEEEE10hipError_tPvRmT1_T2_T3_mT4_P12ihipStream_tbEUlT_E1_NS1_11comp_targetILNS1_3genE0ELNS1_11target_archE4294967295ELNS1_3gpuE0ELNS1_3repE0EEENS1_30default_config_static_selectorELNS0_4arch9wavefront6targetE1EEEvSM_.num_vgpr, 48
	.set _ZN7rocprim17ROCPRIM_400000_NS6detail17trampoline_kernelINS0_14default_configENS1_22reduce_config_selectorIlEEZNS1_11reduce_implILb1ES3_PlS7_lN6hipcub16HIPCUB_304000_NS6detail34convert_binary_result_type_wrapperINS9_3SumENS9_22TransformInputIteratorIb7NonZeroIdEPdlEElEEEE10hipError_tPvRmT1_T2_T3_mT4_P12ihipStream_tbEUlT_E1_NS1_11comp_targetILNS1_3genE0ELNS1_11target_archE4294967295ELNS1_3gpuE0ELNS1_3repE0EEENS1_30default_config_static_selectorELNS0_4arch9wavefront6targetE1EEEvSM_.num_agpr, 0
	.set _ZN7rocprim17ROCPRIM_400000_NS6detail17trampoline_kernelINS0_14default_configENS1_22reduce_config_selectorIlEEZNS1_11reduce_implILb1ES3_PlS7_lN6hipcub16HIPCUB_304000_NS6detail34convert_binary_result_type_wrapperINS9_3SumENS9_22TransformInputIteratorIb7NonZeroIdEPdlEElEEEE10hipError_tPvRmT1_T2_T3_mT4_P12ihipStream_tbEUlT_E1_NS1_11comp_targetILNS1_3genE0ELNS1_11target_archE4294967295ELNS1_3gpuE0ELNS1_3repE0EEENS1_30default_config_static_selectorELNS0_4arch9wavefront6targetE1EEEvSM_.numbered_sgpr, 47
	.set _ZN7rocprim17ROCPRIM_400000_NS6detail17trampoline_kernelINS0_14default_configENS1_22reduce_config_selectorIlEEZNS1_11reduce_implILb1ES3_PlS7_lN6hipcub16HIPCUB_304000_NS6detail34convert_binary_result_type_wrapperINS9_3SumENS9_22TransformInputIteratorIb7NonZeroIdEPdlEElEEEE10hipError_tPvRmT1_T2_T3_mT4_P12ihipStream_tbEUlT_E1_NS1_11comp_targetILNS1_3genE0ELNS1_11target_archE4294967295ELNS1_3gpuE0ELNS1_3repE0EEENS1_30default_config_static_selectorELNS0_4arch9wavefront6targetE1EEEvSM_.num_named_barrier, 0
	.set _ZN7rocprim17ROCPRIM_400000_NS6detail17trampoline_kernelINS0_14default_configENS1_22reduce_config_selectorIlEEZNS1_11reduce_implILb1ES3_PlS7_lN6hipcub16HIPCUB_304000_NS6detail34convert_binary_result_type_wrapperINS9_3SumENS9_22TransformInputIteratorIb7NonZeroIdEPdlEElEEEE10hipError_tPvRmT1_T2_T3_mT4_P12ihipStream_tbEUlT_E1_NS1_11comp_targetILNS1_3genE0ELNS1_11target_archE4294967295ELNS1_3gpuE0ELNS1_3repE0EEENS1_30default_config_static_selectorELNS0_4arch9wavefront6targetE1EEEvSM_.private_seg_size, 0
	.set _ZN7rocprim17ROCPRIM_400000_NS6detail17trampoline_kernelINS0_14default_configENS1_22reduce_config_selectorIlEEZNS1_11reduce_implILb1ES3_PlS7_lN6hipcub16HIPCUB_304000_NS6detail34convert_binary_result_type_wrapperINS9_3SumENS9_22TransformInputIteratorIb7NonZeroIdEPdlEElEEEE10hipError_tPvRmT1_T2_T3_mT4_P12ihipStream_tbEUlT_E1_NS1_11comp_targetILNS1_3genE0ELNS1_11target_archE4294967295ELNS1_3gpuE0ELNS1_3repE0EEENS1_30default_config_static_selectorELNS0_4arch9wavefront6targetE1EEEvSM_.uses_vcc, 1
	.set _ZN7rocprim17ROCPRIM_400000_NS6detail17trampoline_kernelINS0_14default_configENS1_22reduce_config_selectorIlEEZNS1_11reduce_implILb1ES3_PlS7_lN6hipcub16HIPCUB_304000_NS6detail34convert_binary_result_type_wrapperINS9_3SumENS9_22TransformInputIteratorIb7NonZeroIdEPdlEElEEEE10hipError_tPvRmT1_T2_T3_mT4_P12ihipStream_tbEUlT_E1_NS1_11comp_targetILNS1_3genE0ELNS1_11target_archE4294967295ELNS1_3gpuE0ELNS1_3repE0EEENS1_30default_config_static_selectorELNS0_4arch9wavefront6targetE1EEEvSM_.uses_flat_scratch, 0
	.set _ZN7rocprim17ROCPRIM_400000_NS6detail17trampoline_kernelINS0_14default_configENS1_22reduce_config_selectorIlEEZNS1_11reduce_implILb1ES3_PlS7_lN6hipcub16HIPCUB_304000_NS6detail34convert_binary_result_type_wrapperINS9_3SumENS9_22TransformInputIteratorIb7NonZeroIdEPdlEElEEEE10hipError_tPvRmT1_T2_T3_mT4_P12ihipStream_tbEUlT_E1_NS1_11comp_targetILNS1_3genE0ELNS1_11target_archE4294967295ELNS1_3gpuE0ELNS1_3repE0EEENS1_30default_config_static_selectorELNS0_4arch9wavefront6targetE1EEEvSM_.has_dyn_sized_stack, 0
	.set _ZN7rocprim17ROCPRIM_400000_NS6detail17trampoline_kernelINS0_14default_configENS1_22reduce_config_selectorIlEEZNS1_11reduce_implILb1ES3_PlS7_lN6hipcub16HIPCUB_304000_NS6detail34convert_binary_result_type_wrapperINS9_3SumENS9_22TransformInputIteratorIb7NonZeroIdEPdlEElEEEE10hipError_tPvRmT1_T2_T3_mT4_P12ihipStream_tbEUlT_E1_NS1_11comp_targetILNS1_3genE0ELNS1_11target_archE4294967295ELNS1_3gpuE0ELNS1_3repE0EEENS1_30default_config_static_selectorELNS0_4arch9wavefront6targetE1EEEvSM_.has_recursion, 0
	.set _ZN7rocprim17ROCPRIM_400000_NS6detail17trampoline_kernelINS0_14default_configENS1_22reduce_config_selectorIlEEZNS1_11reduce_implILb1ES3_PlS7_lN6hipcub16HIPCUB_304000_NS6detail34convert_binary_result_type_wrapperINS9_3SumENS9_22TransformInputIteratorIb7NonZeroIdEPdlEElEEEE10hipError_tPvRmT1_T2_T3_mT4_P12ihipStream_tbEUlT_E1_NS1_11comp_targetILNS1_3genE0ELNS1_11target_archE4294967295ELNS1_3gpuE0ELNS1_3repE0EEENS1_30default_config_static_selectorELNS0_4arch9wavefront6targetE1EEEvSM_.has_indirect_call, 0
	.section	.AMDGPU.csdata,"",@progbits
; Kernel info:
; codeLenInByte = 9732
; TotalNumSgprs: 53
; NumVgprs: 48
; NumAgprs: 0
; TotalNumVgprs: 48
; ScratchSize: 0
; MemoryBound: 0
; FloatMode: 240
; IeeeMode: 1
; LDSByteSize: 192 bytes/workgroup (compile time only)
; SGPRBlocks: 6
; VGPRBlocks: 5
; NumSGPRsForWavesPerEU: 53
; NumVGPRsForWavesPerEU: 48
; AccumOffset: 48
; Occupancy: 8
; WaveLimiterHint : 1
; COMPUTE_PGM_RSRC2:SCRATCH_EN: 0
; COMPUTE_PGM_RSRC2:USER_SGPR: 2
; COMPUTE_PGM_RSRC2:TRAP_HANDLER: 0
; COMPUTE_PGM_RSRC2:TGID_X_EN: 1
; COMPUTE_PGM_RSRC2:TGID_Y_EN: 0
; COMPUTE_PGM_RSRC2:TGID_Z_EN: 0
; COMPUTE_PGM_RSRC2:TIDIG_COMP_CNT: 0
; COMPUTE_PGM_RSRC3_GFX90A:ACCUM_OFFSET: 11
; COMPUTE_PGM_RSRC3_GFX90A:TG_SPLIT: 0
	.section	.text._ZN7rocprim17ROCPRIM_400000_NS6detail17trampoline_kernelINS0_14default_configENS1_22reduce_config_selectorIlEEZNS1_11reduce_implILb1ES3_PlS7_lN6hipcub16HIPCUB_304000_NS6detail34convert_binary_result_type_wrapperINS9_3SumENS9_22TransformInputIteratorIb7NonZeroIdEPdlEElEEEE10hipError_tPvRmT1_T2_T3_mT4_P12ihipStream_tbEUlT_E1_NS1_11comp_targetILNS1_3genE5ELNS1_11target_archE942ELNS1_3gpuE9ELNS1_3repE0EEENS1_30default_config_static_selectorELNS0_4arch9wavefront6targetE1EEEvSM_,"axG",@progbits,_ZN7rocprim17ROCPRIM_400000_NS6detail17trampoline_kernelINS0_14default_configENS1_22reduce_config_selectorIlEEZNS1_11reduce_implILb1ES3_PlS7_lN6hipcub16HIPCUB_304000_NS6detail34convert_binary_result_type_wrapperINS9_3SumENS9_22TransformInputIteratorIb7NonZeroIdEPdlEElEEEE10hipError_tPvRmT1_T2_T3_mT4_P12ihipStream_tbEUlT_E1_NS1_11comp_targetILNS1_3genE5ELNS1_11target_archE942ELNS1_3gpuE9ELNS1_3repE0EEENS1_30default_config_static_selectorELNS0_4arch9wavefront6targetE1EEEvSM_,comdat
	.protected	_ZN7rocprim17ROCPRIM_400000_NS6detail17trampoline_kernelINS0_14default_configENS1_22reduce_config_selectorIlEEZNS1_11reduce_implILb1ES3_PlS7_lN6hipcub16HIPCUB_304000_NS6detail34convert_binary_result_type_wrapperINS9_3SumENS9_22TransformInputIteratorIb7NonZeroIdEPdlEElEEEE10hipError_tPvRmT1_T2_T3_mT4_P12ihipStream_tbEUlT_E1_NS1_11comp_targetILNS1_3genE5ELNS1_11target_archE942ELNS1_3gpuE9ELNS1_3repE0EEENS1_30default_config_static_selectorELNS0_4arch9wavefront6targetE1EEEvSM_ ; -- Begin function _ZN7rocprim17ROCPRIM_400000_NS6detail17trampoline_kernelINS0_14default_configENS1_22reduce_config_selectorIlEEZNS1_11reduce_implILb1ES3_PlS7_lN6hipcub16HIPCUB_304000_NS6detail34convert_binary_result_type_wrapperINS9_3SumENS9_22TransformInputIteratorIb7NonZeroIdEPdlEElEEEE10hipError_tPvRmT1_T2_T3_mT4_P12ihipStream_tbEUlT_E1_NS1_11comp_targetILNS1_3genE5ELNS1_11target_archE942ELNS1_3gpuE9ELNS1_3repE0EEENS1_30default_config_static_selectorELNS0_4arch9wavefront6targetE1EEEvSM_
	.globl	_ZN7rocprim17ROCPRIM_400000_NS6detail17trampoline_kernelINS0_14default_configENS1_22reduce_config_selectorIlEEZNS1_11reduce_implILb1ES3_PlS7_lN6hipcub16HIPCUB_304000_NS6detail34convert_binary_result_type_wrapperINS9_3SumENS9_22TransformInputIteratorIb7NonZeroIdEPdlEElEEEE10hipError_tPvRmT1_T2_T3_mT4_P12ihipStream_tbEUlT_E1_NS1_11comp_targetILNS1_3genE5ELNS1_11target_archE942ELNS1_3gpuE9ELNS1_3repE0EEENS1_30default_config_static_selectorELNS0_4arch9wavefront6targetE1EEEvSM_
	.p2align	8
	.type	_ZN7rocprim17ROCPRIM_400000_NS6detail17trampoline_kernelINS0_14default_configENS1_22reduce_config_selectorIlEEZNS1_11reduce_implILb1ES3_PlS7_lN6hipcub16HIPCUB_304000_NS6detail34convert_binary_result_type_wrapperINS9_3SumENS9_22TransformInputIteratorIb7NonZeroIdEPdlEElEEEE10hipError_tPvRmT1_T2_T3_mT4_P12ihipStream_tbEUlT_E1_NS1_11comp_targetILNS1_3genE5ELNS1_11target_archE942ELNS1_3gpuE9ELNS1_3repE0EEENS1_30default_config_static_selectorELNS0_4arch9wavefront6targetE1EEEvSM_,@function
_ZN7rocprim17ROCPRIM_400000_NS6detail17trampoline_kernelINS0_14default_configENS1_22reduce_config_selectorIlEEZNS1_11reduce_implILb1ES3_PlS7_lN6hipcub16HIPCUB_304000_NS6detail34convert_binary_result_type_wrapperINS9_3SumENS9_22TransformInputIteratorIb7NonZeroIdEPdlEElEEEE10hipError_tPvRmT1_T2_T3_mT4_P12ihipStream_tbEUlT_E1_NS1_11comp_targetILNS1_3genE5ELNS1_11target_archE942ELNS1_3gpuE9ELNS1_3repE0EEENS1_30default_config_static_selectorELNS0_4arch9wavefront6targetE1EEEvSM_: ; @_ZN7rocprim17ROCPRIM_400000_NS6detail17trampoline_kernelINS0_14default_configENS1_22reduce_config_selectorIlEEZNS1_11reduce_implILb1ES3_PlS7_lN6hipcub16HIPCUB_304000_NS6detail34convert_binary_result_type_wrapperINS9_3SumENS9_22TransformInputIteratorIb7NonZeroIdEPdlEElEEEE10hipError_tPvRmT1_T2_T3_mT4_P12ihipStream_tbEUlT_E1_NS1_11comp_targetILNS1_3genE5ELNS1_11target_archE942ELNS1_3gpuE9ELNS1_3repE0EEENS1_30default_config_static_selectorELNS0_4arch9wavefront6targetE1EEEvSM_
; %bb.0:
	.section	.rodata,"a",@progbits
	.p2align	6, 0x0
	.amdhsa_kernel _ZN7rocprim17ROCPRIM_400000_NS6detail17trampoline_kernelINS0_14default_configENS1_22reduce_config_selectorIlEEZNS1_11reduce_implILb1ES3_PlS7_lN6hipcub16HIPCUB_304000_NS6detail34convert_binary_result_type_wrapperINS9_3SumENS9_22TransformInputIteratorIb7NonZeroIdEPdlEElEEEE10hipError_tPvRmT1_T2_T3_mT4_P12ihipStream_tbEUlT_E1_NS1_11comp_targetILNS1_3genE5ELNS1_11target_archE942ELNS1_3gpuE9ELNS1_3repE0EEENS1_30default_config_static_selectorELNS0_4arch9wavefront6targetE1EEEvSM_
		.amdhsa_group_segment_fixed_size 0
		.amdhsa_private_segment_fixed_size 0
		.amdhsa_kernarg_size 48
		.amdhsa_user_sgpr_count 2
		.amdhsa_user_sgpr_dispatch_ptr 0
		.amdhsa_user_sgpr_queue_ptr 0
		.amdhsa_user_sgpr_kernarg_segment_ptr 1
		.amdhsa_user_sgpr_dispatch_id 0
		.amdhsa_user_sgpr_kernarg_preload_length 0
		.amdhsa_user_sgpr_kernarg_preload_offset 0
		.amdhsa_user_sgpr_private_segment_size 0
		.amdhsa_uses_dynamic_stack 0
		.amdhsa_enable_private_segment 0
		.amdhsa_system_sgpr_workgroup_id_x 1
		.amdhsa_system_sgpr_workgroup_id_y 0
		.amdhsa_system_sgpr_workgroup_id_z 0
		.amdhsa_system_sgpr_workgroup_info 0
		.amdhsa_system_vgpr_workitem_id 0
		.amdhsa_next_free_vgpr 1
		.amdhsa_next_free_sgpr 0
		.amdhsa_accum_offset 4
		.amdhsa_reserve_vcc 0
		.amdhsa_float_round_mode_32 0
		.amdhsa_float_round_mode_16_64 0
		.amdhsa_float_denorm_mode_32 3
		.amdhsa_float_denorm_mode_16_64 3
		.amdhsa_dx10_clamp 1
		.amdhsa_ieee_mode 1
		.amdhsa_fp16_overflow 0
		.amdhsa_tg_split 0
		.amdhsa_exception_fp_ieee_invalid_op 0
		.amdhsa_exception_fp_denorm_src 0
		.amdhsa_exception_fp_ieee_div_zero 0
		.amdhsa_exception_fp_ieee_overflow 0
		.amdhsa_exception_fp_ieee_underflow 0
		.amdhsa_exception_fp_ieee_inexact 0
		.amdhsa_exception_int_div_zero 0
	.end_amdhsa_kernel
	.section	.text._ZN7rocprim17ROCPRIM_400000_NS6detail17trampoline_kernelINS0_14default_configENS1_22reduce_config_selectorIlEEZNS1_11reduce_implILb1ES3_PlS7_lN6hipcub16HIPCUB_304000_NS6detail34convert_binary_result_type_wrapperINS9_3SumENS9_22TransformInputIteratorIb7NonZeroIdEPdlEElEEEE10hipError_tPvRmT1_T2_T3_mT4_P12ihipStream_tbEUlT_E1_NS1_11comp_targetILNS1_3genE5ELNS1_11target_archE942ELNS1_3gpuE9ELNS1_3repE0EEENS1_30default_config_static_selectorELNS0_4arch9wavefront6targetE1EEEvSM_,"axG",@progbits,_ZN7rocprim17ROCPRIM_400000_NS6detail17trampoline_kernelINS0_14default_configENS1_22reduce_config_selectorIlEEZNS1_11reduce_implILb1ES3_PlS7_lN6hipcub16HIPCUB_304000_NS6detail34convert_binary_result_type_wrapperINS9_3SumENS9_22TransformInputIteratorIb7NonZeroIdEPdlEElEEEE10hipError_tPvRmT1_T2_T3_mT4_P12ihipStream_tbEUlT_E1_NS1_11comp_targetILNS1_3genE5ELNS1_11target_archE942ELNS1_3gpuE9ELNS1_3repE0EEENS1_30default_config_static_selectorELNS0_4arch9wavefront6targetE1EEEvSM_,comdat
.Lfunc_end295:
	.size	_ZN7rocprim17ROCPRIM_400000_NS6detail17trampoline_kernelINS0_14default_configENS1_22reduce_config_selectorIlEEZNS1_11reduce_implILb1ES3_PlS7_lN6hipcub16HIPCUB_304000_NS6detail34convert_binary_result_type_wrapperINS9_3SumENS9_22TransformInputIteratorIb7NonZeroIdEPdlEElEEEE10hipError_tPvRmT1_T2_T3_mT4_P12ihipStream_tbEUlT_E1_NS1_11comp_targetILNS1_3genE5ELNS1_11target_archE942ELNS1_3gpuE9ELNS1_3repE0EEENS1_30default_config_static_selectorELNS0_4arch9wavefront6targetE1EEEvSM_, .Lfunc_end295-_ZN7rocprim17ROCPRIM_400000_NS6detail17trampoline_kernelINS0_14default_configENS1_22reduce_config_selectorIlEEZNS1_11reduce_implILb1ES3_PlS7_lN6hipcub16HIPCUB_304000_NS6detail34convert_binary_result_type_wrapperINS9_3SumENS9_22TransformInputIteratorIb7NonZeroIdEPdlEElEEEE10hipError_tPvRmT1_T2_T3_mT4_P12ihipStream_tbEUlT_E1_NS1_11comp_targetILNS1_3genE5ELNS1_11target_archE942ELNS1_3gpuE9ELNS1_3repE0EEENS1_30default_config_static_selectorELNS0_4arch9wavefront6targetE1EEEvSM_
                                        ; -- End function
	.set _ZN7rocprim17ROCPRIM_400000_NS6detail17trampoline_kernelINS0_14default_configENS1_22reduce_config_selectorIlEEZNS1_11reduce_implILb1ES3_PlS7_lN6hipcub16HIPCUB_304000_NS6detail34convert_binary_result_type_wrapperINS9_3SumENS9_22TransformInputIteratorIb7NonZeroIdEPdlEElEEEE10hipError_tPvRmT1_T2_T3_mT4_P12ihipStream_tbEUlT_E1_NS1_11comp_targetILNS1_3genE5ELNS1_11target_archE942ELNS1_3gpuE9ELNS1_3repE0EEENS1_30default_config_static_selectorELNS0_4arch9wavefront6targetE1EEEvSM_.num_vgpr, 0
	.set _ZN7rocprim17ROCPRIM_400000_NS6detail17trampoline_kernelINS0_14default_configENS1_22reduce_config_selectorIlEEZNS1_11reduce_implILb1ES3_PlS7_lN6hipcub16HIPCUB_304000_NS6detail34convert_binary_result_type_wrapperINS9_3SumENS9_22TransformInputIteratorIb7NonZeroIdEPdlEElEEEE10hipError_tPvRmT1_T2_T3_mT4_P12ihipStream_tbEUlT_E1_NS1_11comp_targetILNS1_3genE5ELNS1_11target_archE942ELNS1_3gpuE9ELNS1_3repE0EEENS1_30default_config_static_selectorELNS0_4arch9wavefront6targetE1EEEvSM_.num_agpr, 0
	.set _ZN7rocprim17ROCPRIM_400000_NS6detail17trampoline_kernelINS0_14default_configENS1_22reduce_config_selectorIlEEZNS1_11reduce_implILb1ES3_PlS7_lN6hipcub16HIPCUB_304000_NS6detail34convert_binary_result_type_wrapperINS9_3SumENS9_22TransformInputIteratorIb7NonZeroIdEPdlEElEEEE10hipError_tPvRmT1_T2_T3_mT4_P12ihipStream_tbEUlT_E1_NS1_11comp_targetILNS1_3genE5ELNS1_11target_archE942ELNS1_3gpuE9ELNS1_3repE0EEENS1_30default_config_static_selectorELNS0_4arch9wavefront6targetE1EEEvSM_.numbered_sgpr, 0
	.set _ZN7rocprim17ROCPRIM_400000_NS6detail17trampoline_kernelINS0_14default_configENS1_22reduce_config_selectorIlEEZNS1_11reduce_implILb1ES3_PlS7_lN6hipcub16HIPCUB_304000_NS6detail34convert_binary_result_type_wrapperINS9_3SumENS9_22TransformInputIteratorIb7NonZeroIdEPdlEElEEEE10hipError_tPvRmT1_T2_T3_mT4_P12ihipStream_tbEUlT_E1_NS1_11comp_targetILNS1_3genE5ELNS1_11target_archE942ELNS1_3gpuE9ELNS1_3repE0EEENS1_30default_config_static_selectorELNS0_4arch9wavefront6targetE1EEEvSM_.num_named_barrier, 0
	.set _ZN7rocprim17ROCPRIM_400000_NS6detail17trampoline_kernelINS0_14default_configENS1_22reduce_config_selectorIlEEZNS1_11reduce_implILb1ES3_PlS7_lN6hipcub16HIPCUB_304000_NS6detail34convert_binary_result_type_wrapperINS9_3SumENS9_22TransformInputIteratorIb7NonZeroIdEPdlEElEEEE10hipError_tPvRmT1_T2_T3_mT4_P12ihipStream_tbEUlT_E1_NS1_11comp_targetILNS1_3genE5ELNS1_11target_archE942ELNS1_3gpuE9ELNS1_3repE0EEENS1_30default_config_static_selectorELNS0_4arch9wavefront6targetE1EEEvSM_.private_seg_size, 0
	.set _ZN7rocprim17ROCPRIM_400000_NS6detail17trampoline_kernelINS0_14default_configENS1_22reduce_config_selectorIlEEZNS1_11reduce_implILb1ES3_PlS7_lN6hipcub16HIPCUB_304000_NS6detail34convert_binary_result_type_wrapperINS9_3SumENS9_22TransformInputIteratorIb7NonZeroIdEPdlEElEEEE10hipError_tPvRmT1_T2_T3_mT4_P12ihipStream_tbEUlT_E1_NS1_11comp_targetILNS1_3genE5ELNS1_11target_archE942ELNS1_3gpuE9ELNS1_3repE0EEENS1_30default_config_static_selectorELNS0_4arch9wavefront6targetE1EEEvSM_.uses_vcc, 0
	.set _ZN7rocprim17ROCPRIM_400000_NS6detail17trampoline_kernelINS0_14default_configENS1_22reduce_config_selectorIlEEZNS1_11reduce_implILb1ES3_PlS7_lN6hipcub16HIPCUB_304000_NS6detail34convert_binary_result_type_wrapperINS9_3SumENS9_22TransformInputIteratorIb7NonZeroIdEPdlEElEEEE10hipError_tPvRmT1_T2_T3_mT4_P12ihipStream_tbEUlT_E1_NS1_11comp_targetILNS1_3genE5ELNS1_11target_archE942ELNS1_3gpuE9ELNS1_3repE0EEENS1_30default_config_static_selectorELNS0_4arch9wavefront6targetE1EEEvSM_.uses_flat_scratch, 0
	.set _ZN7rocprim17ROCPRIM_400000_NS6detail17trampoline_kernelINS0_14default_configENS1_22reduce_config_selectorIlEEZNS1_11reduce_implILb1ES3_PlS7_lN6hipcub16HIPCUB_304000_NS6detail34convert_binary_result_type_wrapperINS9_3SumENS9_22TransformInputIteratorIb7NonZeroIdEPdlEElEEEE10hipError_tPvRmT1_T2_T3_mT4_P12ihipStream_tbEUlT_E1_NS1_11comp_targetILNS1_3genE5ELNS1_11target_archE942ELNS1_3gpuE9ELNS1_3repE0EEENS1_30default_config_static_selectorELNS0_4arch9wavefront6targetE1EEEvSM_.has_dyn_sized_stack, 0
	.set _ZN7rocprim17ROCPRIM_400000_NS6detail17trampoline_kernelINS0_14default_configENS1_22reduce_config_selectorIlEEZNS1_11reduce_implILb1ES3_PlS7_lN6hipcub16HIPCUB_304000_NS6detail34convert_binary_result_type_wrapperINS9_3SumENS9_22TransformInputIteratorIb7NonZeroIdEPdlEElEEEE10hipError_tPvRmT1_T2_T3_mT4_P12ihipStream_tbEUlT_E1_NS1_11comp_targetILNS1_3genE5ELNS1_11target_archE942ELNS1_3gpuE9ELNS1_3repE0EEENS1_30default_config_static_selectorELNS0_4arch9wavefront6targetE1EEEvSM_.has_recursion, 0
	.set _ZN7rocprim17ROCPRIM_400000_NS6detail17trampoline_kernelINS0_14default_configENS1_22reduce_config_selectorIlEEZNS1_11reduce_implILb1ES3_PlS7_lN6hipcub16HIPCUB_304000_NS6detail34convert_binary_result_type_wrapperINS9_3SumENS9_22TransformInputIteratorIb7NonZeroIdEPdlEElEEEE10hipError_tPvRmT1_T2_T3_mT4_P12ihipStream_tbEUlT_E1_NS1_11comp_targetILNS1_3genE5ELNS1_11target_archE942ELNS1_3gpuE9ELNS1_3repE0EEENS1_30default_config_static_selectorELNS0_4arch9wavefront6targetE1EEEvSM_.has_indirect_call, 0
	.section	.AMDGPU.csdata,"",@progbits
; Kernel info:
; codeLenInByte = 0
; TotalNumSgprs: 6
; NumVgprs: 0
; NumAgprs: 0
; TotalNumVgprs: 0
; ScratchSize: 0
; MemoryBound: 0
; FloatMode: 240
; IeeeMode: 1
; LDSByteSize: 0 bytes/workgroup (compile time only)
; SGPRBlocks: 0
; VGPRBlocks: 0
; NumSGPRsForWavesPerEU: 6
; NumVGPRsForWavesPerEU: 1
; AccumOffset: 4
; Occupancy: 8
; WaveLimiterHint : 0
; COMPUTE_PGM_RSRC2:SCRATCH_EN: 0
; COMPUTE_PGM_RSRC2:USER_SGPR: 2
; COMPUTE_PGM_RSRC2:TRAP_HANDLER: 0
; COMPUTE_PGM_RSRC2:TGID_X_EN: 1
; COMPUTE_PGM_RSRC2:TGID_Y_EN: 0
; COMPUTE_PGM_RSRC2:TGID_Z_EN: 0
; COMPUTE_PGM_RSRC2:TIDIG_COMP_CNT: 0
; COMPUTE_PGM_RSRC3_GFX90A:ACCUM_OFFSET: 0
; COMPUTE_PGM_RSRC3_GFX90A:TG_SPLIT: 0
	.section	.text._ZN7rocprim17ROCPRIM_400000_NS6detail17trampoline_kernelINS0_14default_configENS1_22reduce_config_selectorIlEEZNS1_11reduce_implILb1ES3_PlS7_lN6hipcub16HIPCUB_304000_NS6detail34convert_binary_result_type_wrapperINS9_3SumENS9_22TransformInputIteratorIb7NonZeroIdEPdlEElEEEE10hipError_tPvRmT1_T2_T3_mT4_P12ihipStream_tbEUlT_E1_NS1_11comp_targetILNS1_3genE4ELNS1_11target_archE910ELNS1_3gpuE8ELNS1_3repE0EEENS1_30default_config_static_selectorELNS0_4arch9wavefront6targetE1EEEvSM_,"axG",@progbits,_ZN7rocprim17ROCPRIM_400000_NS6detail17trampoline_kernelINS0_14default_configENS1_22reduce_config_selectorIlEEZNS1_11reduce_implILb1ES3_PlS7_lN6hipcub16HIPCUB_304000_NS6detail34convert_binary_result_type_wrapperINS9_3SumENS9_22TransformInputIteratorIb7NonZeroIdEPdlEElEEEE10hipError_tPvRmT1_T2_T3_mT4_P12ihipStream_tbEUlT_E1_NS1_11comp_targetILNS1_3genE4ELNS1_11target_archE910ELNS1_3gpuE8ELNS1_3repE0EEENS1_30default_config_static_selectorELNS0_4arch9wavefront6targetE1EEEvSM_,comdat
	.protected	_ZN7rocprim17ROCPRIM_400000_NS6detail17trampoline_kernelINS0_14default_configENS1_22reduce_config_selectorIlEEZNS1_11reduce_implILb1ES3_PlS7_lN6hipcub16HIPCUB_304000_NS6detail34convert_binary_result_type_wrapperINS9_3SumENS9_22TransformInputIteratorIb7NonZeroIdEPdlEElEEEE10hipError_tPvRmT1_T2_T3_mT4_P12ihipStream_tbEUlT_E1_NS1_11comp_targetILNS1_3genE4ELNS1_11target_archE910ELNS1_3gpuE8ELNS1_3repE0EEENS1_30default_config_static_selectorELNS0_4arch9wavefront6targetE1EEEvSM_ ; -- Begin function _ZN7rocprim17ROCPRIM_400000_NS6detail17trampoline_kernelINS0_14default_configENS1_22reduce_config_selectorIlEEZNS1_11reduce_implILb1ES3_PlS7_lN6hipcub16HIPCUB_304000_NS6detail34convert_binary_result_type_wrapperINS9_3SumENS9_22TransformInputIteratorIb7NonZeroIdEPdlEElEEEE10hipError_tPvRmT1_T2_T3_mT4_P12ihipStream_tbEUlT_E1_NS1_11comp_targetILNS1_3genE4ELNS1_11target_archE910ELNS1_3gpuE8ELNS1_3repE0EEENS1_30default_config_static_selectorELNS0_4arch9wavefront6targetE1EEEvSM_
	.globl	_ZN7rocprim17ROCPRIM_400000_NS6detail17trampoline_kernelINS0_14default_configENS1_22reduce_config_selectorIlEEZNS1_11reduce_implILb1ES3_PlS7_lN6hipcub16HIPCUB_304000_NS6detail34convert_binary_result_type_wrapperINS9_3SumENS9_22TransformInputIteratorIb7NonZeroIdEPdlEElEEEE10hipError_tPvRmT1_T2_T3_mT4_P12ihipStream_tbEUlT_E1_NS1_11comp_targetILNS1_3genE4ELNS1_11target_archE910ELNS1_3gpuE8ELNS1_3repE0EEENS1_30default_config_static_selectorELNS0_4arch9wavefront6targetE1EEEvSM_
	.p2align	8
	.type	_ZN7rocprim17ROCPRIM_400000_NS6detail17trampoline_kernelINS0_14default_configENS1_22reduce_config_selectorIlEEZNS1_11reduce_implILb1ES3_PlS7_lN6hipcub16HIPCUB_304000_NS6detail34convert_binary_result_type_wrapperINS9_3SumENS9_22TransformInputIteratorIb7NonZeroIdEPdlEElEEEE10hipError_tPvRmT1_T2_T3_mT4_P12ihipStream_tbEUlT_E1_NS1_11comp_targetILNS1_3genE4ELNS1_11target_archE910ELNS1_3gpuE8ELNS1_3repE0EEENS1_30default_config_static_selectorELNS0_4arch9wavefront6targetE1EEEvSM_,@function
_ZN7rocprim17ROCPRIM_400000_NS6detail17trampoline_kernelINS0_14default_configENS1_22reduce_config_selectorIlEEZNS1_11reduce_implILb1ES3_PlS7_lN6hipcub16HIPCUB_304000_NS6detail34convert_binary_result_type_wrapperINS9_3SumENS9_22TransformInputIteratorIb7NonZeroIdEPdlEElEEEE10hipError_tPvRmT1_T2_T3_mT4_P12ihipStream_tbEUlT_E1_NS1_11comp_targetILNS1_3genE4ELNS1_11target_archE910ELNS1_3gpuE8ELNS1_3repE0EEENS1_30default_config_static_selectorELNS0_4arch9wavefront6targetE1EEEvSM_: ; @_ZN7rocprim17ROCPRIM_400000_NS6detail17trampoline_kernelINS0_14default_configENS1_22reduce_config_selectorIlEEZNS1_11reduce_implILb1ES3_PlS7_lN6hipcub16HIPCUB_304000_NS6detail34convert_binary_result_type_wrapperINS9_3SumENS9_22TransformInputIteratorIb7NonZeroIdEPdlEElEEEE10hipError_tPvRmT1_T2_T3_mT4_P12ihipStream_tbEUlT_E1_NS1_11comp_targetILNS1_3genE4ELNS1_11target_archE910ELNS1_3gpuE8ELNS1_3repE0EEENS1_30default_config_static_selectorELNS0_4arch9wavefront6targetE1EEEvSM_
; %bb.0:
	.section	.rodata,"a",@progbits
	.p2align	6, 0x0
	.amdhsa_kernel _ZN7rocprim17ROCPRIM_400000_NS6detail17trampoline_kernelINS0_14default_configENS1_22reduce_config_selectorIlEEZNS1_11reduce_implILb1ES3_PlS7_lN6hipcub16HIPCUB_304000_NS6detail34convert_binary_result_type_wrapperINS9_3SumENS9_22TransformInputIteratorIb7NonZeroIdEPdlEElEEEE10hipError_tPvRmT1_T2_T3_mT4_P12ihipStream_tbEUlT_E1_NS1_11comp_targetILNS1_3genE4ELNS1_11target_archE910ELNS1_3gpuE8ELNS1_3repE0EEENS1_30default_config_static_selectorELNS0_4arch9wavefront6targetE1EEEvSM_
		.amdhsa_group_segment_fixed_size 0
		.amdhsa_private_segment_fixed_size 0
		.amdhsa_kernarg_size 48
		.amdhsa_user_sgpr_count 2
		.amdhsa_user_sgpr_dispatch_ptr 0
		.amdhsa_user_sgpr_queue_ptr 0
		.amdhsa_user_sgpr_kernarg_segment_ptr 1
		.amdhsa_user_sgpr_dispatch_id 0
		.amdhsa_user_sgpr_kernarg_preload_length 0
		.amdhsa_user_sgpr_kernarg_preload_offset 0
		.amdhsa_user_sgpr_private_segment_size 0
		.amdhsa_uses_dynamic_stack 0
		.amdhsa_enable_private_segment 0
		.amdhsa_system_sgpr_workgroup_id_x 1
		.amdhsa_system_sgpr_workgroup_id_y 0
		.amdhsa_system_sgpr_workgroup_id_z 0
		.amdhsa_system_sgpr_workgroup_info 0
		.amdhsa_system_vgpr_workitem_id 0
		.amdhsa_next_free_vgpr 1
		.amdhsa_next_free_sgpr 0
		.amdhsa_accum_offset 4
		.amdhsa_reserve_vcc 0
		.amdhsa_float_round_mode_32 0
		.amdhsa_float_round_mode_16_64 0
		.amdhsa_float_denorm_mode_32 3
		.amdhsa_float_denorm_mode_16_64 3
		.amdhsa_dx10_clamp 1
		.amdhsa_ieee_mode 1
		.amdhsa_fp16_overflow 0
		.amdhsa_tg_split 0
		.amdhsa_exception_fp_ieee_invalid_op 0
		.amdhsa_exception_fp_denorm_src 0
		.amdhsa_exception_fp_ieee_div_zero 0
		.amdhsa_exception_fp_ieee_overflow 0
		.amdhsa_exception_fp_ieee_underflow 0
		.amdhsa_exception_fp_ieee_inexact 0
		.amdhsa_exception_int_div_zero 0
	.end_amdhsa_kernel
	.section	.text._ZN7rocprim17ROCPRIM_400000_NS6detail17trampoline_kernelINS0_14default_configENS1_22reduce_config_selectorIlEEZNS1_11reduce_implILb1ES3_PlS7_lN6hipcub16HIPCUB_304000_NS6detail34convert_binary_result_type_wrapperINS9_3SumENS9_22TransformInputIteratorIb7NonZeroIdEPdlEElEEEE10hipError_tPvRmT1_T2_T3_mT4_P12ihipStream_tbEUlT_E1_NS1_11comp_targetILNS1_3genE4ELNS1_11target_archE910ELNS1_3gpuE8ELNS1_3repE0EEENS1_30default_config_static_selectorELNS0_4arch9wavefront6targetE1EEEvSM_,"axG",@progbits,_ZN7rocprim17ROCPRIM_400000_NS6detail17trampoline_kernelINS0_14default_configENS1_22reduce_config_selectorIlEEZNS1_11reduce_implILb1ES3_PlS7_lN6hipcub16HIPCUB_304000_NS6detail34convert_binary_result_type_wrapperINS9_3SumENS9_22TransformInputIteratorIb7NonZeroIdEPdlEElEEEE10hipError_tPvRmT1_T2_T3_mT4_P12ihipStream_tbEUlT_E1_NS1_11comp_targetILNS1_3genE4ELNS1_11target_archE910ELNS1_3gpuE8ELNS1_3repE0EEENS1_30default_config_static_selectorELNS0_4arch9wavefront6targetE1EEEvSM_,comdat
.Lfunc_end296:
	.size	_ZN7rocprim17ROCPRIM_400000_NS6detail17trampoline_kernelINS0_14default_configENS1_22reduce_config_selectorIlEEZNS1_11reduce_implILb1ES3_PlS7_lN6hipcub16HIPCUB_304000_NS6detail34convert_binary_result_type_wrapperINS9_3SumENS9_22TransformInputIteratorIb7NonZeroIdEPdlEElEEEE10hipError_tPvRmT1_T2_T3_mT4_P12ihipStream_tbEUlT_E1_NS1_11comp_targetILNS1_3genE4ELNS1_11target_archE910ELNS1_3gpuE8ELNS1_3repE0EEENS1_30default_config_static_selectorELNS0_4arch9wavefront6targetE1EEEvSM_, .Lfunc_end296-_ZN7rocprim17ROCPRIM_400000_NS6detail17trampoline_kernelINS0_14default_configENS1_22reduce_config_selectorIlEEZNS1_11reduce_implILb1ES3_PlS7_lN6hipcub16HIPCUB_304000_NS6detail34convert_binary_result_type_wrapperINS9_3SumENS9_22TransformInputIteratorIb7NonZeroIdEPdlEElEEEE10hipError_tPvRmT1_T2_T3_mT4_P12ihipStream_tbEUlT_E1_NS1_11comp_targetILNS1_3genE4ELNS1_11target_archE910ELNS1_3gpuE8ELNS1_3repE0EEENS1_30default_config_static_selectorELNS0_4arch9wavefront6targetE1EEEvSM_
                                        ; -- End function
	.set _ZN7rocprim17ROCPRIM_400000_NS6detail17trampoline_kernelINS0_14default_configENS1_22reduce_config_selectorIlEEZNS1_11reduce_implILb1ES3_PlS7_lN6hipcub16HIPCUB_304000_NS6detail34convert_binary_result_type_wrapperINS9_3SumENS9_22TransformInputIteratorIb7NonZeroIdEPdlEElEEEE10hipError_tPvRmT1_T2_T3_mT4_P12ihipStream_tbEUlT_E1_NS1_11comp_targetILNS1_3genE4ELNS1_11target_archE910ELNS1_3gpuE8ELNS1_3repE0EEENS1_30default_config_static_selectorELNS0_4arch9wavefront6targetE1EEEvSM_.num_vgpr, 0
	.set _ZN7rocprim17ROCPRIM_400000_NS6detail17trampoline_kernelINS0_14default_configENS1_22reduce_config_selectorIlEEZNS1_11reduce_implILb1ES3_PlS7_lN6hipcub16HIPCUB_304000_NS6detail34convert_binary_result_type_wrapperINS9_3SumENS9_22TransformInputIteratorIb7NonZeroIdEPdlEElEEEE10hipError_tPvRmT1_T2_T3_mT4_P12ihipStream_tbEUlT_E1_NS1_11comp_targetILNS1_3genE4ELNS1_11target_archE910ELNS1_3gpuE8ELNS1_3repE0EEENS1_30default_config_static_selectorELNS0_4arch9wavefront6targetE1EEEvSM_.num_agpr, 0
	.set _ZN7rocprim17ROCPRIM_400000_NS6detail17trampoline_kernelINS0_14default_configENS1_22reduce_config_selectorIlEEZNS1_11reduce_implILb1ES3_PlS7_lN6hipcub16HIPCUB_304000_NS6detail34convert_binary_result_type_wrapperINS9_3SumENS9_22TransformInputIteratorIb7NonZeroIdEPdlEElEEEE10hipError_tPvRmT1_T2_T3_mT4_P12ihipStream_tbEUlT_E1_NS1_11comp_targetILNS1_3genE4ELNS1_11target_archE910ELNS1_3gpuE8ELNS1_3repE0EEENS1_30default_config_static_selectorELNS0_4arch9wavefront6targetE1EEEvSM_.numbered_sgpr, 0
	.set _ZN7rocprim17ROCPRIM_400000_NS6detail17trampoline_kernelINS0_14default_configENS1_22reduce_config_selectorIlEEZNS1_11reduce_implILb1ES3_PlS7_lN6hipcub16HIPCUB_304000_NS6detail34convert_binary_result_type_wrapperINS9_3SumENS9_22TransformInputIteratorIb7NonZeroIdEPdlEElEEEE10hipError_tPvRmT1_T2_T3_mT4_P12ihipStream_tbEUlT_E1_NS1_11comp_targetILNS1_3genE4ELNS1_11target_archE910ELNS1_3gpuE8ELNS1_3repE0EEENS1_30default_config_static_selectorELNS0_4arch9wavefront6targetE1EEEvSM_.num_named_barrier, 0
	.set _ZN7rocprim17ROCPRIM_400000_NS6detail17trampoline_kernelINS0_14default_configENS1_22reduce_config_selectorIlEEZNS1_11reduce_implILb1ES3_PlS7_lN6hipcub16HIPCUB_304000_NS6detail34convert_binary_result_type_wrapperINS9_3SumENS9_22TransformInputIteratorIb7NonZeroIdEPdlEElEEEE10hipError_tPvRmT1_T2_T3_mT4_P12ihipStream_tbEUlT_E1_NS1_11comp_targetILNS1_3genE4ELNS1_11target_archE910ELNS1_3gpuE8ELNS1_3repE0EEENS1_30default_config_static_selectorELNS0_4arch9wavefront6targetE1EEEvSM_.private_seg_size, 0
	.set _ZN7rocprim17ROCPRIM_400000_NS6detail17trampoline_kernelINS0_14default_configENS1_22reduce_config_selectorIlEEZNS1_11reduce_implILb1ES3_PlS7_lN6hipcub16HIPCUB_304000_NS6detail34convert_binary_result_type_wrapperINS9_3SumENS9_22TransformInputIteratorIb7NonZeroIdEPdlEElEEEE10hipError_tPvRmT1_T2_T3_mT4_P12ihipStream_tbEUlT_E1_NS1_11comp_targetILNS1_3genE4ELNS1_11target_archE910ELNS1_3gpuE8ELNS1_3repE0EEENS1_30default_config_static_selectorELNS0_4arch9wavefront6targetE1EEEvSM_.uses_vcc, 0
	.set _ZN7rocprim17ROCPRIM_400000_NS6detail17trampoline_kernelINS0_14default_configENS1_22reduce_config_selectorIlEEZNS1_11reduce_implILb1ES3_PlS7_lN6hipcub16HIPCUB_304000_NS6detail34convert_binary_result_type_wrapperINS9_3SumENS9_22TransformInputIteratorIb7NonZeroIdEPdlEElEEEE10hipError_tPvRmT1_T2_T3_mT4_P12ihipStream_tbEUlT_E1_NS1_11comp_targetILNS1_3genE4ELNS1_11target_archE910ELNS1_3gpuE8ELNS1_3repE0EEENS1_30default_config_static_selectorELNS0_4arch9wavefront6targetE1EEEvSM_.uses_flat_scratch, 0
	.set _ZN7rocprim17ROCPRIM_400000_NS6detail17trampoline_kernelINS0_14default_configENS1_22reduce_config_selectorIlEEZNS1_11reduce_implILb1ES3_PlS7_lN6hipcub16HIPCUB_304000_NS6detail34convert_binary_result_type_wrapperINS9_3SumENS9_22TransformInputIteratorIb7NonZeroIdEPdlEElEEEE10hipError_tPvRmT1_T2_T3_mT4_P12ihipStream_tbEUlT_E1_NS1_11comp_targetILNS1_3genE4ELNS1_11target_archE910ELNS1_3gpuE8ELNS1_3repE0EEENS1_30default_config_static_selectorELNS0_4arch9wavefront6targetE1EEEvSM_.has_dyn_sized_stack, 0
	.set _ZN7rocprim17ROCPRIM_400000_NS6detail17trampoline_kernelINS0_14default_configENS1_22reduce_config_selectorIlEEZNS1_11reduce_implILb1ES3_PlS7_lN6hipcub16HIPCUB_304000_NS6detail34convert_binary_result_type_wrapperINS9_3SumENS9_22TransformInputIteratorIb7NonZeroIdEPdlEElEEEE10hipError_tPvRmT1_T2_T3_mT4_P12ihipStream_tbEUlT_E1_NS1_11comp_targetILNS1_3genE4ELNS1_11target_archE910ELNS1_3gpuE8ELNS1_3repE0EEENS1_30default_config_static_selectorELNS0_4arch9wavefront6targetE1EEEvSM_.has_recursion, 0
	.set _ZN7rocprim17ROCPRIM_400000_NS6detail17trampoline_kernelINS0_14default_configENS1_22reduce_config_selectorIlEEZNS1_11reduce_implILb1ES3_PlS7_lN6hipcub16HIPCUB_304000_NS6detail34convert_binary_result_type_wrapperINS9_3SumENS9_22TransformInputIteratorIb7NonZeroIdEPdlEElEEEE10hipError_tPvRmT1_T2_T3_mT4_P12ihipStream_tbEUlT_E1_NS1_11comp_targetILNS1_3genE4ELNS1_11target_archE910ELNS1_3gpuE8ELNS1_3repE0EEENS1_30default_config_static_selectorELNS0_4arch9wavefront6targetE1EEEvSM_.has_indirect_call, 0
	.section	.AMDGPU.csdata,"",@progbits
; Kernel info:
; codeLenInByte = 0
; TotalNumSgprs: 6
; NumVgprs: 0
; NumAgprs: 0
; TotalNumVgprs: 0
; ScratchSize: 0
; MemoryBound: 0
; FloatMode: 240
; IeeeMode: 1
; LDSByteSize: 0 bytes/workgroup (compile time only)
; SGPRBlocks: 0
; VGPRBlocks: 0
; NumSGPRsForWavesPerEU: 6
; NumVGPRsForWavesPerEU: 1
; AccumOffset: 4
; Occupancy: 8
; WaveLimiterHint : 0
; COMPUTE_PGM_RSRC2:SCRATCH_EN: 0
; COMPUTE_PGM_RSRC2:USER_SGPR: 2
; COMPUTE_PGM_RSRC2:TRAP_HANDLER: 0
; COMPUTE_PGM_RSRC2:TGID_X_EN: 1
; COMPUTE_PGM_RSRC2:TGID_Y_EN: 0
; COMPUTE_PGM_RSRC2:TGID_Z_EN: 0
; COMPUTE_PGM_RSRC2:TIDIG_COMP_CNT: 0
; COMPUTE_PGM_RSRC3_GFX90A:ACCUM_OFFSET: 0
; COMPUTE_PGM_RSRC3_GFX90A:TG_SPLIT: 0
	.section	.text._ZN7rocprim17ROCPRIM_400000_NS6detail17trampoline_kernelINS0_14default_configENS1_22reduce_config_selectorIlEEZNS1_11reduce_implILb1ES3_PlS7_lN6hipcub16HIPCUB_304000_NS6detail34convert_binary_result_type_wrapperINS9_3SumENS9_22TransformInputIteratorIb7NonZeroIdEPdlEElEEEE10hipError_tPvRmT1_T2_T3_mT4_P12ihipStream_tbEUlT_E1_NS1_11comp_targetILNS1_3genE3ELNS1_11target_archE908ELNS1_3gpuE7ELNS1_3repE0EEENS1_30default_config_static_selectorELNS0_4arch9wavefront6targetE1EEEvSM_,"axG",@progbits,_ZN7rocprim17ROCPRIM_400000_NS6detail17trampoline_kernelINS0_14default_configENS1_22reduce_config_selectorIlEEZNS1_11reduce_implILb1ES3_PlS7_lN6hipcub16HIPCUB_304000_NS6detail34convert_binary_result_type_wrapperINS9_3SumENS9_22TransformInputIteratorIb7NonZeroIdEPdlEElEEEE10hipError_tPvRmT1_T2_T3_mT4_P12ihipStream_tbEUlT_E1_NS1_11comp_targetILNS1_3genE3ELNS1_11target_archE908ELNS1_3gpuE7ELNS1_3repE0EEENS1_30default_config_static_selectorELNS0_4arch9wavefront6targetE1EEEvSM_,comdat
	.protected	_ZN7rocprim17ROCPRIM_400000_NS6detail17trampoline_kernelINS0_14default_configENS1_22reduce_config_selectorIlEEZNS1_11reduce_implILb1ES3_PlS7_lN6hipcub16HIPCUB_304000_NS6detail34convert_binary_result_type_wrapperINS9_3SumENS9_22TransformInputIteratorIb7NonZeroIdEPdlEElEEEE10hipError_tPvRmT1_T2_T3_mT4_P12ihipStream_tbEUlT_E1_NS1_11comp_targetILNS1_3genE3ELNS1_11target_archE908ELNS1_3gpuE7ELNS1_3repE0EEENS1_30default_config_static_selectorELNS0_4arch9wavefront6targetE1EEEvSM_ ; -- Begin function _ZN7rocprim17ROCPRIM_400000_NS6detail17trampoline_kernelINS0_14default_configENS1_22reduce_config_selectorIlEEZNS1_11reduce_implILb1ES3_PlS7_lN6hipcub16HIPCUB_304000_NS6detail34convert_binary_result_type_wrapperINS9_3SumENS9_22TransformInputIteratorIb7NonZeroIdEPdlEElEEEE10hipError_tPvRmT1_T2_T3_mT4_P12ihipStream_tbEUlT_E1_NS1_11comp_targetILNS1_3genE3ELNS1_11target_archE908ELNS1_3gpuE7ELNS1_3repE0EEENS1_30default_config_static_selectorELNS0_4arch9wavefront6targetE1EEEvSM_
	.globl	_ZN7rocprim17ROCPRIM_400000_NS6detail17trampoline_kernelINS0_14default_configENS1_22reduce_config_selectorIlEEZNS1_11reduce_implILb1ES3_PlS7_lN6hipcub16HIPCUB_304000_NS6detail34convert_binary_result_type_wrapperINS9_3SumENS9_22TransformInputIteratorIb7NonZeroIdEPdlEElEEEE10hipError_tPvRmT1_T2_T3_mT4_P12ihipStream_tbEUlT_E1_NS1_11comp_targetILNS1_3genE3ELNS1_11target_archE908ELNS1_3gpuE7ELNS1_3repE0EEENS1_30default_config_static_selectorELNS0_4arch9wavefront6targetE1EEEvSM_
	.p2align	8
	.type	_ZN7rocprim17ROCPRIM_400000_NS6detail17trampoline_kernelINS0_14default_configENS1_22reduce_config_selectorIlEEZNS1_11reduce_implILb1ES3_PlS7_lN6hipcub16HIPCUB_304000_NS6detail34convert_binary_result_type_wrapperINS9_3SumENS9_22TransformInputIteratorIb7NonZeroIdEPdlEElEEEE10hipError_tPvRmT1_T2_T3_mT4_P12ihipStream_tbEUlT_E1_NS1_11comp_targetILNS1_3genE3ELNS1_11target_archE908ELNS1_3gpuE7ELNS1_3repE0EEENS1_30default_config_static_selectorELNS0_4arch9wavefront6targetE1EEEvSM_,@function
_ZN7rocprim17ROCPRIM_400000_NS6detail17trampoline_kernelINS0_14default_configENS1_22reduce_config_selectorIlEEZNS1_11reduce_implILb1ES3_PlS7_lN6hipcub16HIPCUB_304000_NS6detail34convert_binary_result_type_wrapperINS9_3SumENS9_22TransformInputIteratorIb7NonZeroIdEPdlEElEEEE10hipError_tPvRmT1_T2_T3_mT4_P12ihipStream_tbEUlT_E1_NS1_11comp_targetILNS1_3genE3ELNS1_11target_archE908ELNS1_3gpuE7ELNS1_3repE0EEENS1_30default_config_static_selectorELNS0_4arch9wavefront6targetE1EEEvSM_: ; @_ZN7rocprim17ROCPRIM_400000_NS6detail17trampoline_kernelINS0_14default_configENS1_22reduce_config_selectorIlEEZNS1_11reduce_implILb1ES3_PlS7_lN6hipcub16HIPCUB_304000_NS6detail34convert_binary_result_type_wrapperINS9_3SumENS9_22TransformInputIteratorIb7NonZeroIdEPdlEElEEEE10hipError_tPvRmT1_T2_T3_mT4_P12ihipStream_tbEUlT_E1_NS1_11comp_targetILNS1_3genE3ELNS1_11target_archE908ELNS1_3gpuE7ELNS1_3repE0EEENS1_30default_config_static_selectorELNS0_4arch9wavefront6targetE1EEEvSM_
; %bb.0:
	.section	.rodata,"a",@progbits
	.p2align	6, 0x0
	.amdhsa_kernel _ZN7rocprim17ROCPRIM_400000_NS6detail17trampoline_kernelINS0_14default_configENS1_22reduce_config_selectorIlEEZNS1_11reduce_implILb1ES3_PlS7_lN6hipcub16HIPCUB_304000_NS6detail34convert_binary_result_type_wrapperINS9_3SumENS9_22TransformInputIteratorIb7NonZeroIdEPdlEElEEEE10hipError_tPvRmT1_T2_T3_mT4_P12ihipStream_tbEUlT_E1_NS1_11comp_targetILNS1_3genE3ELNS1_11target_archE908ELNS1_3gpuE7ELNS1_3repE0EEENS1_30default_config_static_selectorELNS0_4arch9wavefront6targetE1EEEvSM_
		.amdhsa_group_segment_fixed_size 0
		.amdhsa_private_segment_fixed_size 0
		.amdhsa_kernarg_size 48
		.amdhsa_user_sgpr_count 2
		.amdhsa_user_sgpr_dispatch_ptr 0
		.amdhsa_user_sgpr_queue_ptr 0
		.amdhsa_user_sgpr_kernarg_segment_ptr 1
		.amdhsa_user_sgpr_dispatch_id 0
		.amdhsa_user_sgpr_kernarg_preload_length 0
		.amdhsa_user_sgpr_kernarg_preload_offset 0
		.amdhsa_user_sgpr_private_segment_size 0
		.amdhsa_uses_dynamic_stack 0
		.amdhsa_enable_private_segment 0
		.amdhsa_system_sgpr_workgroup_id_x 1
		.amdhsa_system_sgpr_workgroup_id_y 0
		.amdhsa_system_sgpr_workgroup_id_z 0
		.amdhsa_system_sgpr_workgroup_info 0
		.amdhsa_system_vgpr_workitem_id 0
		.amdhsa_next_free_vgpr 1
		.amdhsa_next_free_sgpr 0
		.amdhsa_accum_offset 4
		.amdhsa_reserve_vcc 0
		.amdhsa_float_round_mode_32 0
		.amdhsa_float_round_mode_16_64 0
		.amdhsa_float_denorm_mode_32 3
		.amdhsa_float_denorm_mode_16_64 3
		.amdhsa_dx10_clamp 1
		.amdhsa_ieee_mode 1
		.amdhsa_fp16_overflow 0
		.amdhsa_tg_split 0
		.amdhsa_exception_fp_ieee_invalid_op 0
		.amdhsa_exception_fp_denorm_src 0
		.amdhsa_exception_fp_ieee_div_zero 0
		.amdhsa_exception_fp_ieee_overflow 0
		.amdhsa_exception_fp_ieee_underflow 0
		.amdhsa_exception_fp_ieee_inexact 0
		.amdhsa_exception_int_div_zero 0
	.end_amdhsa_kernel
	.section	.text._ZN7rocprim17ROCPRIM_400000_NS6detail17trampoline_kernelINS0_14default_configENS1_22reduce_config_selectorIlEEZNS1_11reduce_implILb1ES3_PlS7_lN6hipcub16HIPCUB_304000_NS6detail34convert_binary_result_type_wrapperINS9_3SumENS9_22TransformInputIteratorIb7NonZeroIdEPdlEElEEEE10hipError_tPvRmT1_T2_T3_mT4_P12ihipStream_tbEUlT_E1_NS1_11comp_targetILNS1_3genE3ELNS1_11target_archE908ELNS1_3gpuE7ELNS1_3repE0EEENS1_30default_config_static_selectorELNS0_4arch9wavefront6targetE1EEEvSM_,"axG",@progbits,_ZN7rocprim17ROCPRIM_400000_NS6detail17trampoline_kernelINS0_14default_configENS1_22reduce_config_selectorIlEEZNS1_11reduce_implILb1ES3_PlS7_lN6hipcub16HIPCUB_304000_NS6detail34convert_binary_result_type_wrapperINS9_3SumENS9_22TransformInputIteratorIb7NonZeroIdEPdlEElEEEE10hipError_tPvRmT1_T2_T3_mT4_P12ihipStream_tbEUlT_E1_NS1_11comp_targetILNS1_3genE3ELNS1_11target_archE908ELNS1_3gpuE7ELNS1_3repE0EEENS1_30default_config_static_selectorELNS0_4arch9wavefront6targetE1EEEvSM_,comdat
.Lfunc_end297:
	.size	_ZN7rocprim17ROCPRIM_400000_NS6detail17trampoline_kernelINS0_14default_configENS1_22reduce_config_selectorIlEEZNS1_11reduce_implILb1ES3_PlS7_lN6hipcub16HIPCUB_304000_NS6detail34convert_binary_result_type_wrapperINS9_3SumENS9_22TransformInputIteratorIb7NonZeroIdEPdlEElEEEE10hipError_tPvRmT1_T2_T3_mT4_P12ihipStream_tbEUlT_E1_NS1_11comp_targetILNS1_3genE3ELNS1_11target_archE908ELNS1_3gpuE7ELNS1_3repE0EEENS1_30default_config_static_selectorELNS0_4arch9wavefront6targetE1EEEvSM_, .Lfunc_end297-_ZN7rocprim17ROCPRIM_400000_NS6detail17trampoline_kernelINS0_14default_configENS1_22reduce_config_selectorIlEEZNS1_11reduce_implILb1ES3_PlS7_lN6hipcub16HIPCUB_304000_NS6detail34convert_binary_result_type_wrapperINS9_3SumENS9_22TransformInputIteratorIb7NonZeroIdEPdlEElEEEE10hipError_tPvRmT1_T2_T3_mT4_P12ihipStream_tbEUlT_E1_NS1_11comp_targetILNS1_3genE3ELNS1_11target_archE908ELNS1_3gpuE7ELNS1_3repE0EEENS1_30default_config_static_selectorELNS0_4arch9wavefront6targetE1EEEvSM_
                                        ; -- End function
	.set _ZN7rocprim17ROCPRIM_400000_NS6detail17trampoline_kernelINS0_14default_configENS1_22reduce_config_selectorIlEEZNS1_11reduce_implILb1ES3_PlS7_lN6hipcub16HIPCUB_304000_NS6detail34convert_binary_result_type_wrapperINS9_3SumENS9_22TransformInputIteratorIb7NonZeroIdEPdlEElEEEE10hipError_tPvRmT1_T2_T3_mT4_P12ihipStream_tbEUlT_E1_NS1_11comp_targetILNS1_3genE3ELNS1_11target_archE908ELNS1_3gpuE7ELNS1_3repE0EEENS1_30default_config_static_selectorELNS0_4arch9wavefront6targetE1EEEvSM_.num_vgpr, 0
	.set _ZN7rocprim17ROCPRIM_400000_NS6detail17trampoline_kernelINS0_14default_configENS1_22reduce_config_selectorIlEEZNS1_11reduce_implILb1ES3_PlS7_lN6hipcub16HIPCUB_304000_NS6detail34convert_binary_result_type_wrapperINS9_3SumENS9_22TransformInputIteratorIb7NonZeroIdEPdlEElEEEE10hipError_tPvRmT1_T2_T3_mT4_P12ihipStream_tbEUlT_E1_NS1_11comp_targetILNS1_3genE3ELNS1_11target_archE908ELNS1_3gpuE7ELNS1_3repE0EEENS1_30default_config_static_selectorELNS0_4arch9wavefront6targetE1EEEvSM_.num_agpr, 0
	.set _ZN7rocprim17ROCPRIM_400000_NS6detail17trampoline_kernelINS0_14default_configENS1_22reduce_config_selectorIlEEZNS1_11reduce_implILb1ES3_PlS7_lN6hipcub16HIPCUB_304000_NS6detail34convert_binary_result_type_wrapperINS9_3SumENS9_22TransformInputIteratorIb7NonZeroIdEPdlEElEEEE10hipError_tPvRmT1_T2_T3_mT4_P12ihipStream_tbEUlT_E1_NS1_11comp_targetILNS1_3genE3ELNS1_11target_archE908ELNS1_3gpuE7ELNS1_3repE0EEENS1_30default_config_static_selectorELNS0_4arch9wavefront6targetE1EEEvSM_.numbered_sgpr, 0
	.set _ZN7rocprim17ROCPRIM_400000_NS6detail17trampoline_kernelINS0_14default_configENS1_22reduce_config_selectorIlEEZNS1_11reduce_implILb1ES3_PlS7_lN6hipcub16HIPCUB_304000_NS6detail34convert_binary_result_type_wrapperINS9_3SumENS9_22TransformInputIteratorIb7NonZeroIdEPdlEElEEEE10hipError_tPvRmT1_T2_T3_mT4_P12ihipStream_tbEUlT_E1_NS1_11comp_targetILNS1_3genE3ELNS1_11target_archE908ELNS1_3gpuE7ELNS1_3repE0EEENS1_30default_config_static_selectorELNS0_4arch9wavefront6targetE1EEEvSM_.num_named_barrier, 0
	.set _ZN7rocprim17ROCPRIM_400000_NS6detail17trampoline_kernelINS0_14default_configENS1_22reduce_config_selectorIlEEZNS1_11reduce_implILb1ES3_PlS7_lN6hipcub16HIPCUB_304000_NS6detail34convert_binary_result_type_wrapperINS9_3SumENS9_22TransformInputIteratorIb7NonZeroIdEPdlEElEEEE10hipError_tPvRmT1_T2_T3_mT4_P12ihipStream_tbEUlT_E1_NS1_11comp_targetILNS1_3genE3ELNS1_11target_archE908ELNS1_3gpuE7ELNS1_3repE0EEENS1_30default_config_static_selectorELNS0_4arch9wavefront6targetE1EEEvSM_.private_seg_size, 0
	.set _ZN7rocprim17ROCPRIM_400000_NS6detail17trampoline_kernelINS0_14default_configENS1_22reduce_config_selectorIlEEZNS1_11reduce_implILb1ES3_PlS7_lN6hipcub16HIPCUB_304000_NS6detail34convert_binary_result_type_wrapperINS9_3SumENS9_22TransformInputIteratorIb7NonZeroIdEPdlEElEEEE10hipError_tPvRmT1_T2_T3_mT4_P12ihipStream_tbEUlT_E1_NS1_11comp_targetILNS1_3genE3ELNS1_11target_archE908ELNS1_3gpuE7ELNS1_3repE0EEENS1_30default_config_static_selectorELNS0_4arch9wavefront6targetE1EEEvSM_.uses_vcc, 0
	.set _ZN7rocprim17ROCPRIM_400000_NS6detail17trampoline_kernelINS0_14default_configENS1_22reduce_config_selectorIlEEZNS1_11reduce_implILb1ES3_PlS7_lN6hipcub16HIPCUB_304000_NS6detail34convert_binary_result_type_wrapperINS9_3SumENS9_22TransformInputIteratorIb7NonZeroIdEPdlEElEEEE10hipError_tPvRmT1_T2_T3_mT4_P12ihipStream_tbEUlT_E1_NS1_11comp_targetILNS1_3genE3ELNS1_11target_archE908ELNS1_3gpuE7ELNS1_3repE0EEENS1_30default_config_static_selectorELNS0_4arch9wavefront6targetE1EEEvSM_.uses_flat_scratch, 0
	.set _ZN7rocprim17ROCPRIM_400000_NS6detail17trampoline_kernelINS0_14default_configENS1_22reduce_config_selectorIlEEZNS1_11reduce_implILb1ES3_PlS7_lN6hipcub16HIPCUB_304000_NS6detail34convert_binary_result_type_wrapperINS9_3SumENS9_22TransformInputIteratorIb7NonZeroIdEPdlEElEEEE10hipError_tPvRmT1_T2_T3_mT4_P12ihipStream_tbEUlT_E1_NS1_11comp_targetILNS1_3genE3ELNS1_11target_archE908ELNS1_3gpuE7ELNS1_3repE0EEENS1_30default_config_static_selectorELNS0_4arch9wavefront6targetE1EEEvSM_.has_dyn_sized_stack, 0
	.set _ZN7rocprim17ROCPRIM_400000_NS6detail17trampoline_kernelINS0_14default_configENS1_22reduce_config_selectorIlEEZNS1_11reduce_implILb1ES3_PlS7_lN6hipcub16HIPCUB_304000_NS6detail34convert_binary_result_type_wrapperINS9_3SumENS9_22TransformInputIteratorIb7NonZeroIdEPdlEElEEEE10hipError_tPvRmT1_T2_T3_mT4_P12ihipStream_tbEUlT_E1_NS1_11comp_targetILNS1_3genE3ELNS1_11target_archE908ELNS1_3gpuE7ELNS1_3repE0EEENS1_30default_config_static_selectorELNS0_4arch9wavefront6targetE1EEEvSM_.has_recursion, 0
	.set _ZN7rocprim17ROCPRIM_400000_NS6detail17trampoline_kernelINS0_14default_configENS1_22reduce_config_selectorIlEEZNS1_11reduce_implILb1ES3_PlS7_lN6hipcub16HIPCUB_304000_NS6detail34convert_binary_result_type_wrapperINS9_3SumENS9_22TransformInputIteratorIb7NonZeroIdEPdlEElEEEE10hipError_tPvRmT1_T2_T3_mT4_P12ihipStream_tbEUlT_E1_NS1_11comp_targetILNS1_3genE3ELNS1_11target_archE908ELNS1_3gpuE7ELNS1_3repE0EEENS1_30default_config_static_selectorELNS0_4arch9wavefront6targetE1EEEvSM_.has_indirect_call, 0
	.section	.AMDGPU.csdata,"",@progbits
; Kernel info:
; codeLenInByte = 0
; TotalNumSgprs: 6
; NumVgprs: 0
; NumAgprs: 0
; TotalNumVgprs: 0
; ScratchSize: 0
; MemoryBound: 0
; FloatMode: 240
; IeeeMode: 1
; LDSByteSize: 0 bytes/workgroup (compile time only)
; SGPRBlocks: 0
; VGPRBlocks: 0
; NumSGPRsForWavesPerEU: 6
; NumVGPRsForWavesPerEU: 1
; AccumOffset: 4
; Occupancy: 8
; WaveLimiterHint : 0
; COMPUTE_PGM_RSRC2:SCRATCH_EN: 0
; COMPUTE_PGM_RSRC2:USER_SGPR: 2
; COMPUTE_PGM_RSRC2:TRAP_HANDLER: 0
; COMPUTE_PGM_RSRC2:TGID_X_EN: 1
; COMPUTE_PGM_RSRC2:TGID_Y_EN: 0
; COMPUTE_PGM_RSRC2:TGID_Z_EN: 0
; COMPUTE_PGM_RSRC2:TIDIG_COMP_CNT: 0
; COMPUTE_PGM_RSRC3_GFX90A:ACCUM_OFFSET: 0
; COMPUTE_PGM_RSRC3_GFX90A:TG_SPLIT: 0
	.section	.text._ZN7rocprim17ROCPRIM_400000_NS6detail17trampoline_kernelINS0_14default_configENS1_22reduce_config_selectorIlEEZNS1_11reduce_implILb1ES3_PlS7_lN6hipcub16HIPCUB_304000_NS6detail34convert_binary_result_type_wrapperINS9_3SumENS9_22TransformInputIteratorIb7NonZeroIdEPdlEElEEEE10hipError_tPvRmT1_T2_T3_mT4_P12ihipStream_tbEUlT_E1_NS1_11comp_targetILNS1_3genE2ELNS1_11target_archE906ELNS1_3gpuE6ELNS1_3repE0EEENS1_30default_config_static_selectorELNS0_4arch9wavefront6targetE1EEEvSM_,"axG",@progbits,_ZN7rocprim17ROCPRIM_400000_NS6detail17trampoline_kernelINS0_14default_configENS1_22reduce_config_selectorIlEEZNS1_11reduce_implILb1ES3_PlS7_lN6hipcub16HIPCUB_304000_NS6detail34convert_binary_result_type_wrapperINS9_3SumENS9_22TransformInputIteratorIb7NonZeroIdEPdlEElEEEE10hipError_tPvRmT1_T2_T3_mT4_P12ihipStream_tbEUlT_E1_NS1_11comp_targetILNS1_3genE2ELNS1_11target_archE906ELNS1_3gpuE6ELNS1_3repE0EEENS1_30default_config_static_selectorELNS0_4arch9wavefront6targetE1EEEvSM_,comdat
	.protected	_ZN7rocprim17ROCPRIM_400000_NS6detail17trampoline_kernelINS0_14default_configENS1_22reduce_config_selectorIlEEZNS1_11reduce_implILb1ES3_PlS7_lN6hipcub16HIPCUB_304000_NS6detail34convert_binary_result_type_wrapperINS9_3SumENS9_22TransformInputIteratorIb7NonZeroIdEPdlEElEEEE10hipError_tPvRmT1_T2_T3_mT4_P12ihipStream_tbEUlT_E1_NS1_11comp_targetILNS1_3genE2ELNS1_11target_archE906ELNS1_3gpuE6ELNS1_3repE0EEENS1_30default_config_static_selectorELNS0_4arch9wavefront6targetE1EEEvSM_ ; -- Begin function _ZN7rocprim17ROCPRIM_400000_NS6detail17trampoline_kernelINS0_14default_configENS1_22reduce_config_selectorIlEEZNS1_11reduce_implILb1ES3_PlS7_lN6hipcub16HIPCUB_304000_NS6detail34convert_binary_result_type_wrapperINS9_3SumENS9_22TransformInputIteratorIb7NonZeroIdEPdlEElEEEE10hipError_tPvRmT1_T2_T3_mT4_P12ihipStream_tbEUlT_E1_NS1_11comp_targetILNS1_3genE2ELNS1_11target_archE906ELNS1_3gpuE6ELNS1_3repE0EEENS1_30default_config_static_selectorELNS0_4arch9wavefront6targetE1EEEvSM_
	.globl	_ZN7rocprim17ROCPRIM_400000_NS6detail17trampoline_kernelINS0_14default_configENS1_22reduce_config_selectorIlEEZNS1_11reduce_implILb1ES3_PlS7_lN6hipcub16HIPCUB_304000_NS6detail34convert_binary_result_type_wrapperINS9_3SumENS9_22TransformInputIteratorIb7NonZeroIdEPdlEElEEEE10hipError_tPvRmT1_T2_T3_mT4_P12ihipStream_tbEUlT_E1_NS1_11comp_targetILNS1_3genE2ELNS1_11target_archE906ELNS1_3gpuE6ELNS1_3repE0EEENS1_30default_config_static_selectorELNS0_4arch9wavefront6targetE1EEEvSM_
	.p2align	8
	.type	_ZN7rocprim17ROCPRIM_400000_NS6detail17trampoline_kernelINS0_14default_configENS1_22reduce_config_selectorIlEEZNS1_11reduce_implILb1ES3_PlS7_lN6hipcub16HIPCUB_304000_NS6detail34convert_binary_result_type_wrapperINS9_3SumENS9_22TransformInputIteratorIb7NonZeroIdEPdlEElEEEE10hipError_tPvRmT1_T2_T3_mT4_P12ihipStream_tbEUlT_E1_NS1_11comp_targetILNS1_3genE2ELNS1_11target_archE906ELNS1_3gpuE6ELNS1_3repE0EEENS1_30default_config_static_selectorELNS0_4arch9wavefront6targetE1EEEvSM_,@function
_ZN7rocprim17ROCPRIM_400000_NS6detail17trampoline_kernelINS0_14default_configENS1_22reduce_config_selectorIlEEZNS1_11reduce_implILb1ES3_PlS7_lN6hipcub16HIPCUB_304000_NS6detail34convert_binary_result_type_wrapperINS9_3SumENS9_22TransformInputIteratorIb7NonZeroIdEPdlEElEEEE10hipError_tPvRmT1_T2_T3_mT4_P12ihipStream_tbEUlT_E1_NS1_11comp_targetILNS1_3genE2ELNS1_11target_archE906ELNS1_3gpuE6ELNS1_3repE0EEENS1_30default_config_static_selectorELNS0_4arch9wavefront6targetE1EEEvSM_: ; @_ZN7rocprim17ROCPRIM_400000_NS6detail17trampoline_kernelINS0_14default_configENS1_22reduce_config_selectorIlEEZNS1_11reduce_implILb1ES3_PlS7_lN6hipcub16HIPCUB_304000_NS6detail34convert_binary_result_type_wrapperINS9_3SumENS9_22TransformInputIteratorIb7NonZeroIdEPdlEElEEEE10hipError_tPvRmT1_T2_T3_mT4_P12ihipStream_tbEUlT_E1_NS1_11comp_targetILNS1_3genE2ELNS1_11target_archE906ELNS1_3gpuE6ELNS1_3repE0EEENS1_30default_config_static_selectorELNS0_4arch9wavefront6targetE1EEEvSM_
; %bb.0:
	.section	.rodata,"a",@progbits
	.p2align	6, 0x0
	.amdhsa_kernel _ZN7rocprim17ROCPRIM_400000_NS6detail17trampoline_kernelINS0_14default_configENS1_22reduce_config_selectorIlEEZNS1_11reduce_implILb1ES3_PlS7_lN6hipcub16HIPCUB_304000_NS6detail34convert_binary_result_type_wrapperINS9_3SumENS9_22TransformInputIteratorIb7NonZeroIdEPdlEElEEEE10hipError_tPvRmT1_T2_T3_mT4_P12ihipStream_tbEUlT_E1_NS1_11comp_targetILNS1_3genE2ELNS1_11target_archE906ELNS1_3gpuE6ELNS1_3repE0EEENS1_30default_config_static_selectorELNS0_4arch9wavefront6targetE1EEEvSM_
		.amdhsa_group_segment_fixed_size 0
		.amdhsa_private_segment_fixed_size 0
		.amdhsa_kernarg_size 48
		.amdhsa_user_sgpr_count 2
		.amdhsa_user_sgpr_dispatch_ptr 0
		.amdhsa_user_sgpr_queue_ptr 0
		.amdhsa_user_sgpr_kernarg_segment_ptr 1
		.amdhsa_user_sgpr_dispatch_id 0
		.amdhsa_user_sgpr_kernarg_preload_length 0
		.amdhsa_user_sgpr_kernarg_preload_offset 0
		.amdhsa_user_sgpr_private_segment_size 0
		.amdhsa_uses_dynamic_stack 0
		.amdhsa_enable_private_segment 0
		.amdhsa_system_sgpr_workgroup_id_x 1
		.amdhsa_system_sgpr_workgroup_id_y 0
		.amdhsa_system_sgpr_workgroup_id_z 0
		.amdhsa_system_sgpr_workgroup_info 0
		.amdhsa_system_vgpr_workitem_id 0
		.amdhsa_next_free_vgpr 1
		.amdhsa_next_free_sgpr 0
		.amdhsa_accum_offset 4
		.amdhsa_reserve_vcc 0
		.amdhsa_float_round_mode_32 0
		.amdhsa_float_round_mode_16_64 0
		.amdhsa_float_denorm_mode_32 3
		.amdhsa_float_denorm_mode_16_64 3
		.amdhsa_dx10_clamp 1
		.amdhsa_ieee_mode 1
		.amdhsa_fp16_overflow 0
		.amdhsa_tg_split 0
		.amdhsa_exception_fp_ieee_invalid_op 0
		.amdhsa_exception_fp_denorm_src 0
		.amdhsa_exception_fp_ieee_div_zero 0
		.amdhsa_exception_fp_ieee_overflow 0
		.amdhsa_exception_fp_ieee_underflow 0
		.amdhsa_exception_fp_ieee_inexact 0
		.amdhsa_exception_int_div_zero 0
	.end_amdhsa_kernel
	.section	.text._ZN7rocprim17ROCPRIM_400000_NS6detail17trampoline_kernelINS0_14default_configENS1_22reduce_config_selectorIlEEZNS1_11reduce_implILb1ES3_PlS7_lN6hipcub16HIPCUB_304000_NS6detail34convert_binary_result_type_wrapperINS9_3SumENS9_22TransformInputIteratorIb7NonZeroIdEPdlEElEEEE10hipError_tPvRmT1_T2_T3_mT4_P12ihipStream_tbEUlT_E1_NS1_11comp_targetILNS1_3genE2ELNS1_11target_archE906ELNS1_3gpuE6ELNS1_3repE0EEENS1_30default_config_static_selectorELNS0_4arch9wavefront6targetE1EEEvSM_,"axG",@progbits,_ZN7rocprim17ROCPRIM_400000_NS6detail17trampoline_kernelINS0_14default_configENS1_22reduce_config_selectorIlEEZNS1_11reduce_implILb1ES3_PlS7_lN6hipcub16HIPCUB_304000_NS6detail34convert_binary_result_type_wrapperINS9_3SumENS9_22TransformInputIteratorIb7NonZeroIdEPdlEElEEEE10hipError_tPvRmT1_T2_T3_mT4_P12ihipStream_tbEUlT_E1_NS1_11comp_targetILNS1_3genE2ELNS1_11target_archE906ELNS1_3gpuE6ELNS1_3repE0EEENS1_30default_config_static_selectorELNS0_4arch9wavefront6targetE1EEEvSM_,comdat
.Lfunc_end298:
	.size	_ZN7rocprim17ROCPRIM_400000_NS6detail17trampoline_kernelINS0_14default_configENS1_22reduce_config_selectorIlEEZNS1_11reduce_implILb1ES3_PlS7_lN6hipcub16HIPCUB_304000_NS6detail34convert_binary_result_type_wrapperINS9_3SumENS9_22TransformInputIteratorIb7NonZeroIdEPdlEElEEEE10hipError_tPvRmT1_T2_T3_mT4_P12ihipStream_tbEUlT_E1_NS1_11comp_targetILNS1_3genE2ELNS1_11target_archE906ELNS1_3gpuE6ELNS1_3repE0EEENS1_30default_config_static_selectorELNS0_4arch9wavefront6targetE1EEEvSM_, .Lfunc_end298-_ZN7rocprim17ROCPRIM_400000_NS6detail17trampoline_kernelINS0_14default_configENS1_22reduce_config_selectorIlEEZNS1_11reduce_implILb1ES3_PlS7_lN6hipcub16HIPCUB_304000_NS6detail34convert_binary_result_type_wrapperINS9_3SumENS9_22TransformInputIteratorIb7NonZeroIdEPdlEElEEEE10hipError_tPvRmT1_T2_T3_mT4_P12ihipStream_tbEUlT_E1_NS1_11comp_targetILNS1_3genE2ELNS1_11target_archE906ELNS1_3gpuE6ELNS1_3repE0EEENS1_30default_config_static_selectorELNS0_4arch9wavefront6targetE1EEEvSM_
                                        ; -- End function
	.set _ZN7rocprim17ROCPRIM_400000_NS6detail17trampoline_kernelINS0_14default_configENS1_22reduce_config_selectorIlEEZNS1_11reduce_implILb1ES3_PlS7_lN6hipcub16HIPCUB_304000_NS6detail34convert_binary_result_type_wrapperINS9_3SumENS9_22TransformInputIteratorIb7NonZeroIdEPdlEElEEEE10hipError_tPvRmT1_T2_T3_mT4_P12ihipStream_tbEUlT_E1_NS1_11comp_targetILNS1_3genE2ELNS1_11target_archE906ELNS1_3gpuE6ELNS1_3repE0EEENS1_30default_config_static_selectorELNS0_4arch9wavefront6targetE1EEEvSM_.num_vgpr, 0
	.set _ZN7rocprim17ROCPRIM_400000_NS6detail17trampoline_kernelINS0_14default_configENS1_22reduce_config_selectorIlEEZNS1_11reduce_implILb1ES3_PlS7_lN6hipcub16HIPCUB_304000_NS6detail34convert_binary_result_type_wrapperINS9_3SumENS9_22TransformInputIteratorIb7NonZeroIdEPdlEElEEEE10hipError_tPvRmT1_T2_T3_mT4_P12ihipStream_tbEUlT_E1_NS1_11comp_targetILNS1_3genE2ELNS1_11target_archE906ELNS1_3gpuE6ELNS1_3repE0EEENS1_30default_config_static_selectorELNS0_4arch9wavefront6targetE1EEEvSM_.num_agpr, 0
	.set _ZN7rocprim17ROCPRIM_400000_NS6detail17trampoline_kernelINS0_14default_configENS1_22reduce_config_selectorIlEEZNS1_11reduce_implILb1ES3_PlS7_lN6hipcub16HIPCUB_304000_NS6detail34convert_binary_result_type_wrapperINS9_3SumENS9_22TransformInputIteratorIb7NonZeroIdEPdlEElEEEE10hipError_tPvRmT1_T2_T3_mT4_P12ihipStream_tbEUlT_E1_NS1_11comp_targetILNS1_3genE2ELNS1_11target_archE906ELNS1_3gpuE6ELNS1_3repE0EEENS1_30default_config_static_selectorELNS0_4arch9wavefront6targetE1EEEvSM_.numbered_sgpr, 0
	.set _ZN7rocprim17ROCPRIM_400000_NS6detail17trampoline_kernelINS0_14default_configENS1_22reduce_config_selectorIlEEZNS1_11reduce_implILb1ES3_PlS7_lN6hipcub16HIPCUB_304000_NS6detail34convert_binary_result_type_wrapperINS9_3SumENS9_22TransformInputIteratorIb7NonZeroIdEPdlEElEEEE10hipError_tPvRmT1_T2_T3_mT4_P12ihipStream_tbEUlT_E1_NS1_11comp_targetILNS1_3genE2ELNS1_11target_archE906ELNS1_3gpuE6ELNS1_3repE0EEENS1_30default_config_static_selectorELNS0_4arch9wavefront6targetE1EEEvSM_.num_named_barrier, 0
	.set _ZN7rocprim17ROCPRIM_400000_NS6detail17trampoline_kernelINS0_14default_configENS1_22reduce_config_selectorIlEEZNS1_11reduce_implILb1ES3_PlS7_lN6hipcub16HIPCUB_304000_NS6detail34convert_binary_result_type_wrapperINS9_3SumENS9_22TransformInputIteratorIb7NonZeroIdEPdlEElEEEE10hipError_tPvRmT1_T2_T3_mT4_P12ihipStream_tbEUlT_E1_NS1_11comp_targetILNS1_3genE2ELNS1_11target_archE906ELNS1_3gpuE6ELNS1_3repE0EEENS1_30default_config_static_selectorELNS0_4arch9wavefront6targetE1EEEvSM_.private_seg_size, 0
	.set _ZN7rocprim17ROCPRIM_400000_NS6detail17trampoline_kernelINS0_14default_configENS1_22reduce_config_selectorIlEEZNS1_11reduce_implILb1ES3_PlS7_lN6hipcub16HIPCUB_304000_NS6detail34convert_binary_result_type_wrapperINS9_3SumENS9_22TransformInputIteratorIb7NonZeroIdEPdlEElEEEE10hipError_tPvRmT1_T2_T3_mT4_P12ihipStream_tbEUlT_E1_NS1_11comp_targetILNS1_3genE2ELNS1_11target_archE906ELNS1_3gpuE6ELNS1_3repE0EEENS1_30default_config_static_selectorELNS0_4arch9wavefront6targetE1EEEvSM_.uses_vcc, 0
	.set _ZN7rocprim17ROCPRIM_400000_NS6detail17trampoline_kernelINS0_14default_configENS1_22reduce_config_selectorIlEEZNS1_11reduce_implILb1ES3_PlS7_lN6hipcub16HIPCUB_304000_NS6detail34convert_binary_result_type_wrapperINS9_3SumENS9_22TransformInputIteratorIb7NonZeroIdEPdlEElEEEE10hipError_tPvRmT1_T2_T3_mT4_P12ihipStream_tbEUlT_E1_NS1_11comp_targetILNS1_3genE2ELNS1_11target_archE906ELNS1_3gpuE6ELNS1_3repE0EEENS1_30default_config_static_selectorELNS0_4arch9wavefront6targetE1EEEvSM_.uses_flat_scratch, 0
	.set _ZN7rocprim17ROCPRIM_400000_NS6detail17trampoline_kernelINS0_14default_configENS1_22reduce_config_selectorIlEEZNS1_11reduce_implILb1ES3_PlS7_lN6hipcub16HIPCUB_304000_NS6detail34convert_binary_result_type_wrapperINS9_3SumENS9_22TransformInputIteratorIb7NonZeroIdEPdlEElEEEE10hipError_tPvRmT1_T2_T3_mT4_P12ihipStream_tbEUlT_E1_NS1_11comp_targetILNS1_3genE2ELNS1_11target_archE906ELNS1_3gpuE6ELNS1_3repE0EEENS1_30default_config_static_selectorELNS0_4arch9wavefront6targetE1EEEvSM_.has_dyn_sized_stack, 0
	.set _ZN7rocprim17ROCPRIM_400000_NS6detail17trampoline_kernelINS0_14default_configENS1_22reduce_config_selectorIlEEZNS1_11reduce_implILb1ES3_PlS7_lN6hipcub16HIPCUB_304000_NS6detail34convert_binary_result_type_wrapperINS9_3SumENS9_22TransformInputIteratorIb7NonZeroIdEPdlEElEEEE10hipError_tPvRmT1_T2_T3_mT4_P12ihipStream_tbEUlT_E1_NS1_11comp_targetILNS1_3genE2ELNS1_11target_archE906ELNS1_3gpuE6ELNS1_3repE0EEENS1_30default_config_static_selectorELNS0_4arch9wavefront6targetE1EEEvSM_.has_recursion, 0
	.set _ZN7rocprim17ROCPRIM_400000_NS6detail17trampoline_kernelINS0_14default_configENS1_22reduce_config_selectorIlEEZNS1_11reduce_implILb1ES3_PlS7_lN6hipcub16HIPCUB_304000_NS6detail34convert_binary_result_type_wrapperINS9_3SumENS9_22TransformInputIteratorIb7NonZeroIdEPdlEElEEEE10hipError_tPvRmT1_T2_T3_mT4_P12ihipStream_tbEUlT_E1_NS1_11comp_targetILNS1_3genE2ELNS1_11target_archE906ELNS1_3gpuE6ELNS1_3repE0EEENS1_30default_config_static_selectorELNS0_4arch9wavefront6targetE1EEEvSM_.has_indirect_call, 0
	.section	.AMDGPU.csdata,"",@progbits
; Kernel info:
; codeLenInByte = 0
; TotalNumSgprs: 6
; NumVgprs: 0
; NumAgprs: 0
; TotalNumVgprs: 0
; ScratchSize: 0
; MemoryBound: 0
; FloatMode: 240
; IeeeMode: 1
; LDSByteSize: 0 bytes/workgroup (compile time only)
; SGPRBlocks: 0
; VGPRBlocks: 0
; NumSGPRsForWavesPerEU: 6
; NumVGPRsForWavesPerEU: 1
; AccumOffset: 4
; Occupancy: 8
; WaveLimiterHint : 0
; COMPUTE_PGM_RSRC2:SCRATCH_EN: 0
; COMPUTE_PGM_RSRC2:USER_SGPR: 2
; COMPUTE_PGM_RSRC2:TRAP_HANDLER: 0
; COMPUTE_PGM_RSRC2:TGID_X_EN: 1
; COMPUTE_PGM_RSRC2:TGID_Y_EN: 0
; COMPUTE_PGM_RSRC2:TGID_Z_EN: 0
; COMPUTE_PGM_RSRC2:TIDIG_COMP_CNT: 0
; COMPUTE_PGM_RSRC3_GFX90A:ACCUM_OFFSET: 0
; COMPUTE_PGM_RSRC3_GFX90A:TG_SPLIT: 0
	.section	.text._ZN7rocprim17ROCPRIM_400000_NS6detail17trampoline_kernelINS0_14default_configENS1_22reduce_config_selectorIlEEZNS1_11reduce_implILb1ES3_PlS7_lN6hipcub16HIPCUB_304000_NS6detail34convert_binary_result_type_wrapperINS9_3SumENS9_22TransformInputIteratorIb7NonZeroIdEPdlEElEEEE10hipError_tPvRmT1_T2_T3_mT4_P12ihipStream_tbEUlT_E1_NS1_11comp_targetILNS1_3genE10ELNS1_11target_archE1201ELNS1_3gpuE5ELNS1_3repE0EEENS1_30default_config_static_selectorELNS0_4arch9wavefront6targetE1EEEvSM_,"axG",@progbits,_ZN7rocprim17ROCPRIM_400000_NS6detail17trampoline_kernelINS0_14default_configENS1_22reduce_config_selectorIlEEZNS1_11reduce_implILb1ES3_PlS7_lN6hipcub16HIPCUB_304000_NS6detail34convert_binary_result_type_wrapperINS9_3SumENS9_22TransformInputIteratorIb7NonZeroIdEPdlEElEEEE10hipError_tPvRmT1_T2_T3_mT4_P12ihipStream_tbEUlT_E1_NS1_11comp_targetILNS1_3genE10ELNS1_11target_archE1201ELNS1_3gpuE5ELNS1_3repE0EEENS1_30default_config_static_selectorELNS0_4arch9wavefront6targetE1EEEvSM_,comdat
	.protected	_ZN7rocprim17ROCPRIM_400000_NS6detail17trampoline_kernelINS0_14default_configENS1_22reduce_config_selectorIlEEZNS1_11reduce_implILb1ES3_PlS7_lN6hipcub16HIPCUB_304000_NS6detail34convert_binary_result_type_wrapperINS9_3SumENS9_22TransformInputIteratorIb7NonZeroIdEPdlEElEEEE10hipError_tPvRmT1_T2_T3_mT4_P12ihipStream_tbEUlT_E1_NS1_11comp_targetILNS1_3genE10ELNS1_11target_archE1201ELNS1_3gpuE5ELNS1_3repE0EEENS1_30default_config_static_selectorELNS0_4arch9wavefront6targetE1EEEvSM_ ; -- Begin function _ZN7rocprim17ROCPRIM_400000_NS6detail17trampoline_kernelINS0_14default_configENS1_22reduce_config_selectorIlEEZNS1_11reduce_implILb1ES3_PlS7_lN6hipcub16HIPCUB_304000_NS6detail34convert_binary_result_type_wrapperINS9_3SumENS9_22TransformInputIteratorIb7NonZeroIdEPdlEElEEEE10hipError_tPvRmT1_T2_T3_mT4_P12ihipStream_tbEUlT_E1_NS1_11comp_targetILNS1_3genE10ELNS1_11target_archE1201ELNS1_3gpuE5ELNS1_3repE0EEENS1_30default_config_static_selectorELNS0_4arch9wavefront6targetE1EEEvSM_
	.globl	_ZN7rocprim17ROCPRIM_400000_NS6detail17trampoline_kernelINS0_14default_configENS1_22reduce_config_selectorIlEEZNS1_11reduce_implILb1ES3_PlS7_lN6hipcub16HIPCUB_304000_NS6detail34convert_binary_result_type_wrapperINS9_3SumENS9_22TransformInputIteratorIb7NonZeroIdEPdlEElEEEE10hipError_tPvRmT1_T2_T3_mT4_P12ihipStream_tbEUlT_E1_NS1_11comp_targetILNS1_3genE10ELNS1_11target_archE1201ELNS1_3gpuE5ELNS1_3repE0EEENS1_30default_config_static_selectorELNS0_4arch9wavefront6targetE1EEEvSM_
	.p2align	8
	.type	_ZN7rocprim17ROCPRIM_400000_NS6detail17trampoline_kernelINS0_14default_configENS1_22reduce_config_selectorIlEEZNS1_11reduce_implILb1ES3_PlS7_lN6hipcub16HIPCUB_304000_NS6detail34convert_binary_result_type_wrapperINS9_3SumENS9_22TransformInputIteratorIb7NonZeroIdEPdlEElEEEE10hipError_tPvRmT1_T2_T3_mT4_P12ihipStream_tbEUlT_E1_NS1_11comp_targetILNS1_3genE10ELNS1_11target_archE1201ELNS1_3gpuE5ELNS1_3repE0EEENS1_30default_config_static_selectorELNS0_4arch9wavefront6targetE1EEEvSM_,@function
_ZN7rocprim17ROCPRIM_400000_NS6detail17trampoline_kernelINS0_14default_configENS1_22reduce_config_selectorIlEEZNS1_11reduce_implILb1ES3_PlS7_lN6hipcub16HIPCUB_304000_NS6detail34convert_binary_result_type_wrapperINS9_3SumENS9_22TransformInputIteratorIb7NonZeroIdEPdlEElEEEE10hipError_tPvRmT1_T2_T3_mT4_P12ihipStream_tbEUlT_E1_NS1_11comp_targetILNS1_3genE10ELNS1_11target_archE1201ELNS1_3gpuE5ELNS1_3repE0EEENS1_30default_config_static_selectorELNS0_4arch9wavefront6targetE1EEEvSM_: ; @_ZN7rocprim17ROCPRIM_400000_NS6detail17trampoline_kernelINS0_14default_configENS1_22reduce_config_selectorIlEEZNS1_11reduce_implILb1ES3_PlS7_lN6hipcub16HIPCUB_304000_NS6detail34convert_binary_result_type_wrapperINS9_3SumENS9_22TransformInputIteratorIb7NonZeroIdEPdlEElEEEE10hipError_tPvRmT1_T2_T3_mT4_P12ihipStream_tbEUlT_E1_NS1_11comp_targetILNS1_3genE10ELNS1_11target_archE1201ELNS1_3gpuE5ELNS1_3repE0EEENS1_30default_config_static_selectorELNS0_4arch9wavefront6targetE1EEEvSM_
; %bb.0:
	.section	.rodata,"a",@progbits
	.p2align	6, 0x0
	.amdhsa_kernel _ZN7rocprim17ROCPRIM_400000_NS6detail17trampoline_kernelINS0_14default_configENS1_22reduce_config_selectorIlEEZNS1_11reduce_implILb1ES3_PlS7_lN6hipcub16HIPCUB_304000_NS6detail34convert_binary_result_type_wrapperINS9_3SumENS9_22TransformInputIteratorIb7NonZeroIdEPdlEElEEEE10hipError_tPvRmT1_T2_T3_mT4_P12ihipStream_tbEUlT_E1_NS1_11comp_targetILNS1_3genE10ELNS1_11target_archE1201ELNS1_3gpuE5ELNS1_3repE0EEENS1_30default_config_static_selectorELNS0_4arch9wavefront6targetE1EEEvSM_
		.amdhsa_group_segment_fixed_size 0
		.amdhsa_private_segment_fixed_size 0
		.amdhsa_kernarg_size 48
		.amdhsa_user_sgpr_count 2
		.amdhsa_user_sgpr_dispatch_ptr 0
		.amdhsa_user_sgpr_queue_ptr 0
		.amdhsa_user_sgpr_kernarg_segment_ptr 1
		.amdhsa_user_sgpr_dispatch_id 0
		.amdhsa_user_sgpr_kernarg_preload_length 0
		.amdhsa_user_sgpr_kernarg_preload_offset 0
		.amdhsa_user_sgpr_private_segment_size 0
		.amdhsa_uses_dynamic_stack 0
		.amdhsa_enable_private_segment 0
		.amdhsa_system_sgpr_workgroup_id_x 1
		.amdhsa_system_sgpr_workgroup_id_y 0
		.amdhsa_system_sgpr_workgroup_id_z 0
		.amdhsa_system_sgpr_workgroup_info 0
		.amdhsa_system_vgpr_workitem_id 0
		.amdhsa_next_free_vgpr 1
		.amdhsa_next_free_sgpr 0
		.amdhsa_accum_offset 4
		.amdhsa_reserve_vcc 0
		.amdhsa_float_round_mode_32 0
		.amdhsa_float_round_mode_16_64 0
		.amdhsa_float_denorm_mode_32 3
		.amdhsa_float_denorm_mode_16_64 3
		.amdhsa_dx10_clamp 1
		.amdhsa_ieee_mode 1
		.amdhsa_fp16_overflow 0
		.amdhsa_tg_split 0
		.amdhsa_exception_fp_ieee_invalid_op 0
		.amdhsa_exception_fp_denorm_src 0
		.amdhsa_exception_fp_ieee_div_zero 0
		.amdhsa_exception_fp_ieee_overflow 0
		.amdhsa_exception_fp_ieee_underflow 0
		.amdhsa_exception_fp_ieee_inexact 0
		.amdhsa_exception_int_div_zero 0
	.end_amdhsa_kernel
	.section	.text._ZN7rocprim17ROCPRIM_400000_NS6detail17trampoline_kernelINS0_14default_configENS1_22reduce_config_selectorIlEEZNS1_11reduce_implILb1ES3_PlS7_lN6hipcub16HIPCUB_304000_NS6detail34convert_binary_result_type_wrapperINS9_3SumENS9_22TransformInputIteratorIb7NonZeroIdEPdlEElEEEE10hipError_tPvRmT1_T2_T3_mT4_P12ihipStream_tbEUlT_E1_NS1_11comp_targetILNS1_3genE10ELNS1_11target_archE1201ELNS1_3gpuE5ELNS1_3repE0EEENS1_30default_config_static_selectorELNS0_4arch9wavefront6targetE1EEEvSM_,"axG",@progbits,_ZN7rocprim17ROCPRIM_400000_NS6detail17trampoline_kernelINS0_14default_configENS1_22reduce_config_selectorIlEEZNS1_11reduce_implILb1ES3_PlS7_lN6hipcub16HIPCUB_304000_NS6detail34convert_binary_result_type_wrapperINS9_3SumENS9_22TransformInputIteratorIb7NonZeroIdEPdlEElEEEE10hipError_tPvRmT1_T2_T3_mT4_P12ihipStream_tbEUlT_E1_NS1_11comp_targetILNS1_3genE10ELNS1_11target_archE1201ELNS1_3gpuE5ELNS1_3repE0EEENS1_30default_config_static_selectorELNS0_4arch9wavefront6targetE1EEEvSM_,comdat
.Lfunc_end299:
	.size	_ZN7rocprim17ROCPRIM_400000_NS6detail17trampoline_kernelINS0_14default_configENS1_22reduce_config_selectorIlEEZNS1_11reduce_implILb1ES3_PlS7_lN6hipcub16HIPCUB_304000_NS6detail34convert_binary_result_type_wrapperINS9_3SumENS9_22TransformInputIteratorIb7NonZeroIdEPdlEElEEEE10hipError_tPvRmT1_T2_T3_mT4_P12ihipStream_tbEUlT_E1_NS1_11comp_targetILNS1_3genE10ELNS1_11target_archE1201ELNS1_3gpuE5ELNS1_3repE0EEENS1_30default_config_static_selectorELNS0_4arch9wavefront6targetE1EEEvSM_, .Lfunc_end299-_ZN7rocprim17ROCPRIM_400000_NS6detail17trampoline_kernelINS0_14default_configENS1_22reduce_config_selectorIlEEZNS1_11reduce_implILb1ES3_PlS7_lN6hipcub16HIPCUB_304000_NS6detail34convert_binary_result_type_wrapperINS9_3SumENS9_22TransformInputIteratorIb7NonZeroIdEPdlEElEEEE10hipError_tPvRmT1_T2_T3_mT4_P12ihipStream_tbEUlT_E1_NS1_11comp_targetILNS1_3genE10ELNS1_11target_archE1201ELNS1_3gpuE5ELNS1_3repE0EEENS1_30default_config_static_selectorELNS0_4arch9wavefront6targetE1EEEvSM_
                                        ; -- End function
	.set _ZN7rocprim17ROCPRIM_400000_NS6detail17trampoline_kernelINS0_14default_configENS1_22reduce_config_selectorIlEEZNS1_11reduce_implILb1ES3_PlS7_lN6hipcub16HIPCUB_304000_NS6detail34convert_binary_result_type_wrapperINS9_3SumENS9_22TransformInputIteratorIb7NonZeroIdEPdlEElEEEE10hipError_tPvRmT1_T2_T3_mT4_P12ihipStream_tbEUlT_E1_NS1_11comp_targetILNS1_3genE10ELNS1_11target_archE1201ELNS1_3gpuE5ELNS1_3repE0EEENS1_30default_config_static_selectorELNS0_4arch9wavefront6targetE1EEEvSM_.num_vgpr, 0
	.set _ZN7rocprim17ROCPRIM_400000_NS6detail17trampoline_kernelINS0_14default_configENS1_22reduce_config_selectorIlEEZNS1_11reduce_implILb1ES3_PlS7_lN6hipcub16HIPCUB_304000_NS6detail34convert_binary_result_type_wrapperINS9_3SumENS9_22TransformInputIteratorIb7NonZeroIdEPdlEElEEEE10hipError_tPvRmT1_T2_T3_mT4_P12ihipStream_tbEUlT_E1_NS1_11comp_targetILNS1_3genE10ELNS1_11target_archE1201ELNS1_3gpuE5ELNS1_3repE0EEENS1_30default_config_static_selectorELNS0_4arch9wavefront6targetE1EEEvSM_.num_agpr, 0
	.set _ZN7rocprim17ROCPRIM_400000_NS6detail17trampoline_kernelINS0_14default_configENS1_22reduce_config_selectorIlEEZNS1_11reduce_implILb1ES3_PlS7_lN6hipcub16HIPCUB_304000_NS6detail34convert_binary_result_type_wrapperINS9_3SumENS9_22TransformInputIteratorIb7NonZeroIdEPdlEElEEEE10hipError_tPvRmT1_T2_T3_mT4_P12ihipStream_tbEUlT_E1_NS1_11comp_targetILNS1_3genE10ELNS1_11target_archE1201ELNS1_3gpuE5ELNS1_3repE0EEENS1_30default_config_static_selectorELNS0_4arch9wavefront6targetE1EEEvSM_.numbered_sgpr, 0
	.set _ZN7rocprim17ROCPRIM_400000_NS6detail17trampoline_kernelINS0_14default_configENS1_22reduce_config_selectorIlEEZNS1_11reduce_implILb1ES3_PlS7_lN6hipcub16HIPCUB_304000_NS6detail34convert_binary_result_type_wrapperINS9_3SumENS9_22TransformInputIteratorIb7NonZeroIdEPdlEElEEEE10hipError_tPvRmT1_T2_T3_mT4_P12ihipStream_tbEUlT_E1_NS1_11comp_targetILNS1_3genE10ELNS1_11target_archE1201ELNS1_3gpuE5ELNS1_3repE0EEENS1_30default_config_static_selectorELNS0_4arch9wavefront6targetE1EEEvSM_.num_named_barrier, 0
	.set _ZN7rocprim17ROCPRIM_400000_NS6detail17trampoline_kernelINS0_14default_configENS1_22reduce_config_selectorIlEEZNS1_11reduce_implILb1ES3_PlS7_lN6hipcub16HIPCUB_304000_NS6detail34convert_binary_result_type_wrapperINS9_3SumENS9_22TransformInputIteratorIb7NonZeroIdEPdlEElEEEE10hipError_tPvRmT1_T2_T3_mT4_P12ihipStream_tbEUlT_E1_NS1_11comp_targetILNS1_3genE10ELNS1_11target_archE1201ELNS1_3gpuE5ELNS1_3repE0EEENS1_30default_config_static_selectorELNS0_4arch9wavefront6targetE1EEEvSM_.private_seg_size, 0
	.set _ZN7rocprim17ROCPRIM_400000_NS6detail17trampoline_kernelINS0_14default_configENS1_22reduce_config_selectorIlEEZNS1_11reduce_implILb1ES3_PlS7_lN6hipcub16HIPCUB_304000_NS6detail34convert_binary_result_type_wrapperINS9_3SumENS9_22TransformInputIteratorIb7NonZeroIdEPdlEElEEEE10hipError_tPvRmT1_T2_T3_mT4_P12ihipStream_tbEUlT_E1_NS1_11comp_targetILNS1_3genE10ELNS1_11target_archE1201ELNS1_3gpuE5ELNS1_3repE0EEENS1_30default_config_static_selectorELNS0_4arch9wavefront6targetE1EEEvSM_.uses_vcc, 0
	.set _ZN7rocprim17ROCPRIM_400000_NS6detail17trampoline_kernelINS0_14default_configENS1_22reduce_config_selectorIlEEZNS1_11reduce_implILb1ES3_PlS7_lN6hipcub16HIPCUB_304000_NS6detail34convert_binary_result_type_wrapperINS9_3SumENS9_22TransformInputIteratorIb7NonZeroIdEPdlEElEEEE10hipError_tPvRmT1_T2_T3_mT4_P12ihipStream_tbEUlT_E1_NS1_11comp_targetILNS1_3genE10ELNS1_11target_archE1201ELNS1_3gpuE5ELNS1_3repE0EEENS1_30default_config_static_selectorELNS0_4arch9wavefront6targetE1EEEvSM_.uses_flat_scratch, 0
	.set _ZN7rocprim17ROCPRIM_400000_NS6detail17trampoline_kernelINS0_14default_configENS1_22reduce_config_selectorIlEEZNS1_11reduce_implILb1ES3_PlS7_lN6hipcub16HIPCUB_304000_NS6detail34convert_binary_result_type_wrapperINS9_3SumENS9_22TransformInputIteratorIb7NonZeroIdEPdlEElEEEE10hipError_tPvRmT1_T2_T3_mT4_P12ihipStream_tbEUlT_E1_NS1_11comp_targetILNS1_3genE10ELNS1_11target_archE1201ELNS1_3gpuE5ELNS1_3repE0EEENS1_30default_config_static_selectorELNS0_4arch9wavefront6targetE1EEEvSM_.has_dyn_sized_stack, 0
	.set _ZN7rocprim17ROCPRIM_400000_NS6detail17trampoline_kernelINS0_14default_configENS1_22reduce_config_selectorIlEEZNS1_11reduce_implILb1ES3_PlS7_lN6hipcub16HIPCUB_304000_NS6detail34convert_binary_result_type_wrapperINS9_3SumENS9_22TransformInputIteratorIb7NonZeroIdEPdlEElEEEE10hipError_tPvRmT1_T2_T3_mT4_P12ihipStream_tbEUlT_E1_NS1_11comp_targetILNS1_3genE10ELNS1_11target_archE1201ELNS1_3gpuE5ELNS1_3repE0EEENS1_30default_config_static_selectorELNS0_4arch9wavefront6targetE1EEEvSM_.has_recursion, 0
	.set _ZN7rocprim17ROCPRIM_400000_NS6detail17trampoline_kernelINS0_14default_configENS1_22reduce_config_selectorIlEEZNS1_11reduce_implILb1ES3_PlS7_lN6hipcub16HIPCUB_304000_NS6detail34convert_binary_result_type_wrapperINS9_3SumENS9_22TransformInputIteratorIb7NonZeroIdEPdlEElEEEE10hipError_tPvRmT1_T2_T3_mT4_P12ihipStream_tbEUlT_E1_NS1_11comp_targetILNS1_3genE10ELNS1_11target_archE1201ELNS1_3gpuE5ELNS1_3repE0EEENS1_30default_config_static_selectorELNS0_4arch9wavefront6targetE1EEEvSM_.has_indirect_call, 0
	.section	.AMDGPU.csdata,"",@progbits
; Kernel info:
; codeLenInByte = 0
; TotalNumSgprs: 6
; NumVgprs: 0
; NumAgprs: 0
; TotalNumVgprs: 0
; ScratchSize: 0
; MemoryBound: 0
; FloatMode: 240
; IeeeMode: 1
; LDSByteSize: 0 bytes/workgroup (compile time only)
; SGPRBlocks: 0
; VGPRBlocks: 0
; NumSGPRsForWavesPerEU: 6
; NumVGPRsForWavesPerEU: 1
; AccumOffset: 4
; Occupancy: 8
; WaveLimiterHint : 0
; COMPUTE_PGM_RSRC2:SCRATCH_EN: 0
; COMPUTE_PGM_RSRC2:USER_SGPR: 2
; COMPUTE_PGM_RSRC2:TRAP_HANDLER: 0
; COMPUTE_PGM_RSRC2:TGID_X_EN: 1
; COMPUTE_PGM_RSRC2:TGID_Y_EN: 0
; COMPUTE_PGM_RSRC2:TGID_Z_EN: 0
; COMPUTE_PGM_RSRC2:TIDIG_COMP_CNT: 0
; COMPUTE_PGM_RSRC3_GFX90A:ACCUM_OFFSET: 0
; COMPUTE_PGM_RSRC3_GFX90A:TG_SPLIT: 0
	.section	.text._ZN7rocprim17ROCPRIM_400000_NS6detail17trampoline_kernelINS0_14default_configENS1_22reduce_config_selectorIlEEZNS1_11reduce_implILb1ES3_PlS7_lN6hipcub16HIPCUB_304000_NS6detail34convert_binary_result_type_wrapperINS9_3SumENS9_22TransformInputIteratorIb7NonZeroIdEPdlEElEEEE10hipError_tPvRmT1_T2_T3_mT4_P12ihipStream_tbEUlT_E1_NS1_11comp_targetILNS1_3genE10ELNS1_11target_archE1200ELNS1_3gpuE4ELNS1_3repE0EEENS1_30default_config_static_selectorELNS0_4arch9wavefront6targetE1EEEvSM_,"axG",@progbits,_ZN7rocprim17ROCPRIM_400000_NS6detail17trampoline_kernelINS0_14default_configENS1_22reduce_config_selectorIlEEZNS1_11reduce_implILb1ES3_PlS7_lN6hipcub16HIPCUB_304000_NS6detail34convert_binary_result_type_wrapperINS9_3SumENS9_22TransformInputIteratorIb7NonZeroIdEPdlEElEEEE10hipError_tPvRmT1_T2_T3_mT4_P12ihipStream_tbEUlT_E1_NS1_11comp_targetILNS1_3genE10ELNS1_11target_archE1200ELNS1_3gpuE4ELNS1_3repE0EEENS1_30default_config_static_selectorELNS0_4arch9wavefront6targetE1EEEvSM_,comdat
	.protected	_ZN7rocprim17ROCPRIM_400000_NS6detail17trampoline_kernelINS0_14default_configENS1_22reduce_config_selectorIlEEZNS1_11reduce_implILb1ES3_PlS7_lN6hipcub16HIPCUB_304000_NS6detail34convert_binary_result_type_wrapperINS9_3SumENS9_22TransformInputIteratorIb7NonZeroIdEPdlEElEEEE10hipError_tPvRmT1_T2_T3_mT4_P12ihipStream_tbEUlT_E1_NS1_11comp_targetILNS1_3genE10ELNS1_11target_archE1200ELNS1_3gpuE4ELNS1_3repE0EEENS1_30default_config_static_selectorELNS0_4arch9wavefront6targetE1EEEvSM_ ; -- Begin function _ZN7rocprim17ROCPRIM_400000_NS6detail17trampoline_kernelINS0_14default_configENS1_22reduce_config_selectorIlEEZNS1_11reduce_implILb1ES3_PlS7_lN6hipcub16HIPCUB_304000_NS6detail34convert_binary_result_type_wrapperINS9_3SumENS9_22TransformInputIteratorIb7NonZeroIdEPdlEElEEEE10hipError_tPvRmT1_T2_T3_mT4_P12ihipStream_tbEUlT_E1_NS1_11comp_targetILNS1_3genE10ELNS1_11target_archE1200ELNS1_3gpuE4ELNS1_3repE0EEENS1_30default_config_static_selectorELNS0_4arch9wavefront6targetE1EEEvSM_
	.globl	_ZN7rocprim17ROCPRIM_400000_NS6detail17trampoline_kernelINS0_14default_configENS1_22reduce_config_selectorIlEEZNS1_11reduce_implILb1ES3_PlS7_lN6hipcub16HIPCUB_304000_NS6detail34convert_binary_result_type_wrapperINS9_3SumENS9_22TransformInputIteratorIb7NonZeroIdEPdlEElEEEE10hipError_tPvRmT1_T2_T3_mT4_P12ihipStream_tbEUlT_E1_NS1_11comp_targetILNS1_3genE10ELNS1_11target_archE1200ELNS1_3gpuE4ELNS1_3repE0EEENS1_30default_config_static_selectorELNS0_4arch9wavefront6targetE1EEEvSM_
	.p2align	8
	.type	_ZN7rocprim17ROCPRIM_400000_NS6detail17trampoline_kernelINS0_14default_configENS1_22reduce_config_selectorIlEEZNS1_11reduce_implILb1ES3_PlS7_lN6hipcub16HIPCUB_304000_NS6detail34convert_binary_result_type_wrapperINS9_3SumENS9_22TransformInputIteratorIb7NonZeroIdEPdlEElEEEE10hipError_tPvRmT1_T2_T3_mT4_P12ihipStream_tbEUlT_E1_NS1_11comp_targetILNS1_3genE10ELNS1_11target_archE1200ELNS1_3gpuE4ELNS1_3repE0EEENS1_30default_config_static_selectorELNS0_4arch9wavefront6targetE1EEEvSM_,@function
_ZN7rocprim17ROCPRIM_400000_NS6detail17trampoline_kernelINS0_14default_configENS1_22reduce_config_selectorIlEEZNS1_11reduce_implILb1ES3_PlS7_lN6hipcub16HIPCUB_304000_NS6detail34convert_binary_result_type_wrapperINS9_3SumENS9_22TransformInputIteratorIb7NonZeroIdEPdlEElEEEE10hipError_tPvRmT1_T2_T3_mT4_P12ihipStream_tbEUlT_E1_NS1_11comp_targetILNS1_3genE10ELNS1_11target_archE1200ELNS1_3gpuE4ELNS1_3repE0EEENS1_30default_config_static_selectorELNS0_4arch9wavefront6targetE1EEEvSM_: ; @_ZN7rocprim17ROCPRIM_400000_NS6detail17trampoline_kernelINS0_14default_configENS1_22reduce_config_selectorIlEEZNS1_11reduce_implILb1ES3_PlS7_lN6hipcub16HIPCUB_304000_NS6detail34convert_binary_result_type_wrapperINS9_3SumENS9_22TransformInputIteratorIb7NonZeroIdEPdlEElEEEE10hipError_tPvRmT1_T2_T3_mT4_P12ihipStream_tbEUlT_E1_NS1_11comp_targetILNS1_3genE10ELNS1_11target_archE1200ELNS1_3gpuE4ELNS1_3repE0EEENS1_30default_config_static_selectorELNS0_4arch9wavefront6targetE1EEEvSM_
; %bb.0:
	.section	.rodata,"a",@progbits
	.p2align	6, 0x0
	.amdhsa_kernel _ZN7rocprim17ROCPRIM_400000_NS6detail17trampoline_kernelINS0_14default_configENS1_22reduce_config_selectorIlEEZNS1_11reduce_implILb1ES3_PlS7_lN6hipcub16HIPCUB_304000_NS6detail34convert_binary_result_type_wrapperINS9_3SumENS9_22TransformInputIteratorIb7NonZeroIdEPdlEElEEEE10hipError_tPvRmT1_T2_T3_mT4_P12ihipStream_tbEUlT_E1_NS1_11comp_targetILNS1_3genE10ELNS1_11target_archE1200ELNS1_3gpuE4ELNS1_3repE0EEENS1_30default_config_static_selectorELNS0_4arch9wavefront6targetE1EEEvSM_
		.amdhsa_group_segment_fixed_size 0
		.amdhsa_private_segment_fixed_size 0
		.amdhsa_kernarg_size 48
		.amdhsa_user_sgpr_count 2
		.amdhsa_user_sgpr_dispatch_ptr 0
		.amdhsa_user_sgpr_queue_ptr 0
		.amdhsa_user_sgpr_kernarg_segment_ptr 1
		.amdhsa_user_sgpr_dispatch_id 0
		.amdhsa_user_sgpr_kernarg_preload_length 0
		.amdhsa_user_sgpr_kernarg_preload_offset 0
		.amdhsa_user_sgpr_private_segment_size 0
		.amdhsa_uses_dynamic_stack 0
		.amdhsa_enable_private_segment 0
		.amdhsa_system_sgpr_workgroup_id_x 1
		.amdhsa_system_sgpr_workgroup_id_y 0
		.amdhsa_system_sgpr_workgroup_id_z 0
		.amdhsa_system_sgpr_workgroup_info 0
		.amdhsa_system_vgpr_workitem_id 0
		.amdhsa_next_free_vgpr 1
		.amdhsa_next_free_sgpr 0
		.amdhsa_accum_offset 4
		.amdhsa_reserve_vcc 0
		.amdhsa_float_round_mode_32 0
		.amdhsa_float_round_mode_16_64 0
		.amdhsa_float_denorm_mode_32 3
		.amdhsa_float_denorm_mode_16_64 3
		.amdhsa_dx10_clamp 1
		.amdhsa_ieee_mode 1
		.amdhsa_fp16_overflow 0
		.amdhsa_tg_split 0
		.amdhsa_exception_fp_ieee_invalid_op 0
		.amdhsa_exception_fp_denorm_src 0
		.amdhsa_exception_fp_ieee_div_zero 0
		.amdhsa_exception_fp_ieee_overflow 0
		.amdhsa_exception_fp_ieee_underflow 0
		.amdhsa_exception_fp_ieee_inexact 0
		.amdhsa_exception_int_div_zero 0
	.end_amdhsa_kernel
	.section	.text._ZN7rocprim17ROCPRIM_400000_NS6detail17trampoline_kernelINS0_14default_configENS1_22reduce_config_selectorIlEEZNS1_11reduce_implILb1ES3_PlS7_lN6hipcub16HIPCUB_304000_NS6detail34convert_binary_result_type_wrapperINS9_3SumENS9_22TransformInputIteratorIb7NonZeroIdEPdlEElEEEE10hipError_tPvRmT1_T2_T3_mT4_P12ihipStream_tbEUlT_E1_NS1_11comp_targetILNS1_3genE10ELNS1_11target_archE1200ELNS1_3gpuE4ELNS1_3repE0EEENS1_30default_config_static_selectorELNS0_4arch9wavefront6targetE1EEEvSM_,"axG",@progbits,_ZN7rocprim17ROCPRIM_400000_NS6detail17trampoline_kernelINS0_14default_configENS1_22reduce_config_selectorIlEEZNS1_11reduce_implILb1ES3_PlS7_lN6hipcub16HIPCUB_304000_NS6detail34convert_binary_result_type_wrapperINS9_3SumENS9_22TransformInputIteratorIb7NonZeroIdEPdlEElEEEE10hipError_tPvRmT1_T2_T3_mT4_P12ihipStream_tbEUlT_E1_NS1_11comp_targetILNS1_3genE10ELNS1_11target_archE1200ELNS1_3gpuE4ELNS1_3repE0EEENS1_30default_config_static_selectorELNS0_4arch9wavefront6targetE1EEEvSM_,comdat
.Lfunc_end300:
	.size	_ZN7rocprim17ROCPRIM_400000_NS6detail17trampoline_kernelINS0_14default_configENS1_22reduce_config_selectorIlEEZNS1_11reduce_implILb1ES3_PlS7_lN6hipcub16HIPCUB_304000_NS6detail34convert_binary_result_type_wrapperINS9_3SumENS9_22TransformInputIteratorIb7NonZeroIdEPdlEElEEEE10hipError_tPvRmT1_T2_T3_mT4_P12ihipStream_tbEUlT_E1_NS1_11comp_targetILNS1_3genE10ELNS1_11target_archE1200ELNS1_3gpuE4ELNS1_3repE0EEENS1_30default_config_static_selectorELNS0_4arch9wavefront6targetE1EEEvSM_, .Lfunc_end300-_ZN7rocprim17ROCPRIM_400000_NS6detail17trampoline_kernelINS0_14default_configENS1_22reduce_config_selectorIlEEZNS1_11reduce_implILb1ES3_PlS7_lN6hipcub16HIPCUB_304000_NS6detail34convert_binary_result_type_wrapperINS9_3SumENS9_22TransformInputIteratorIb7NonZeroIdEPdlEElEEEE10hipError_tPvRmT1_T2_T3_mT4_P12ihipStream_tbEUlT_E1_NS1_11comp_targetILNS1_3genE10ELNS1_11target_archE1200ELNS1_3gpuE4ELNS1_3repE0EEENS1_30default_config_static_selectorELNS0_4arch9wavefront6targetE1EEEvSM_
                                        ; -- End function
	.set _ZN7rocprim17ROCPRIM_400000_NS6detail17trampoline_kernelINS0_14default_configENS1_22reduce_config_selectorIlEEZNS1_11reduce_implILb1ES3_PlS7_lN6hipcub16HIPCUB_304000_NS6detail34convert_binary_result_type_wrapperINS9_3SumENS9_22TransformInputIteratorIb7NonZeroIdEPdlEElEEEE10hipError_tPvRmT1_T2_T3_mT4_P12ihipStream_tbEUlT_E1_NS1_11comp_targetILNS1_3genE10ELNS1_11target_archE1200ELNS1_3gpuE4ELNS1_3repE0EEENS1_30default_config_static_selectorELNS0_4arch9wavefront6targetE1EEEvSM_.num_vgpr, 0
	.set _ZN7rocprim17ROCPRIM_400000_NS6detail17trampoline_kernelINS0_14default_configENS1_22reduce_config_selectorIlEEZNS1_11reduce_implILb1ES3_PlS7_lN6hipcub16HIPCUB_304000_NS6detail34convert_binary_result_type_wrapperINS9_3SumENS9_22TransformInputIteratorIb7NonZeroIdEPdlEElEEEE10hipError_tPvRmT1_T2_T3_mT4_P12ihipStream_tbEUlT_E1_NS1_11comp_targetILNS1_3genE10ELNS1_11target_archE1200ELNS1_3gpuE4ELNS1_3repE0EEENS1_30default_config_static_selectorELNS0_4arch9wavefront6targetE1EEEvSM_.num_agpr, 0
	.set _ZN7rocprim17ROCPRIM_400000_NS6detail17trampoline_kernelINS0_14default_configENS1_22reduce_config_selectorIlEEZNS1_11reduce_implILb1ES3_PlS7_lN6hipcub16HIPCUB_304000_NS6detail34convert_binary_result_type_wrapperINS9_3SumENS9_22TransformInputIteratorIb7NonZeroIdEPdlEElEEEE10hipError_tPvRmT1_T2_T3_mT4_P12ihipStream_tbEUlT_E1_NS1_11comp_targetILNS1_3genE10ELNS1_11target_archE1200ELNS1_3gpuE4ELNS1_3repE0EEENS1_30default_config_static_selectorELNS0_4arch9wavefront6targetE1EEEvSM_.numbered_sgpr, 0
	.set _ZN7rocprim17ROCPRIM_400000_NS6detail17trampoline_kernelINS0_14default_configENS1_22reduce_config_selectorIlEEZNS1_11reduce_implILb1ES3_PlS7_lN6hipcub16HIPCUB_304000_NS6detail34convert_binary_result_type_wrapperINS9_3SumENS9_22TransformInputIteratorIb7NonZeroIdEPdlEElEEEE10hipError_tPvRmT1_T2_T3_mT4_P12ihipStream_tbEUlT_E1_NS1_11comp_targetILNS1_3genE10ELNS1_11target_archE1200ELNS1_3gpuE4ELNS1_3repE0EEENS1_30default_config_static_selectorELNS0_4arch9wavefront6targetE1EEEvSM_.num_named_barrier, 0
	.set _ZN7rocprim17ROCPRIM_400000_NS6detail17trampoline_kernelINS0_14default_configENS1_22reduce_config_selectorIlEEZNS1_11reduce_implILb1ES3_PlS7_lN6hipcub16HIPCUB_304000_NS6detail34convert_binary_result_type_wrapperINS9_3SumENS9_22TransformInputIteratorIb7NonZeroIdEPdlEElEEEE10hipError_tPvRmT1_T2_T3_mT4_P12ihipStream_tbEUlT_E1_NS1_11comp_targetILNS1_3genE10ELNS1_11target_archE1200ELNS1_3gpuE4ELNS1_3repE0EEENS1_30default_config_static_selectorELNS0_4arch9wavefront6targetE1EEEvSM_.private_seg_size, 0
	.set _ZN7rocprim17ROCPRIM_400000_NS6detail17trampoline_kernelINS0_14default_configENS1_22reduce_config_selectorIlEEZNS1_11reduce_implILb1ES3_PlS7_lN6hipcub16HIPCUB_304000_NS6detail34convert_binary_result_type_wrapperINS9_3SumENS9_22TransformInputIteratorIb7NonZeroIdEPdlEElEEEE10hipError_tPvRmT1_T2_T3_mT4_P12ihipStream_tbEUlT_E1_NS1_11comp_targetILNS1_3genE10ELNS1_11target_archE1200ELNS1_3gpuE4ELNS1_3repE0EEENS1_30default_config_static_selectorELNS0_4arch9wavefront6targetE1EEEvSM_.uses_vcc, 0
	.set _ZN7rocprim17ROCPRIM_400000_NS6detail17trampoline_kernelINS0_14default_configENS1_22reduce_config_selectorIlEEZNS1_11reduce_implILb1ES3_PlS7_lN6hipcub16HIPCUB_304000_NS6detail34convert_binary_result_type_wrapperINS9_3SumENS9_22TransformInputIteratorIb7NonZeroIdEPdlEElEEEE10hipError_tPvRmT1_T2_T3_mT4_P12ihipStream_tbEUlT_E1_NS1_11comp_targetILNS1_3genE10ELNS1_11target_archE1200ELNS1_3gpuE4ELNS1_3repE0EEENS1_30default_config_static_selectorELNS0_4arch9wavefront6targetE1EEEvSM_.uses_flat_scratch, 0
	.set _ZN7rocprim17ROCPRIM_400000_NS6detail17trampoline_kernelINS0_14default_configENS1_22reduce_config_selectorIlEEZNS1_11reduce_implILb1ES3_PlS7_lN6hipcub16HIPCUB_304000_NS6detail34convert_binary_result_type_wrapperINS9_3SumENS9_22TransformInputIteratorIb7NonZeroIdEPdlEElEEEE10hipError_tPvRmT1_T2_T3_mT4_P12ihipStream_tbEUlT_E1_NS1_11comp_targetILNS1_3genE10ELNS1_11target_archE1200ELNS1_3gpuE4ELNS1_3repE0EEENS1_30default_config_static_selectorELNS0_4arch9wavefront6targetE1EEEvSM_.has_dyn_sized_stack, 0
	.set _ZN7rocprim17ROCPRIM_400000_NS6detail17trampoline_kernelINS0_14default_configENS1_22reduce_config_selectorIlEEZNS1_11reduce_implILb1ES3_PlS7_lN6hipcub16HIPCUB_304000_NS6detail34convert_binary_result_type_wrapperINS9_3SumENS9_22TransformInputIteratorIb7NonZeroIdEPdlEElEEEE10hipError_tPvRmT1_T2_T3_mT4_P12ihipStream_tbEUlT_E1_NS1_11comp_targetILNS1_3genE10ELNS1_11target_archE1200ELNS1_3gpuE4ELNS1_3repE0EEENS1_30default_config_static_selectorELNS0_4arch9wavefront6targetE1EEEvSM_.has_recursion, 0
	.set _ZN7rocprim17ROCPRIM_400000_NS6detail17trampoline_kernelINS0_14default_configENS1_22reduce_config_selectorIlEEZNS1_11reduce_implILb1ES3_PlS7_lN6hipcub16HIPCUB_304000_NS6detail34convert_binary_result_type_wrapperINS9_3SumENS9_22TransformInputIteratorIb7NonZeroIdEPdlEElEEEE10hipError_tPvRmT1_T2_T3_mT4_P12ihipStream_tbEUlT_E1_NS1_11comp_targetILNS1_3genE10ELNS1_11target_archE1200ELNS1_3gpuE4ELNS1_3repE0EEENS1_30default_config_static_selectorELNS0_4arch9wavefront6targetE1EEEvSM_.has_indirect_call, 0
	.section	.AMDGPU.csdata,"",@progbits
; Kernel info:
; codeLenInByte = 0
; TotalNumSgprs: 6
; NumVgprs: 0
; NumAgprs: 0
; TotalNumVgprs: 0
; ScratchSize: 0
; MemoryBound: 0
; FloatMode: 240
; IeeeMode: 1
; LDSByteSize: 0 bytes/workgroup (compile time only)
; SGPRBlocks: 0
; VGPRBlocks: 0
; NumSGPRsForWavesPerEU: 6
; NumVGPRsForWavesPerEU: 1
; AccumOffset: 4
; Occupancy: 8
; WaveLimiterHint : 0
; COMPUTE_PGM_RSRC2:SCRATCH_EN: 0
; COMPUTE_PGM_RSRC2:USER_SGPR: 2
; COMPUTE_PGM_RSRC2:TRAP_HANDLER: 0
; COMPUTE_PGM_RSRC2:TGID_X_EN: 1
; COMPUTE_PGM_RSRC2:TGID_Y_EN: 0
; COMPUTE_PGM_RSRC2:TGID_Z_EN: 0
; COMPUTE_PGM_RSRC2:TIDIG_COMP_CNT: 0
; COMPUTE_PGM_RSRC3_GFX90A:ACCUM_OFFSET: 0
; COMPUTE_PGM_RSRC3_GFX90A:TG_SPLIT: 0
	.section	.text._ZN7rocprim17ROCPRIM_400000_NS6detail17trampoline_kernelINS0_14default_configENS1_22reduce_config_selectorIlEEZNS1_11reduce_implILb1ES3_PlS7_lN6hipcub16HIPCUB_304000_NS6detail34convert_binary_result_type_wrapperINS9_3SumENS9_22TransformInputIteratorIb7NonZeroIdEPdlEElEEEE10hipError_tPvRmT1_T2_T3_mT4_P12ihipStream_tbEUlT_E1_NS1_11comp_targetILNS1_3genE9ELNS1_11target_archE1100ELNS1_3gpuE3ELNS1_3repE0EEENS1_30default_config_static_selectorELNS0_4arch9wavefront6targetE1EEEvSM_,"axG",@progbits,_ZN7rocprim17ROCPRIM_400000_NS6detail17trampoline_kernelINS0_14default_configENS1_22reduce_config_selectorIlEEZNS1_11reduce_implILb1ES3_PlS7_lN6hipcub16HIPCUB_304000_NS6detail34convert_binary_result_type_wrapperINS9_3SumENS9_22TransformInputIteratorIb7NonZeroIdEPdlEElEEEE10hipError_tPvRmT1_T2_T3_mT4_P12ihipStream_tbEUlT_E1_NS1_11comp_targetILNS1_3genE9ELNS1_11target_archE1100ELNS1_3gpuE3ELNS1_3repE0EEENS1_30default_config_static_selectorELNS0_4arch9wavefront6targetE1EEEvSM_,comdat
	.protected	_ZN7rocprim17ROCPRIM_400000_NS6detail17trampoline_kernelINS0_14default_configENS1_22reduce_config_selectorIlEEZNS1_11reduce_implILb1ES3_PlS7_lN6hipcub16HIPCUB_304000_NS6detail34convert_binary_result_type_wrapperINS9_3SumENS9_22TransformInputIteratorIb7NonZeroIdEPdlEElEEEE10hipError_tPvRmT1_T2_T3_mT4_P12ihipStream_tbEUlT_E1_NS1_11comp_targetILNS1_3genE9ELNS1_11target_archE1100ELNS1_3gpuE3ELNS1_3repE0EEENS1_30default_config_static_selectorELNS0_4arch9wavefront6targetE1EEEvSM_ ; -- Begin function _ZN7rocprim17ROCPRIM_400000_NS6detail17trampoline_kernelINS0_14default_configENS1_22reduce_config_selectorIlEEZNS1_11reduce_implILb1ES3_PlS7_lN6hipcub16HIPCUB_304000_NS6detail34convert_binary_result_type_wrapperINS9_3SumENS9_22TransformInputIteratorIb7NonZeroIdEPdlEElEEEE10hipError_tPvRmT1_T2_T3_mT4_P12ihipStream_tbEUlT_E1_NS1_11comp_targetILNS1_3genE9ELNS1_11target_archE1100ELNS1_3gpuE3ELNS1_3repE0EEENS1_30default_config_static_selectorELNS0_4arch9wavefront6targetE1EEEvSM_
	.globl	_ZN7rocprim17ROCPRIM_400000_NS6detail17trampoline_kernelINS0_14default_configENS1_22reduce_config_selectorIlEEZNS1_11reduce_implILb1ES3_PlS7_lN6hipcub16HIPCUB_304000_NS6detail34convert_binary_result_type_wrapperINS9_3SumENS9_22TransformInputIteratorIb7NonZeroIdEPdlEElEEEE10hipError_tPvRmT1_T2_T3_mT4_P12ihipStream_tbEUlT_E1_NS1_11comp_targetILNS1_3genE9ELNS1_11target_archE1100ELNS1_3gpuE3ELNS1_3repE0EEENS1_30default_config_static_selectorELNS0_4arch9wavefront6targetE1EEEvSM_
	.p2align	8
	.type	_ZN7rocprim17ROCPRIM_400000_NS6detail17trampoline_kernelINS0_14default_configENS1_22reduce_config_selectorIlEEZNS1_11reduce_implILb1ES3_PlS7_lN6hipcub16HIPCUB_304000_NS6detail34convert_binary_result_type_wrapperINS9_3SumENS9_22TransformInputIteratorIb7NonZeroIdEPdlEElEEEE10hipError_tPvRmT1_T2_T3_mT4_P12ihipStream_tbEUlT_E1_NS1_11comp_targetILNS1_3genE9ELNS1_11target_archE1100ELNS1_3gpuE3ELNS1_3repE0EEENS1_30default_config_static_selectorELNS0_4arch9wavefront6targetE1EEEvSM_,@function
_ZN7rocprim17ROCPRIM_400000_NS6detail17trampoline_kernelINS0_14default_configENS1_22reduce_config_selectorIlEEZNS1_11reduce_implILb1ES3_PlS7_lN6hipcub16HIPCUB_304000_NS6detail34convert_binary_result_type_wrapperINS9_3SumENS9_22TransformInputIteratorIb7NonZeroIdEPdlEElEEEE10hipError_tPvRmT1_T2_T3_mT4_P12ihipStream_tbEUlT_E1_NS1_11comp_targetILNS1_3genE9ELNS1_11target_archE1100ELNS1_3gpuE3ELNS1_3repE0EEENS1_30default_config_static_selectorELNS0_4arch9wavefront6targetE1EEEvSM_: ; @_ZN7rocprim17ROCPRIM_400000_NS6detail17trampoline_kernelINS0_14default_configENS1_22reduce_config_selectorIlEEZNS1_11reduce_implILb1ES3_PlS7_lN6hipcub16HIPCUB_304000_NS6detail34convert_binary_result_type_wrapperINS9_3SumENS9_22TransformInputIteratorIb7NonZeroIdEPdlEElEEEE10hipError_tPvRmT1_T2_T3_mT4_P12ihipStream_tbEUlT_E1_NS1_11comp_targetILNS1_3genE9ELNS1_11target_archE1100ELNS1_3gpuE3ELNS1_3repE0EEENS1_30default_config_static_selectorELNS0_4arch9wavefront6targetE1EEEvSM_
; %bb.0:
	.section	.rodata,"a",@progbits
	.p2align	6, 0x0
	.amdhsa_kernel _ZN7rocprim17ROCPRIM_400000_NS6detail17trampoline_kernelINS0_14default_configENS1_22reduce_config_selectorIlEEZNS1_11reduce_implILb1ES3_PlS7_lN6hipcub16HIPCUB_304000_NS6detail34convert_binary_result_type_wrapperINS9_3SumENS9_22TransformInputIteratorIb7NonZeroIdEPdlEElEEEE10hipError_tPvRmT1_T2_T3_mT4_P12ihipStream_tbEUlT_E1_NS1_11comp_targetILNS1_3genE9ELNS1_11target_archE1100ELNS1_3gpuE3ELNS1_3repE0EEENS1_30default_config_static_selectorELNS0_4arch9wavefront6targetE1EEEvSM_
		.amdhsa_group_segment_fixed_size 0
		.amdhsa_private_segment_fixed_size 0
		.amdhsa_kernarg_size 48
		.amdhsa_user_sgpr_count 2
		.amdhsa_user_sgpr_dispatch_ptr 0
		.amdhsa_user_sgpr_queue_ptr 0
		.amdhsa_user_sgpr_kernarg_segment_ptr 1
		.amdhsa_user_sgpr_dispatch_id 0
		.amdhsa_user_sgpr_kernarg_preload_length 0
		.amdhsa_user_sgpr_kernarg_preload_offset 0
		.amdhsa_user_sgpr_private_segment_size 0
		.amdhsa_uses_dynamic_stack 0
		.amdhsa_enable_private_segment 0
		.amdhsa_system_sgpr_workgroup_id_x 1
		.amdhsa_system_sgpr_workgroup_id_y 0
		.amdhsa_system_sgpr_workgroup_id_z 0
		.amdhsa_system_sgpr_workgroup_info 0
		.amdhsa_system_vgpr_workitem_id 0
		.amdhsa_next_free_vgpr 1
		.amdhsa_next_free_sgpr 0
		.amdhsa_accum_offset 4
		.amdhsa_reserve_vcc 0
		.amdhsa_float_round_mode_32 0
		.amdhsa_float_round_mode_16_64 0
		.amdhsa_float_denorm_mode_32 3
		.amdhsa_float_denorm_mode_16_64 3
		.amdhsa_dx10_clamp 1
		.amdhsa_ieee_mode 1
		.amdhsa_fp16_overflow 0
		.amdhsa_tg_split 0
		.amdhsa_exception_fp_ieee_invalid_op 0
		.amdhsa_exception_fp_denorm_src 0
		.amdhsa_exception_fp_ieee_div_zero 0
		.amdhsa_exception_fp_ieee_overflow 0
		.amdhsa_exception_fp_ieee_underflow 0
		.amdhsa_exception_fp_ieee_inexact 0
		.amdhsa_exception_int_div_zero 0
	.end_amdhsa_kernel
	.section	.text._ZN7rocprim17ROCPRIM_400000_NS6detail17trampoline_kernelINS0_14default_configENS1_22reduce_config_selectorIlEEZNS1_11reduce_implILb1ES3_PlS7_lN6hipcub16HIPCUB_304000_NS6detail34convert_binary_result_type_wrapperINS9_3SumENS9_22TransformInputIteratorIb7NonZeroIdEPdlEElEEEE10hipError_tPvRmT1_T2_T3_mT4_P12ihipStream_tbEUlT_E1_NS1_11comp_targetILNS1_3genE9ELNS1_11target_archE1100ELNS1_3gpuE3ELNS1_3repE0EEENS1_30default_config_static_selectorELNS0_4arch9wavefront6targetE1EEEvSM_,"axG",@progbits,_ZN7rocprim17ROCPRIM_400000_NS6detail17trampoline_kernelINS0_14default_configENS1_22reduce_config_selectorIlEEZNS1_11reduce_implILb1ES3_PlS7_lN6hipcub16HIPCUB_304000_NS6detail34convert_binary_result_type_wrapperINS9_3SumENS9_22TransformInputIteratorIb7NonZeroIdEPdlEElEEEE10hipError_tPvRmT1_T2_T3_mT4_P12ihipStream_tbEUlT_E1_NS1_11comp_targetILNS1_3genE9ELNS1_11target_archE1100ELNS1_3gpuE3ELNS1_3repE0EEENS1_30default_config_static_selectorELNS0_4arch9wavefront6targetE1EEEvSM_,comdat
.Lfunc_end301:
	.size	_ZN7rocprim17ROCPRIM_400000_NS6detail17trampoline_kernelINS0_14default_configENS1_22reduce_config_selectorIlEEZNS1_11reduce_implILb1ES3_PlS7_lN6hipcub16HIPCUB_304000_NS6detail34convert_binary_result_type_wrapperINS9_3SumENS9_22TransformInputIteratorIb7NonZeroIdEPdlEElEEEE10hipError_tPvRmT1_T2_T3_mT4_P12ihipStream_tbEUlT_E1_NS1_11comp_targetILNS1_3genE9ELNS1_11target_archE1100ELNS1_3gpuE3ELNS1_3repE0EEENS1_30default_config_static_selectorELNS0_4arch9wavefront6targetE1EEEvSM_, .Lfunc_end301-_ZN7rocprim17ROCPRIM_400000_NS6detail17trampoline_kernelINS0_14default_configENS1_22reduce_config_selectorIlEEZNS1_11reduce_implILb1ES3_PlS7_lN6hipcub16HIPCUB_304000_NS6detail34convert_binary_result_type_wrapperINS9_3SumENS9_22TransformInputIteratorIb7NonZeroIdEPdlEElEEEE10hipError_tPvRmT1_T2_T3_mT4_P12ihipStream_tbEUlT_E1_NS1_11comp_targetILNS1_3genE9ELNS1_11target_archE1100ELNS1_3gpuE3ELNS1_3repE0EEENS1_30default_config_static_selectorELNS0_4arch9wavefront6targetE1EEEvSM_
                                        ; -- End function
	.set _ZN7rocprim17ROCPRIM_400000_NS6detail17trampoline_kernelINS0_14default_configENS1_22reduce_config_selectorIlEEZNS1_11reduce_implILb1ES3_PlS7_lN6hipcub16HIPCUB_304000_NS6detail34convert_binary_result_type_wrapperINS9_3SumENS9_22TransformInputIteratorIb7NonZeroIdEPdlEElEEEE10hipError_tPvRmT1_T2_T3_mT4_P12ihipStream_tbEUlT_E1_NS1_11comp_targetILNS1_3genE9ELNS1_11target_archE1100ELNS1_3gpuE3ELNS1_3repE0EEENS1_30default_config_static_selectorELNS0_4arch9wavefront6targetE1EEEvSM_.num_vgpr, 0
	.set _ZN7rocprim17ROCPRIM_400000_NS6detail17trampoline_kernelINS0_14default_configENS1_22reduce_config_selectorIlEEZNS1_11reduce_implILb1ES3_PlS7_lN6hipcub16HIPCUB_304000_NS6detail34convert_binary_result_type_wrapperINS9_3SumENS9_22TransformInputIteratorIb7NonZeroIdEPdlEElEEEE10hipError_tPvRmT1_T2_T3_mT4_P12ihipStream_tbEUlT_E1_NS1_11comp_targetILNS1_3genE9ELNS1_11target_archE1100ELNS1_3gpuE3ELNS1_3repE0EEENS1_30default_config_static_selectorELNS0_4arch9wavefront6targetE1EEEvSM_.num_agpr, 0
	.set _ZN7rocprim17ROCPRIM_400000_NS6detail17trampoline_kernelINS0_14default_configENS1_22reduce_config_selectorIlEEZNS1_11reduce_implILb1ES3_PlS7_lN6hipcub16HIPCUB_304000_NS6detail34convert_binary_result_type_wrapperINS9_3SumENS9_22TransformInputIteratorIb7NonZeroIdEPdlEElEEEE10hipError_tPvRmT1_T2_T3_mT4_P12ihipStream_tbEUlT_E1_NS1_11comp_targetILNS1_3genE9ELNS1_11target_archE1100ELNS1_3gpuE3ELNS1_3repE0EEENS1_30default_config_static_selectorELNS0_4arch9wavefront6targetE1EEEvSM_.numbered_sgpr, 0
	.set _ZN7rocprim17ROCPRIM_400000_NS6detail17trampoline_kernelINS0_14default_configENS1_22reduce_config_selectorIlEEZNS1_11reduce_implILb1ES3_PlS7_lN6hipcub16HIPCUB_304000_NS6detail34convert_binary_result_type_wrapperINS9_3SumENS9_22TransformInputIteratorIb7NonZeroIdEPdlEElEEEE10hipError_tPvRmT1_T2_T3_mT4_P12ihipStream_tbEUlT_E1_NS1_11comp_targetILNS1_3genE9ELNS1_11target_archE1100ELNS1_3gpuE3ELNS1_3repE0EEENS1_30default_config_static_selectorELNS0_4arch9wavefront6targetE1EEEvSM_.num_named_barrier, 0
	.set _ZN7rocprim17ROCPRIM_400000_NS6detail17trampoline_kernelINS0_14default_configENS1_22reduce_config_selectorIlEEZNS1_11reduce_implILb1ES3_PlS7_lN6hipcub16HIPCUB_304000_NS6detail34convert_binary_result_type_wrapperINS9_3SumENS9_22TransformInputIteratorIb7NonZeroIdEPdlEElEEEE10hipError_tPvRmT1_T2_T3_mT4_P12ihipStream_tbEUlT_E1_NS1_11comp_targetILNS1_3genE9ELNS1_11target_archE1100ELNS1_3gpuE3ELNS1_3repE0EEENS1_30default_config_static_selectorELNS0_4arch9wavefront6targetE1EEEvSM_.private_seg_size, 0
	.set _ZN7rocprim17ROCPRIM_400000_NS6detail17trampoline_kernelINS0_14default_configENS1_22reduce_config_selectorIlEEZNS1_11reduce_implILb1ES3_PlS7_lN6hipcub16HIPCUB_304000_NS6detail34convert_binary_result_type_wrapperINS9_3SumENS9_22TransformInputIteratorIb7NonZeroIdEPdlEElEEEE10hipError_tPvRmT1_T2_T3_mT4_P12ihipStream_tbEUlT_E1_NS1_11comp_targetILNS1_3genE9ELNS1_11target_archE1100ELNS1_3gpuE3ELNS1_3repE0EEENS1_30default_config_static_selectorELNS0_4arch9wavefront6targetE1EEEvSM_.uses_vcc, 0
	.set _ZN7rocprim17ROCPRIM_400000_NS6detail17trampoline_kernelINS0_14default_configENS1_22reduce_config_selectorIlEEZNS1_11reduce_implILb1ES3_PlS7_lN6hipcub16HIPCUB_304000_NS6detail34convert_binary_result_type_wrapperINS9_3SumENS9_22TransformInputIteratorIb7NonZeroIdEPdlEElEEEE10hipError_tPvRmT1_T2_T3_mT4_P12ihipStream_tbEUlT_E1_NS1_11comp_targetILNS1_3genE9ELNS1_11target_archE1100ELNS1_3gpuE3ELNS1_3repE0EEENS1_30default_config_static_selectorELNS0_4arch9wavefront6targetE1EEEvSM_.uses_flat_scratch, 0
	.set _ZN7rocprim17ROCPRIM_400000_NS6detail17trampoline_kernelINS0_14default_configENS1_22reduce_config_selectorIlEEZNS1_11reduce_implILb1ES3_PlS7_lN6hipcub16HIPCUB_304000_NS6detail34convert_binary_result_type_wrapperINS9_3SumENS9_22TransformInputIteratorIb7NonZeroIdEPdlEElEEEE10hipError_tPvRmT1_T2_T3_mT4_P12ihipStream_tbEUlT_E1_NS1_11comp_targetILNS1_3genE9ELNS1_11target_archE1100ELNS1_3gpuE3ELNS1_3repE0EEENS1_30default_config_static_selectorELNS0_4arch9wavefront6targetE1EEEvSM_.has_dyn_sized_stack, 0
	.set _ZN7rocprim17ROCPRIM_400000_NS6detail17trampoline_kernelINS0_14default_configENS1_22reduce_config_selectorIlEEZNS1_11reduce_implILb1ES3_PlS7_lN6hipcub16HIPCUB_304000_NS6detail34convert_binary_result_type_wrapperINS9_3SumENS9_22TransformInputIteratorIb7NonZeroIdEPdlEElEEEE10hipError_tPvRmT1_T2_T3_mT4_P12ihipStream_tbEUlT_E1_NS1_11comp_targetILNS1_3genE9ELNS1_11target_archE1100ELNS1_3gpuE3ELNS1_3repE0EEENS1_30default_config_static_selectorELNS0_4arch9wavefront6targetE1EEEvSM_.has_recursion, 0
	.set _ZN7rocprim17ROCPRIM_400000_NS6detail17trampoline_kernelINS0_14default_configENS1_22reduce_config_selectorIlEEZNS1_11reduce_implILb1ES3_PlS7_lN6hipcub16HIPCUB_304000_NS6detail34convert_binary_result_type_wrapperINS9_3SumENS9_22TransformInputIteratorIb7NonZeroIdEPdlEElEEEE10hipError_tPvRmT1_T2_T3_mT4_P12ihipStream_tbEUlT_E1_NS1_11comp_targetILNS1_3genE9ELNS1_11target_archE1100ELNS1_3gpuE3ELNS1_3repE0EEENS1_30default_config_static_selectorELNS0_4arch9wavefront6targetE1EEEvSM_.has_indirect_call, 0
	.section	.AMDGPU.csdata,"",@progbits
; Kernel info:
; codeLenInByte = 0
; TotalNumSgprs: 6
; NumVgprs: 0
; NumAgprs: 0
; TotalNumVgprs: 0
; ScratchSize: 0
; MemoryBound: 0
; FloatMode: 240
; IeeeMode: 1
; LDSByteSize: 0 bytes/workgroup (compile time only)
; SGPRBlocks: 0
; VGPRBlocks: 0
; NumSGPRsForWavesPerEU: 6
; NumVGPRsForWavesPerEU: 1
; AccumOffset: 4
; Occupancy: 8
; WaveLimiterHint : 0
; COMPUTE_PGM_RSRC2:SCRATCH_EN: 0
; COMPUTE_PGM_RSRC2:USER_SGPR: 2
; COMPUTE_PGM_RSRC2:TRAP_HANDLER: 0
; COMPUTE_PGM_RSRC2:TGID_X_EN: 1
; COMPUTE_PGM_RSRC2:TGID_Y_EN: 0
; COMPUTE_PGM_RSRC2:TGID_Z_EN: 0
; COMPUTE_PGM_RSRC2:TIDIG_COMP_CNT: 0
; COMPUTE_PGM_RSRC3_GFX90A:ACCUM_OFFSET: 0
; COMPUTE_PGM_RSRC3_GFX90A:TG_SPLIT: 0
	.section	.text._ZN7rocprim17ROCPRIM_400000_NS6detail17trampoline_kernelINS0_14default_configENS1_22reduce_config_selectorIlEEZNS1_11reduce_implILb1ES3_PlS7_lN6hipcub16HIPCUB_304000_NS6detail34convert_binary_result_type_wrapperINS9_3SumENS9_22TransformInputIteratorIb7NonZeroIdEPdlEElEEEE10hipError_tPvRmT1_T2_T3_mT4_P12ihipStream_tbEUlT_E1_NS1_11comp_targetILNS1_3genE8ELNS1_11target_archE1030ELNS1_3gpuE2ELNS1_3repE0EEENS1_30default_config_static_selectorELNS0_4arch9wavefront6targetE1EEEvSM_,"axG",@progbits,_ZN7rocprim17ROCPRIM_400000_NS6detail17trampoline_kernelINS0_14default_configENS1_22reduce_config_selectorIlEEZNS1_11reduce_implILb1ES3_PlS7_lN6hipcub16HIPCUB_304000_NS6detail34convert_binary_result_type_wrapperINS9_3SumENS9_22TransformInputIteratorIb7NonZeroIdEPdlEElEEEE10hipError_tPvRmT1_T2_T3_mT4_P12ihipStream_tbEUlT_E1_NS1_11comp_targetILNS1_3genE8ELNS1_11target_archE1030ELNS1_3gpuE2ELNS1_3repE0EEENS1_30default_config_static_selectorELNS0_4arch9wavefront6targetE1EEEvSM_,comdat
	.protected	_ZN7rocprim17ROCPRIM_400000_NS6detail17trampoline_kernelINS0_14default_configENS1_22reduce_config_selectorIlEEZNS1_11reduce_implILb1ES3_PlS7_lN6hipcub16HIPCUB_304000_NS6detail34convert_binary_result_type_wrapperINS9_3SumENS9_22TransformInputIteratorIb7NonZeroIdEPdlEElEEEE10hipError_tPvRmT1_T2_T3_mT4_P12ihipStream_tbEUlT_E1_NS1_11comp_targetILNS1_3genE8ELNS1_11target_archE1030ELNS1_3gpuE2ELNS1_3repE0EEENS1_30default_config_static_selectorELNS0_4arch9wavefront6targetE1EEEvSM_ ; -- Begin function _ZN7rocprim17ROCPRIM_400000_NS6detail17trampoline_kernelINS0_14default_configENS1_22reduce_config_selectorIlEEZNS1_11reduce_implILb1ES3_PlS7_lN6hipcub16HIPCUB_304000_NS6detail34convert_binary_result_type_wrapperINS9_3SumENS9_22TransformInputIteratorIb7NonZeroIdEPdlEElEEEE10hipError_tPvRmT1_T2_T3_mT4_P12ihipStream_tbEUlT_E1_NS1_11comp_targetILNS1_3genE8ELNS1_11target_archE1030ELNS1_3gpuE2ELNS1_3repE0EEENS1_30default_config_static_selectorELNS0_4arch9wavefront6targetE1EEEvSM_
	.globl	_ZN7rocprim17ROCPRIM_400000_NS6detail17trampoline_kernelINS0_14default_configENS1_22reduce_config_selectorIlEEZNS1_11reduce_implILb1ES3_PlS7_lN6hipcub16HIPCUB_304000_NS6detail34convert_binary_result_type_wrapperINS9_3SumENS9_22TransformInputIteratorIb7NonZeroIdEPdlEElEEEE10hipError_tPvRmT1_T2_T3_mT4_P12ihipStream_tbEUlT_E1_NS1_11comp_targetILNS1_3genE8ELNS1_11target_archE1030ELNS1_3gpuE2ELNS1_3repE0EEENS1_30default_config_static_selectorELNS0_4arch9wavefront6targetE1EEEvSM_
	.p2align	8
	.type	_ZN7rocprim17ROCPRIM_400000_NS6detail17trampoline_kernelINS0_14default_configENS1_22reduce_config_selectorIlEEZNS1_11reduce_implILb1ES3_PlS7_lN6hipcub16HIPCUB_304000_NS6detail34convert_binary_result_type_wrapperINS9_3SumENS9_22TransformInputIteratorIb7NonZeroIdEPdlEElEEEE10hipError_tPvRmT1_T2_T3_mT4_P12ihipStream_tbEUlT_E1_NS1_11comp_targetILNS1_3genE8ELNS1_11target_archE1030ELNS1_3gpuE2ELNS1_3repE0EEENS1_30default_config_static_selectorELNS0_4arch9wavefront6targetE1EEEvSM_,@function
_ZN7rocprim17ROCPRIM_400000_NS6detail17trampoline_kernelINS0_14default_configENS1_22reduce_config_selectorIlEEZNS1_11reduce_implILb1ES3_PlS7_lN6hipcub16HIPCUB_304000_NS6detail34convert_binary_result_type_wrapperINS9_3SumENS9_22TransformInputIteratorIb7NonZeroIdEPdlEElEEEE10hipError_tPvRmT1_T2_T3_mT4_P12ihipStream_tbEUlT_E1_NS1_11comp_targetILNS1_3genE8ELNS1_11target_archE1030ELNS1_3gpuE2ELNS1_3repE0EEENS1_30default_config_static_selectorELNS0_4arch9wavefront6targetE1EEEvSM_: ; @_ZN7rocprim17ROCPRIM_400000_NS6detail17trampoline_kernelINS0_14default_configENS1_22reduce_config_selectorIlEEZNS1_11reduce_implILb1ES3_PlS7_lN6hipcub16HIPCUB_304000_NS6detail34convert_binary_result_type_wrapperINS9_3SumENS9_22TransformInputIteratorIb7NonZeroIdEPdlEElEEEE10hipError_tPvRmT1_T2_T3_mT4_P12ihipStream_tbEUlT_E1_NS1_11comp_targetILNS1_3genE8ELNS1_11target_archE1030ELNS1_3gpuE2ELNS1_3repE0EEENS1_30default_config_static_selectorELNS0_4arch9wavefront6targetE1EEEvSM_
; %bb.0:
	.section	.rodata,"a",@progbits
	.p2align	6, 0x0
	.amdhsa_kernel _ZN7rocprim17ROCPRIM_400000_NS6detail17trampoline_kernelINS0_14default_configENS1_22reduce_config_selectorIlEEZNS1_11reduce_implILb1ES3_PlS7_lN6hipcub16HIPCUB_304000_NS6detail34convert_binary_result_type_wrapperINS9_3SumENS9_22TransformInputIteratorIb7NonZeroIdEPdlEElEEEE10hipError_tPvRmT1_T2_T3_mT4_P12ihipStream_tbEUlT_E1_NS1_11comp_targetILNS1_3genE8ELNS1_11target_archE1030ELNS1_3gpuE2ELNS1_3repE0EEENS1_30default_config_static_selectorELNS0_4arch9wavefront6targetE1EEEvSM_
		.amdhsa_group_segment_fixed_size 0
		.amdhsa_private_segment_fixed_size 0
		.amdhsa_kernarg_size 48
		.amdhsa_user_sgpr_count 2
		.amdhsa_user_sgpr_dispatch_ptr 0
		.amdhsa_user_sgpr_queue_ptr 0
		.amdhsa_user_sgpr_kernarg_segment_ptr 1
		.amdhsa_user_sgpr_dispatch_id 0
		.amdhsa_user_sgpr_kernarg_preload_length 0
		.amdhsa_user_sgpr_kernarg_preload_offset 0
		.amdhsa_user_sgpr_private_segment_size 0
		.amdhsa_uses_dynamic_stack 0
		.amdhsa_enable_private_segment 0
		.amdhsa_system_sgpr_workgroup_id_x 1
		.amdhsa_system_sgpr_workgroup_id_y 0
		.amdhsa_system_sgpr_workgroup_id_z 0
		.amdhsa_system_sgpr_workgroup_info 0
		.amdhsa_system_vgpr_workitem_id 0
		.amdhsa_next_free_vgpr 1
		.amdhsa_next_free_sgpr 0
		.amdhsa_accum_offset 4
		.amdhsa_reserve_vcc 0
		.amdhsa_float_round_mode_32 0
		.amdhsa_float_round_mode_16_64 0
		.amdhsa_float_denorm_mode_32 3
		.amdhsa_float_denorm_mode_16_64 3
		.amdhsa_dx10_clamp 1
		.amdhsa_ieee_mode 1
		.amdhsa_fp16_overflow 0
		.amdhsa_tg_split 0
		.amdhsa_exception_fp_ieee_invalid_op 0
		.amdhsa_exception_fp_denorm_src 0
		.amdhsa_exception_fp_ieee_div_zero 0
		.amdhsa_exception_fp_ieee_overflow 0
		.amdhsa_exception_fp_ieee_underflow 0
		.amdhsa_exception_fp_ieee_inexact 0
		.amdhsa_exception_int_div_zero 0
	.end_amdhsa_kernel
	.section	.text._ZN7rocprim17ROCPRIM_400000_NS6detail17trampoline_kernelINS0_14default_configENS1_22reduce_config_selectorIlEEZNS1_11reduce_implILb1ES3_PlS7_lN6hipcub16HIPCUB_304000_NS6detail34convert_binary_result_type_wrapperINS9_3SumENS9_22TransformInputIteratorIb7NonZeroIdEPdlEElEEEE10hipError_tPvRmT1_T2_T3_mT4_P12ihipStream_tbEUlT_E1_NS1_11comp_targetILNS1_3genE8ELNS1_11target_archE1030ELNS1_3gpuE2ELNS1_3repE0EEENS1_30default_config_static_selectorELNS0_4arch9wavefront6targetE1EEEvSM_,"axG",@progbits,_ZN7rocprim17ROCPRIM_400000_NS6detail17trampoline_kernelINS0_14default_configENS1_22reduce_config_selectorIlEEZNS1_11reduce_implILb1ES3_PlS7_lN6hipcub16HIPCUB_304000_NS6detail34convert_binary_result_type_wrapperINS9_3SumENS9_22TransformInputIteratorIb7NonZeroIdEPdlEElEEEE10hipError_tPvRmT1_T2_T3_mT4_P12ihipStream_tbEUlT_E1_NS1_11comp_targetILNS1_3genE8ELNS1_11target_archE1030ELNS1_3gpuE2ELNS1_3repE0EEENS1_30default_config_static_selectorELNS0_4arch9wavefront6targetE1EEEvSM_,comdat
.Lfunc_end302:
	.size	_ZN7rocprim17ROCPRIM_400000_NS6detail17trampoline_kernelINS0_14default_configENS1_22reduce_config_selectorIlEEZNS1_11reduce_implILb1ES3_PlS7_lN6hipcub16HIPCUB_304000_NS6detail34convert_binary_result_type_wrapperINS9_3SumENS9_22TransformInputIteratorIb7NonZeroIdEPdlEElEEEE10hipError_tPvRmT1_T2_T3_mT4_P12ihipStream_tbEUlT_E1_NS1_11comp_targetILNS1_3genE8ELNS1_11target_archE1030ELNS1_3gpuE2ELNS1_3repE0EEENS1_30default_config_static_selectorELNS0_4arch9wavefront6targetE1EEEvSM_, .Lfunc_end302-_ZN7rocprim17ROCPRIM_400000_NS6detail17trampoline_kernelINS0_14default_configENS1_22reduce_config_selectorIlEEZNS1_11reduce_implILb1ES3_PlS7_lN6hipcub16HIPCUB_304000_NS6detail34convert_binary_result_type_wrapperINS9_3SumENS9_22TransformInputIteratorIb7NonZeroIdEPdlEElEEEE10hipError_tPvRmT1_T2_T3_mT4_P12ihipStream_tbEUlT_E1_NS1_11comp_targetILNS1_3genE8ELNS1_11target_archE1030ELNS1_3gpuE2ELNS1_3repE0EEENS1_30default_config_static_selectorELNS0_4arch9wavefront6targetE1EEEvSM_
                                        ; -- End function
	.set _ZN7rocprim17ROCPRIM_400000_NS6detail17trampoline_kernelINS0_14default_configENS1_22reduce_config_selectorIlEEZNS1_11reduce_implILb1ES3_PlS7_lN6hipcub16HIPCUB_304000_NS6detail34convert_binary_result_type_wrapperINS9_3SumENS9_22TransformInputIteratorIb7NonZeroIdEPdlEElEEEE10hipError_tPvRmT1_T2_T3_mT4_P12ihipStream_tbEUlT_E1_NS1_11comp_targetILNS1_3genE8ELNS1_11target_archE1030ELNS1_3gpuE2ELNS1_3repE0EEENS1_30default_config_static_selectorELNS0_4arch9wavefront6targetE1EEEvSM_.num_vgpr, 0
	.set _ZN7rocprim17ROCPRIM_400000_NS6detail17trampoline_kernelINS0_14default_configENS1_22reduce_config_selectorIlEEZNS1_11reduce_implILb1ES3_PlS7_lN6hipcub16HIPCUB_304000_NS6detail34convert_binary_result_type_wrapperINS9_3SumENS9_22TransformInputIteratorIb7NonZeroIdEPdlEElEEEE10hipError_tPvRmT1_T2_T3_mT4_P12ihipStream_tbEUlT_E1_NS1_11comp_targetILNS1_3genE8ELNS1_11target_archE1030ELNS1_3gpuE2ELNS1_3repE0EEENS1_30default_config_static_selectorELNS0_4arch9wavefront6targetE1EEEvSM_.num_agpr, 0
	.set _ZN7rocprim17ROCPRIM_400000_NS6detail17trampoline_kernelINS0_14default_configENS1_22reduce_config_selectorIlEEZNS1_11reduce_implILb1ES3_PlS7_lN6hipcub16HIPCUB_304000_NS6detail34convert_binary_result_type_wrapperINS9_3SumENS9_22TransformInputIteratorIb7NonZeroIdEPdlEElEEEE10hipError_tPvRmT1_T2_T3_mT4_P12ihipStream_tbEUlT_E1_NS1_11comp_targetILNS1_3genE8ELNS1_11target_archE1030ELNS1_3gpuE2ELNS1_3repE0EEENS1_30default_config_static_selectorELNS0_4arch9wavefront6targetE1EEEvSM_.numbered_sgpr, 0
	.set _ZN7rocprim17ROCPRIM_400000_NS6detail17trampoline_kernelINS0_14default_configENS1_22reduce_config_selectorIlEEZNS1_11reduce_implILb1ES3_PlS7_lN6hipcub16HIPCUB_304000_NS6detail34convert_binary_result_type_wrapperINS9_3SumENS9_22TransformInputIteratorIb7NonZeroIdEPdlEElEEEE10hipError_tPvRmT1_T2_T3_mT4_P12ihipStream_tbEUlT_E1_NS1_11comp_targetILNS1_3genE8ELNS1_11target_archE1030ELNS1_3gpuE2ELNS1_3repE0EEENS1_30default_config_static_selectorELNS0_4arch9wavefront6targetE1EEEvSM_.num_named_barrier, 0
	.set _ZN7rocprim17ROCPRIM_400000_NS6detail17trampoline_kernelINS0_14default_configENS1_22reduce_config_selectorIlEEZNS1_11reduce_implILb1ES3_PlS7_lN6hipcub16HIPCUB_304000_NS6detail34convert_binary_result_type_wrapperINS9_3SumENS9_22TransformInputIteratorIb7NonZeroIdEPdlEElEEEE10hipError_tPvRmT1_T2_T3_mT4_P12ihipStream_tbEUlT_E1_NS1_11comp_targetILNS1_3genE8ELNS1_11target_archE1030ELNS1_3gpuE2ELNS1_3repE0EEENS1_30default_config_static_selectorELNS0_4arch9wavefront6targetE1EEEvSM_.private_seg_size, 0
	.set _ZN7rocprim17ROCPRIM_400000_NS6detail17trampoline_kernelINS0_14default_configENS1_22reduce_config_selectorIlEEZNS1_11reduce_implILb1ES3_PlS7_lN6hipcub16HIPCUB_304000_NS6detail34convert_binary_result_type_wrapperINS9_3SumENS9_22TransformInputIteratorIb7NonZeroIdEPdlEElEEEE10hipError_tPvRmT1_T2_T3_mT4_P12ihipStream_tbEUlT_E1_NS1_11comp_targetILNS1_3genE8ELNS1_11target_archE1030ELNS1_3gpuE2ELNS1_3repE0EEENS1_30default_config_static_selectorELNS0_4arch9wavefront6targetE1EEEvSM_.uses_vcc, 0
	.set _ZN7rocprim17ROCPRIM_400000_NS6detail17trampoline_kernelINS0_14default_configENS1_22reduce_config_selectorIlEEZNS1_11reduce_implILb1ES3_PlS7_lN6hipcub16HIPCUB_304000_NS6detail34convert_binary_result_type_wrapperINS9_3SumENS9_22TransformInputIteratorIb7NonZeroIdEPdlEElEEEE10hipError_tPvRmT1_T2_T3_mT4_P12ihipStream_tbEUlT_E1_NS1_11comp_targetILNS1_3genE8ELNS1_11target_archE1030ELNS1_3gpuE2ELNS1_3repE0EEENS1_30default_config_static_selectorELNS0_4arch9wavefront6targetE1EEEvSM_.uses_flat_scratch, 0
	.set _ZN7rocprim17ROCPRIM_400000_NS6detail17trampoline_kernelINS0_14default_configENS1_22reduce_config_selectorIlEEZNS1_11reduce_implILb1ES3_PlS7_lN6hipcub16HIPCUB_304000_NS6detail34convert_binary_result_type_wrapperINS9_3SumENS9_22TransformInputIteratorIb7NonZeroIdEPdlEElEEEE10hipError_tPvRmT1_T2_T3_mT4_P12ihipStream_tbEUlT_E1_NS1_11comp_targetILNS1_3genE8ELNS1_11target_archE1030ELNS1_3gpuE2ELNS1_3repE0EEENS1_30default_config_static_selectorELNS0_4arch9wavefront6targetE1EEEvSM_.has_dyn_sized_stack, 0
	.set _ZN7rocprim17ROCPRIM_400000_NS6detail17trampoline_kernelINS0_14default_configENS1_22reduce_config_selectorIlEEZNS1_11reduce_implILb1ES3_PlS7_lN6hipcub16HIPCUB_304000_NS6detail34convert_binary_result_type_wrapperINS9_3SumENS9_22TransformInputIteratorIb7NonZeroIdEPdlEElEEEE10hipError_tPvRmT1_T2_T3_mT4_P12ihipStream_tbEUlT_E1_NS1_11comp_targetILNS1_3genE8ELNS1_11target_archE1030ELNS1_3gpuE2ELNS1_3repE0EEENS1_30default_config_static_selectorELNS0_4arch9wavefront6targetE1EEEvSM_.has_recursion, 0
	.set _ZN7rocprim17ROCPRIM_400000_NS6detail17trampoline_kernelINS0_14default_configENS1_22reduce_config_selectorIlEEZNS1_11reduce_implILb1ES3_PlS7_lN6hipcub16HIPCUB_304000_NS6detail34convert_binary_result_type_wrapperINS9_3SumENS9_22TransformInputIteratorIb7NonZeroIdEPdlEElEEEE10hipError_tPvRmT1_T2_T3_mT4_P12ihipStream_tbEUlT_E1_NS1_11comp_targetILNS1_3genE8ELNS1_11target_archE1030ELNS1_3gpuE2ELNS1_3repE0EEENS1_30default_config_static_selectorELNS0_4arch9wavefront6targetE1EEEvSM_.has_indirect_call, 0
	.section	.AMDGPU.csdata,"",@progbits
; Kernel info:
; codeLenInByte = 0
; TotalNumSgprs: 6
; NumVgprs: 0
; NumAgprs: 0
; TotalNumVgprs: 0
; ScratchSize: 0
; MemoryBound: 0
; FloatMode: 240
; IeeeMode: 1
; LDSByteSize: 0 bytes/workgroup (compile time only)
; SGPRBlocks: 0
; VGPRBlocks: 0
; NumSGPRsForWavesPerEU: 6
; NumVGPRsForWavesPerEU: 1
; AccumOffset: 4
; Occupancy: 8
; WaveLimiterHint : 0
; COMPUTE_PGM_RSRC2:SCRATCH_EN: 0
; COMPUTE_PGM_RSRC2:USER_SGPR: 2
; COMPUTE_PGM_RSRC2:TRAP_HANDLER: 0
; COMPUTE_PGM_RSRC2:TGID_X_EN: 1
; COMPUTE_PGM_RSRC2:TGID_Y_EN: 0
; COMPUTE_PGM_RSRC2:TGID_Z_EN: 0
; COMPUTE_PGM_RSRC2:TIDIG_COMP_CNT: 0
; COMPUTE_PGM_RSRC3_GFX90A:ACCUM_OFFSET: 0
; COMPUTE_PGM_RSRC3_GFX90A:TG_SPLIT: 0
	.section	.text._ZN7rocprim17ROCPRIM_400000_NS6detail17trampoline_kernelINS0_14default_configENS1_22reduce_config_selectorIbEEZNS1_11reduce_implILb1ES3_N6hipcub16HIPCUB_304000_NS22TransformInputIteratorIb7NonZeroIdEPdlEEPllNS8_6detail34convert_binary_result_type_wrapperINS8_3SumESD_lEEEE10hipError_tPvRmT1_T2_T3_mT4_P12ihipStream_tbEUlT_E0_NS1_11comp_targetILNS1_3genE0ELNS1_11target_archE4294967295ELNS1_3gpuE0ELNS1_3repE0EEENS1_30default_config_static_selectorELNS0_4arch9wavefront6targetE1EEEvSM_,"axG",@progbits,_ZN7rocprim17ROCPRIM_400000_NS6detail17trampoline_kernelINS0_14default_configENS1_22reduce_config_selectorIbEEZNS1_11reduce_implILb1ES3_N6hipcub16HIPCUB_304000_NS22TransformInputIteratorIb7NonZeroIdEPdlEEPllNS8_6detail34convert_binary_result_type_wrapperINS8_3SumESD_lEEEE10hipError_tPvRmT1_T2_T3_mT4_P12ihipStream_tbEUlT_E0_NS1_11comp_targetILNS1_3genE0ELNS1_11target_archE4294967295ELNS1_3gpuE0ELNS1_3repE0EEENS1_30default_config_static_selectorELNS0_4arch9wavefront6targetE1EEEvSM_,comdat
	.protected	_ZN7rocprim17ROCPRIM_400000_NS6detail17trampoline_kernelINS0_14default_configENS1_22reduce_config_selectorIbEEZNS1_11reduce_implILb1ES3_N6hipcub16HIPCUB_304000_NS22TransformInputIteratorIb7NonZeroIdEPdlEEPllNS8_6detail34convert_binary_result_type_wrapperINS8_3SumESD_lEEEE10hipError_tPvRmT1_T2_T3_mT4_P12ihipStream_tbEUlT_E0_NS1_11comp_targetILNS1_3genE0ELNS1_11target_archE4294967295ELNS1_3gpuE0ELNS1_3repE0EEENS1_30default_config_static_selectorELNS0_4arch9wavefront6targetE1EEEvSM_ ; -- Begin function _ZN7rocprim17ROCPRIM_400000_NS6detail17trampoline_kernelINS0_14default_configENS1_22reduce_config_selectorIbEEZNS1_11reduce_implILb1ES3_N6hipcub16HIPCUB_304000_NS22TransformInputIteratorIb7NonZeroIdEPdlEEPllNS8_6detail34convert_binary_result_type_wrapperINS8_3SumESD_lEEEE10hipError_tPvRmT1_T2_T3_mT4_P12ihipStream_tbEUlT_E0_NS1_11comp_targetILNS1_3genE0ELNS1_11target_archE4294967295ELNS1_3gpuE0ELNS1_3repE0EEENS1_30default_config_static_selectorELNS0_4arch9wavefront6targetE1EEEvSM_
	.globl	_ZN7rocprim17ROCPRIM_400000_NS6detail17trampoline_kernelINS0_14default_configENS1_22reduce_config_selectorIbEEZNS1_11reduce_implILb1ES3_N6hipcub16HIPCUB_304000_NS22TransformInputIteratorIb7NonZeroIdEPdlEEPllNS8_6detail34convert_binary_result_type_wrapperINS8_3SumESD_lEEEE10hipError_tPvRmT1_T2_T3_mT4_P12ihipStream_tbEUlT_E0_NS1_11comp_targetILNS1_3genE0ELNS1_11target_archE4294967295ELNS1_3gpuE0ELNS1_3repE0EEENS1_30default_config_static_selectorELNS0_4arch9wavefront6targetE1EEEvSM_
	.p2align	8
	.type	_ZN7rocprim17ROCPRIM_400000_NS6detail17trampoline_kernelINS0_14default_configENS1_22reduce_config_selectorIbEEZNS1_11reduce_implILb1ES3_N6hipcub16HIPCUB_304000_NS22TransformInputIteratorIb7NonZeroIdEPdlEEPllNS8_6detail34convert_binary_result_type_wrapperINS8_3SumESD_lEEEE10hipError_tPvRmT1_T2_T3_mT4_P12ihipStream_tbEUlT_E0_NS1_11comp_targetILNS1_3genE0ELNS1_11target_archE4294967295ELNS1_3gpuE0ELNS1_3repE0EEENS1_30default_config_static_selectorELNS0_4arch9wavefront6targetE1EEEvSM_,@function
_ZN7rocprim17ROCPRIM_400000_NS6detail17trampoline_kernelINS0_14default_configENS1_22reduce_config_selectorIbEEZNS1_11reduce_implILb1ES3_N6hipcub16HIPCUB_304000_NS22TransformInputIteratorIb7NonZeroIdEPdlEEPllNS8_6detail34convert_binary_result_type_wrapperINS8_3SumESD_lEEEE10hipError_tPvRmT1_T2_T3_mT4_P12ihipStream_tbEUlT_E0_NS1_11comp_targetILNS1_3genE0ELNS1_11target_archE4294967295ELNS1_3gpuE0ELNS1_3repE0EEENS1_30default_config_static_selectorELNS0_4arch9wavefront6targetE1EEEvSM_: ; @_ZN7rocprim17ROCPRIM_400000_NS6detail17trampoline_kernelINS0_14default_configENS1_22reduce_config_selectorIbEEZNS1_11reduce_implILb1ES3_N6hipcub16HIPCUB_304000_NS22TransformInputIteratorIb7NonZeroIdEPdlEEPllNS8_6detail34convert_binary_result_type_wrapperINS8_3SumESD_lEEEE10hipError_tPvRmT1_T2_T3_mT4_P12ihipStream_tbEUlT_E0_NS1_11comp_targetILNS1_3genE0ELNS1_11target_archE4294967295ELNS1_3gpuE0ELNS1_3repE0EEENS1_30default_config_static_selectorELNS0_4arch9wavefront6targetE1EEEvSM_
; %bb.0:
	s_load_dwordx8 s[36:43], s[0:1], 0x10
	s_load_dwordx2 s[4:5], s[0:1], 0x0
	s_load_dwordx4 s[44:47], s[0:1], 0x30
	s_mov_b32 s3, 0
	v_lshlrev_b32_e32 v34, 3, v0
	s_waitcnt lgkmcnt(0)
	s_lshl_b64 s[0:1], s[36:37], 3
	s_add_u32 s8, s4, s0
	s_addc_u32 s9, s5, s1
	s_lshl_b32 s0, s2, 12
	s_mov_b32 s1, s3
	s_lshr_b64 s[4:5], s[38:39], 12
	s_lshl_b64 s[6:7], s[0:1], 3
	s_add_u32 s30, s8, s6
	s_addc_u32 s31, s9, s7
	s_cmp_lg_u64 s[4:5], s[2:3]
	v_mbcnt_lo_u32_b32 v1, -1, 0
	s_cbranch_scc0 .LBB303_6
; %bb.1:
	v_mov_b32_e32 v35, 0
	v_lshl_add_u64 v[2:3], s[30:31], 0, v[34:35]
	v_add_co_u32_e32 v4, vcc, 0x1000, v2
	v_mov_b32_e32 v41, s3
	s_nop 0
	v_addc_co_u32_e32 v5, vcc, 0, v3, vcc
	v_add_co_u32_e32 v6, vcc, 0x2000, v2
	v_mov_b32_e32 v43, s3
	s_nop 0
	v_addc_co_u32_e32 v7, vcc, 0, v3, vcc
	global_load_dwordx2 v[8:9], v[4:5], off offset:2048
	global_load_dwordx2 v[10:11], v[6:7], off
	global_load_dwordx2 v[12:13], v[6:7], off offset:2048
	v_add_co_u32_e32 v6, vcc, 0x3000, v2
	v_mov_b32_e32 v45, s3
	s_nop 0
	v_addc_co_u32_e32 v7, vcc, 0, v3, vcc
	v_add_co_u32_e32 v14, vcc, 0x4000, v2
	v_mov_b32_e32 v47, s3
	s_nop 0
	v_addc_co_u32_e32 v15, vcc, 0, v3, vcc
	global_load_dwordx2 v[16:17], v[6:7], off
	global_load_dwordx2 v[18:19], v[6:7], off offset:2048
	global_load_dwordx2 v[20:21], v[14:15], off
	global_load_dwordx2 v[22:23], v[14:15], off offset:2048
	v_add_co_u32_e32 v6, vcc, 0x5000, v2
	v_mov_b32_e32 v49, s3
	s_nop 0
	v_addc_co_u32_e32 v7, vcc, 0, v3, vcc
	v_add_co_u32_e32 v14, vcc, 0x6000, v2
	v_mov_b32_e32 v51, s3
	s_nop 0
	v_addc_co_u32_e32 v15, vcc, 0, v3, vcc
	global_load_dwordx2 v[24:25], v[6:7], off
	global_load_dwordx2 v[26:27], v[6:7], off offset:2048
	global_load_dwordx2 v[28:29], v[14:15], off
	global_load_dwordx2 v[30:31], v[14:15], off offset:2048
	v_add_co_u32_e32 v2, vcc, 0x7000, v2
	v_mov_b32_e32 v53, s3
	s_nop 0
	v_addc_co_u32_e32 v3, vcc, 0, v3, vcc
	global_load_dwordx2 v[6:7], v[2:3], off
	global_load_dwordx2 v[14:15], v34, s[30:31] offset:2048
	global_load_dwordx2 v[32:33], v[2:3], off offset:2048
	global_load_dwordx2 v[36:37], v34, s[30:31]
	global_load_dwordx2 v[38:39], v[4:5], off
	v_mov_b32_e32 v3, s3
	v_mov_b32_e32 v5, s3
	;; [unrolled: 1-line block ×5, first 2 shown]
	s_waitcnt vmcnt(15)
	v_cmp_neq_f64_e32 vcc, 0, v[8:9]
	s_nop 1
	v_cndmask_b32_e64 v2, 0, 1, vcc
	s_waitcnt vmcnt(14)
	v_cmp_neq_f64_e32 vcc, 0, v[10:11]
	s_nop 1
	v_cndmask_b32_e64 v4, 0, 1, vcc
	;; [unrolled: 4-line block ×11, first 2 shown]
	s_waitcnt vmcnt(4)
	v_cmp_neq_f64_e32 vcc, 0, v[6:7]
	v_mov_b32_e32 v7, s3
	s_nop 0
	v_cndmask_b32_e64 v58, 0, 1, vcc
	s_waitcnt vmcnt(2)
	v_cmp_neq_f64_e32 vcc, 0, v[32:33]
	s_nop 1
	v_cndmask_b32_e64 v6, 0, 1, vcc
	v_cmp_neq_f64_e32 vcc, 0, v[14:15]
	s_nop 1
	v_cndmask_b32_e64 v8, 0, 1, vcc
	s_waitcnt vmcnt(1)
	v_cmp_neq_f64_e32 vcc, 0, v[36:37]
	s_nop 1
	v_cndmask_b32_e64 v9, 0, 1, vcc
	s_waitcnt vmcnt(0)
	v_cmp_neq_f64_e32 vcc, 0, v[38:39]
	s_nop 1
	v_addc_co_u32_e32 v8, vcc, v8, v9, vcc
	v_mov_b32_e32 v9, v35
	v_lshl_add_u64 v[2:3], v[8:9], 0, v[2:3]
	v_lshl_add_u64 v[2:3], v[2:3], 0, v[4:5]
	;; [unrolled: 1-line block ×13, first 2 shown]
	v_mov_b32_e32 v7, v35
	v_mov_b32_dpp v9, v35 quad_perm:[1,0,3,2] row_mask:0xf bank_mask:0xf bound_ctrl:1
	v_mov_b32_dpp v6, v2 quad_perm:[1,0,3,2] row_mask:0xf bank_mask:0xf bound_ctrl:1
	v_mov_b32_e32 v8, v35
	v_lshl_add_u64 v[2:3], v[2:3], 0, v[6:7]
	v_lshl_add_u64 v[6:7], v[8:9], 0, v[2:3]
	v_mov_b32_e32 v3, v35
	v_mov_b32_dpp v2, v2 quad_perm:[2,3,0,1] row_mask:0xf bank_mask:0xf bound_ctrl:1
	v_mov_b32_dpp v9, v7 quad_perm:[2,3,0,1] row_mask:0xf bank_mask:0xf bound_ctrl:1
	v_lshl_add_u64 v[2:3], v[6:7], 0, v[2:3]
	v_lshl_add_u64 v[6:7], v[2:3], 0, v[8:9]
	v_mov_b32_e32 v3, v35
	v_mov_b32_dpp v2, v2 row_ror:4 row_mask:0xf bank_mask:0xf bound_ctrl:1
	v_mov_b32_dpp v9, v7 row_ror:4 row_mask:0xf bank_mask:0xf bound_ctrl:1
	v_lshl_add_u64 v[2:3], v[6:7], 0, v[2:3]
	v_lshl_add_u64 v[6:7], v[2:3], 0, v[8:9]
	v_mov_b32_e32 v3, v35
	v_mov_b32_dpp v2, v2 row_ror:8 row_mask:0xf bank_mask:0xf bound_ctrl:1
	v_mov_b32_dpp v9, v7 row_ror:8 row_mask:0xf bank_mask:0xf bound_ctrl:1
	v_lshl_add_u64 v[2:3], v[6:7], 0, v[2:3]
	v_lshl_add_u64 v[6:7], v[2:3], 0, v[8:9]
	v_mov_b32_e32 v3, v35
	v_mov_b32_dpp v2, v2 row_bcast:15 row_mask:0xf bank_mask:0xf bound_ctrl:1
	v_mov_b32_dpp v9, v7 row_bcast:15 row_mask:0xf bank_mask:0xf bound_ctrl:1
	v_lshl_add_u64 v[2:3], v[6:7], 0, v[2:3]
	v_mbcnt_hi_u32_b32 v4, -1, v1
	v_lshl_add_u64 v[6:7], v[2:3], 0, v[8:9]
	v_mov_b32_dpp v2, v2 row_bcast:31 row_mask:0xf bank_mask:0xf bound_ctrl:1
	v_mov_b32_e32 v3, v35
	v_lshl_add_u64 v[2:3], v[6:7], 0, v[2:3]
	v_lshlrev_b32_e32 v5, 2, v4
	v_or_b32_e32 v6, 0xfc, v5
	v_add_u32_dpp v3, v7, v3 row_bcast:31 row_mask:0xf bank_mask:0xf bound_ctrl:1
	ds_bpermute_b32 v2, v6, v2
	ds_bpermute_b32 v3, v6, v3
	v_cmp_eq_u32_e32 vcc, 0, v4
	s_and_saveexec_b64 s[4:5], vcc
	s_cbranch_execz .LBB303_3
; %bb.2:
	v_lshrrev_b32_e32 v6, 3, v0
	v_and_b32_e32 v6, 24, v6
	s_waitcnt lgkmcnt(0)
	ds_write_b64 v6, v[2:3]
.LBB303_3:
	s_or_b64 exec, exec, s[4:5]
	v_cmp_gt_u32_e32 vcc, 64, v0
	s_waitcnt lgkmcnt(0)
	s_barrier
	s_and_saveexec_b64 s[4:5], vcc
	s_cbranch_execz .LBB303_5
; %bb.4:
	v_and_b32_e32 v6, 3, v4
	v_lshlrev_b32_e32 v2, 3, v6
	ds_read_b64 v[2:3], v2
	v_cmp_ne_u32_e32 vcc, 3, v6
	v_or_b32_e32 v8, 8, v5
	s_nop 0
	v_addc_co_u32_e32 v4, vcc, 0, v4, vcc
	v_lshlrev_b32_e32 v6, 2, v4
	s_waitcnt lgkmcnt(0)
	ds_bpermute_b32 v4, v6, v2
	ds_bpermute_b32 v7, v6, v3
	v_mov_b32_e32 v6, 0
	v_mov_b32_e32 v5, v6
	s_waitcnt lgkmcnt(1)
	v_lshl_add_u64 v[2:3], v[2:3], 0, v[4:5]
	s_waitcnt lgkmcnt(0)
	v_lshl_add_u64 v[4:5], v[6:7], 0, v[2:3]
	ds_bpermute_b32 v2, v8, v2
	ds_bpermute_b32 v7, v8, v5
	v_mov_b32_e32 v3, v6
	s_waitcnt lgkmcnt(1)
	v_lshl_add_u64 v[2:3], v[4:5], 0, v[2:3]
	s_waitcnt lgkmcnt(0)
	v_lshl_add_u64 v[2:3], v[2:3], 0, v[6:7]
.LBB303_5:
	s_or_b64 exec, exec, s[4:5]
	s_branch .LBB303_48
.LBB303_6:
                                        ; implicit-def: $vgpr2_vgpr3
	s_cbranch_execz .LBB303_48
; %bb.7:
	s_sub_i32 s33, s38, s0
	v_mov_b32_e32 v2, 0
	v_cmp_gt_u32_e32 vcc, s33, v0
	v_mov_b32_e32 v3, v2
	v_mov_b32_e32 v4, v2
	;; [unrolled: 1-line block ×31, first 2 shown]
	s_and_saveexec_b64 s[0:1], vcc
	s_cbranch_execz .LBB303_9
; %bb.8:
	global_load_dwordx2 v[36:37], v34, s[30:31]
	v_mov_b32_e32 v3, v2
	v_mov_b32_e32 v4, v2
	;; [unrolled: 1-line block ×31, first 2 shown]
	s_waitcnt vmcnt(0)
	v_cmp_neq_f64_e32 vcc, 0, v[36:37]
	s_nop 1
	v_cndmask_b32_e64 v2, 0, 1, vcc
.LBB303_9:
	s_or_b64 exec, exec, s[0:1]
	v_or_b32_e32 v35, 0x100, v0
	v_cmp_gt_u32_e32 vcc, s33, v35
	s_and_saveexec_b64 s[4:5], vcc
	s_cbranch_execz .LBB303_11
; %bb.10:
	global_load_dwordx2 v[4:5], v34, s[30:31] offset:2048
	s_mov_b32 s6, 0
	s_waitcnt vmcnt(0)
	v_cmp_neq_f64_e64 s[0:1], 0, v[4:5]
	s_nop 1
	v_cndmask_b32_e64 v4, 0, 1, s[0:1]
	v_mov_b32_e32 v5, s6
.LBB303_11:
	s_or_b64 exec, exec, s[4:5]
	v_or_b32_e32 v34, 0x200, v0
	v_cmp_gt_u32_e64 s[0:1], s33, v34
	s_and_saveexec_b64 s[6:7], s[0:1]
	s_cbranch_execz .LBB303_13
; %bb.12:
	v_lshlrev_b32_e32 v6, 3, v34
	global_load_dwordx2 v[6:7], v6, s[30:31]
	s_mov_b32 s8, 0
	s_waitcnt vmcnt(0)
	v_cmp_neq_f64_e64 s[4:5], 0, v[6:7]
	s_nop 1
	v_cndmask_b32_e64 v6, 0, 1, s[4:5]
	v_mov_b32_e32 v7, s8
.LBB303_13:
	s_or_b64 exec, exec, s[6:7]
	v_or_b32_e32 v34, 0x300, v0
	v_cmp_gt_u32_e64 s[4:5], s33, v34
	s_and_saveexec_b64 s[8:9], s[4:5]
	s_cbranch_execz .LBB303_15
; %bb.14:
	v_lshlrev_b32_e32 v8, 3, v34
	global_load_dwordx2 v[8:9], v8, s[30:31]
	s_mov_b32 s10, 0
	s_waitcnt vmcnt(0)
	v_cmp_neq_f64_e64 s[6:7], 0, v[8:9]
	s_nop 1
	v_cndmask_b32_e64 v8, 0, 1, s[6:7]
	v_mov_b32_e32 v9, s10
.LBB303_15:
	;; [unrolled: 15-line block ×14, first 2 shown]
	s_or_b64 exec, exec, s[34:35]
	v_cndmask_b32_e32 v5, 0, v5, vcc
	v_cndmask_b32_e32 v4, 0, v4, vcc
	v_lshl_add_u64 v[2:3], v[4:5], 0, v[2:3]
	v_cndmask_b32_e64 v5, 0, v7, s[0:1]
	v_cndmask_b32_e64 v4, 0, v6, s[0:1]
	v_lshl_add_u64 v[2:3], v[2:3], 0, v[4:5]
	v_cndmask_b32_e64 v5, 0, v9, s[4:5]
	v_cndmask_b32_e64 v4, 0, v8, s[4:5]
	;; [unrolled: 3-line block ×13, first 2 shown]
	v_mbcnt_hi_u32_b32 v1, -1, v1
	v_lshl_add_u64 v[2:3], v[2:3], 0, v[4:5]
	v_cndmask_b32_e64 v5, 0, v33, s[28:29]
	v_cndmask_b32_e64 v4, 0, v32, s[28:29]
	v_and_b32_e32 v9, 63, v1
	v_lshl_add_u64 v[2:3], v[2:3], 0, v[4:5]
	s_min_u32 s6, s33, 0x100
	v_and_b32_e32 v4, 0xc0, v0
	v_cmp_ne_u32_e32 vcc, 63, v9
	v_sub_u32_e64 v8, s6, v4 clamp
	v_mov_b32_e32 v6, 0
	v_addc_co_u32_e32 v4, vcc, 0, v1, vcc
	v_lshlrev_b32_e32 v5, 2, v4
	ds_bpermute_b32 v4, v5, v2
	ds_bpermute_b32 v7, v5, v3
	v_add_u32_e32 v10, 1, v9
	v_mov_b32_e32 v5, v6
	v_cmp_lt_u32_e64 s[0:1], v10, v8
	s_waitcnt lgkmcnt(1)
	v_lshl_add_u64 v[4:5], v[2:3], 0, v[4:5]
	v_cmp_gt_u32_e32 vcc, 62, v9
	s_waitcnt lgkmcnt(0)
	v_lshl_add_u64 v[6:7], v[4:5], 0, v[6:7]
	v_cndmask_b32_e64 v12, v2, v4, s[0:1]
	v_cndmask_b32_e64 v4, 0, 2, vcc
	v_cndmask_b32_e64 v5, v3, v7, s[0:1]
	v_add_lshl_u32 v4, v4, v1, 2
	ds_bpermute_b32 v10, v4, v12
	ds_bpermute_b32 v11, v4, v5
	v_cndmask_b32_e64 v4, v2, v6, s[0:1]
	v_add_u32_e32 v13, 2, v9
	v_cmp_lt_u32_e32 vcc, v13, v8
	v_cmp_gt_u32_e64 s[4:5], 60, v9
	s_waitcnt lgkmcnt(0)
	v_lshl_add_u64 v[6:7], v[10:11], 0, v[4:5]
	v_cndmask_b32_e32 v5, v5, v7, vcc
	v_cndmask_b32_e64 v7, 0, 4, s[4:5]
	v_cndmask_b32_e32 v12, v12, v6, vcc
	v_add_lshl_u32 v7, v7, v1, 2
	ds_bpermute_b32 v10, v7, v12
	ds_bpermute_b32 v11, v7, v5
	v_cndmask_b32_e32 v4, v4, v6, vcc
	v_add_u32_e32 v13, 4, v9
	v_cmp_lt_u32_e32 vcc, v13, v8
	v_cmp_gt_u32_e64 s[4:5], 56, v9
	s_waitcnt lgkmcnt(0)
	v_lshl_add_u64 v[6:7], v[10:11], 0, v[4:5]
	v_cndmask_b32_e32 v5, v5, v7, vcc
	v_cndmask_b32_e64 v7, 0, 8, s[4:5]
	v_cndmask_b32_e32 v12, v12, v6, vcc
	v_add_lshl_u32 v7, v7, v1, 2
	ds_bpermute_b32 v10, v7, v12
	ds_bpermute_b32 v11, v7, v5
	v_cndmask_b32_e32 v4, v4, v6, vcc
	;; [unrolled: 12-line block ×3, first 2 shown]
	v_add_u32_e32 v13, 16, v9
	v_cmp_lt_u32_e32 vcc, v13, v8
	s_waitcnt lgkmcnt(0)
	v_lshl_add_u64 v[6:7], v[10:11], 0, v[4:5]
	v_lshlrev_b32_e32 v10, 2, v1
	v_cndmask_b32_e32 v13, v5, v7, vcc
	v_cndmask_b32_e32 v11, v12, v6, vcc
	v_or_b32_e32 v12, 0x80, v10
	ds_bpermute_b32 v11, v12, v11
	ds_bpermute_b32 v12, v12, v13
	s_and_saveexec_b64 s[4:5], s[0:1]
	s_cbranch_execz .LBB303_41
; %bb.40:
	v_add_u32_e32 v9, 32, v9
	v_cndmask_b32_e32 v3, v5, v7, vcc
	v_cndmask_b32_e32 v2, v4, v6, vcc
	v_cmp_lt_u32_e32 vcc, v9, v8
	s_waitcnt lgkmcnt(0)
	s_nop 0
	v_cndmask_b32_e32 v5, 0, v12, vcc
	v_cndmask_b32_e32 v4, 0, v11, vcc
	v_lshl_add_u64 v[2:3], v[2:3], 0, v[4:5]
.LBB303_41:
	s_or_b64 exec, exec, s[4:5]
	v_cmp_eq_u32_e32 vcc, 0, v1
	s_and_saveexec_b64 s[0:1], vcc
; %bb.42:
	v_lshrrev_b32_e32 v4, 3, v0
	v_and_b32_e32 v4, 24, v4
	ds_write_b64 v4, v[2:3] offset:32
; %bb.43:
	s_or_b64 exec, exec, s[0:1]
	v_cmp_gt_u32_e32 vcc, 4, v0
	s_waitcnt lgkmcnt(0)
	s_barrier
	s_and_saveexec_b64 s[0:1], vcc
	s_cbranch_execz .LBB303_47
; %bb.44:
	v_lshlrev_b32_e32 v2, 3, v1
	ds_read_b64 v[2:3], v2 offset:32
	v_and_b32_e32 v6, 3, v1
	v_cmp_ne_u32_e32 vcc, 3, v6
	v_mov_b32_e32 v8, 0
	s_add_i32 s6, s6, 63
	v_addc_co_u32_e32 v1, vcc, 0, v1, vcc
	v_lshlrev_b32_e32 v1, 2, v1
	s_waitcnt lgkmcnt(0)
	ds_bpermute_b32 v4, v1, v2
	ds_bpermute_b32 v9, v1, v3
	v_mov_b32_e32 v5, v8
	s_lshr_b32 s6, s6, 6
	v_add_u32_e32 v1, 1, v6
	s_waitcnt lgkmcnt(1)
	v_lshl_add_u64 v[12:13], v[2:3], 0, v[4:5]
	s_waitcnt lgkmcnt(0)
	v_lshl_add_u64 v[4:5], v[8:9], 0, v[12:13]
	v_cmp_gt_u32_e32 vcc, s6, v1
	v_or_b32_e32 v8, 8, v10
	s_nop 0
	v_cndmask_b32_e32 v7, v3, v5, vcc
	v_cndmask_b32_e32 v1, v2, v12, vcc
	ds_bpermute_b32 v1, v8, v1
	ds_bpermute_b32 v7, v8, v7
	s_and_saveexec_b64 s[4:5], vcc
	s_cbranch_execz .LBB303_46
; %bb.45:
	v_add_u32_e32 v2, 2, v6
	v_cmp_gt_u32_e32 vcc, s6, v2
	s_waitcnt lgkmcnt(0)
	s_nop 0
	v_cndmask_b32_e32 v3, 0, v7, vcc
	v_cndmask_b32_e32 v2, 0, v1, vcc
	v_lshl_add_u64 v[2:3], v[2:3], 0, v[4:5]
.LBB303_46:
	s_or_b64 exec, exec, s[4:5]
.LBB303_47:
	s_or_b64 exec, exec, s[0:1]
.LBB303_48:
	v_cmp_eq_u32_e32 vcc, 0, v0
	s_and_saveexec_b64 s[0:1], vcc
	s_cbranch_execnz .LBB303_50
; %bb.49:
	s_endpgm
.LBB303_50:
	s_mul_i32 s0, s44, s43
	s_mul_hi_u32 s1, s44, s42
	s_add_i32 s0, s1, s0
	s_mul_i32 s1, s45, s42
	s_add_i32 s1, s0, s1
	s_mul_i32 s0, s44, s42
	s_lshl_b64 s[0:1], s[0:1], 3
	s_add_u32 s4, s40, s0
	s_addc_u32 s5, s41, s1
	s_cmp_eq_u64 s[38:39], 0
	v_mov_b32_e32 v0, s47
	s_cselect_b64 vcc, -1, 0
	s_lshl_b64 s[0:1], s[2:3], 3
	s_waitcnt lgkmcnt(1)
	v_cndmask_b32_e32 v1, v3, v0, vcc
	v_mov_b32_e32 v0, s46
	s_add_u32 s0, s4, s0
	v_cndmask_b32_e32 v0, v2, v0, vcc
	s_addc_u32 s1, s5, s1
	v_mov_b32_e32 v2, 0
	global_store_dwordx2 v2, v[0:1], s[0:1]
	s_endpgm
	.section	.rodata,"a",@progbits
	.p2align	6, 0x0
	.amdhsa_kernel _ZN7rocprim17ROCPRIM_400000_NS6detail17trampoline_kernelINS0_14default_configENS1_22reduce_config_selectorIbEEZNS1_11reduce_implILb1ES3_N6hipcub16HIPCUB_304000_NS22TransformInputIteratorIb7NonZeroIdEPdlEEPllNS8_6detail34convert_binary_result_type_wrapperINS8_3SumESD_lEEEE10hipError_tPvRmT1_T2_T3_mT4_P12ihipStream_tbEUlT_E0_NS1_11comp_targetILNS1_3genE0ELNS1_11target_archE4294967295ELNS1_3gpuE0ELNS1_3repE0EEENS1_30default_config_static_selectorELNS0_4arch9wavefront6targetE1EEEvSM_
		.amdhsa_group_segment_fixed_size 64
		.amdhsa_private_segment_fixed_size 0
		.amdhsa_kernarg_size 72
		.amdhsa_user_sgpr_count 2
		.amdhsa_user_sgpr_dispatch_ptr 0
		.amdhsa_user_sgpr_queue_ptr 0
		.amdhsa_user_sgpr_kernarg_segment_ptr 1
		.amdhsa_user_sgpr_dispatch_id 0
		.amdhsa_user_sgpr_kernarg_preload_length 0
		.amdhsa_user_sgpr_kernarg_preload_offset 0
		.amdhsa_user_sgpr_private_segment_size 0
		.amdhsa_uses_dynamic_stack 0
		.amdhsa_enable_private_segment 0
		.amdhsa_system_sgpr_workgroup_id_x 1
		.amdhsa_system_sgpr_workgroup_id_y 0
		.amdhsa_system_sgpr_workgroup_id_z 0
		.amdhsa_system_sgpr_workgroup_info 0
		.amdhsa_system_vgpr_workitem_id 0
		.amdhsa_next_free_vgpr 60
		.amdhsa_next_free_sgpr 48
		.amdhsa_accum_offset 60
		.amdhsa_reserve_vcc 1
		.amdhsa_float_round_mode_32 0
		.amdhsa_float_round_mode_16_64 0
		.amdhsa_float_denorm_mode_32 3
		.amdhsa_float_denorm_mode_16_64 3
		.amdhsa_dx10_clamp 1
		.amdhsa_ieee_mode 1
		.amdhsa_fp16_overflow 0
		.amdhsa_tg_split 0
		.amdhsa_exception_fp_ieee_invalid_op 0
		.amdhsa_exception_fp_denorm_src 0
		.amdhsa_exception_fp_ieee_div_zero 0
		.amdhsa_exception_fp_ieee_overflow 0
		.amdhsa_exception_fp_ieee_underflow 0
		.amdhsa_exception_fp_ieee_inexact 0
		.amdhsa_exception_int_div_zero 0
	.end_amdhsa_kernel
	.section	.text._ZN7rocprim17ROCPRIM_400000_NS6detail17trampoline_kernelINS0_14default_configENS1_22reduce_config_selectorIbEEZNS1_11reduce_implILb1ES3_N6hipcub16HIPCUB_304000_NS22TransformInputIteratorIb7NonZeroIdEPdlEEPllNS8_6detail34convert_binary_result_type_wrapperINS8_3SumESD_lEEEE10hipError_tPvRmT1_T2_T3_mT4_P12ihipStream_tbEUlT_E0_NS1_11comp_targetILNS1_3genE0ELNS1_11target_archE4294967295ELNS1_3gpuE0ELNS1_3repE0EEENS1_30default_config_static_selectorELNS0_4arch9wavefront6targetE1EEEvSM_,"axG",@progbits,_ZN7rocprim17ROCPRIM_400000_NS6detail17trampoline_kernelINS0_14default_configENS1_22reduce_config_selectorIbEEZNS1_11reduce_implILb1ES3_N6hipcub16HIPCUB_304000_NS22TransformInputIteratorIb7NonZeroIdEPdlEEPllNS8_6detail34convert_binary_result_type_wrapperINS8_3SumESD_lEEEE10hipError_tPvRmT1_T2_T3_mT4_P12ihipStream_tbEUlT_E0_NS1_11comp_targetILNS1_3genE0ELNS1_11target_archE4294967295ELNS1_3gpuE0ELNS1_3repE0EEENS1_30default_config_static_selectorELNS0_4arch9wavefront6targetE1EEEvSM_,comdat
.Lfunc_end303:
	.size	_ZN7rocprim17ROCPRIM_400000_NS6detail17trampoline_kernelINS0_14default_configENS1_22reduce_config_selectorIbEEZNS1_11reduce_implILb1ES3_N6hipcub16HIPCUB_304000_NS22TransformInputIteratorIb7NonZeroIdEPdlEEPllNS8_6detail34convert_binary_result_type_wrapperINS8_3SumESD_lEEEE10hipError_tPvRmT1_T2_T3_mT4_P12ihipStream_tbEUlT_E0_NS1_11comp_targetILNS1_3genE0ELNS1_11target_archE4294967295ELNS1_3gpuE0ELNS1_3repE0EEENS1_30default_config_static_selectorELNS0_4arch9wavefront6targetE1EEEvSM_, .Lfunc_end303-_ZN7rocprim17ROCPRIM_400000_NS6detail17trampoline_kernelINS0_14default_configENS1_22reduce_config_selectorIbEEZNS1_11reduce_implILb1ES3_N6hipcub16HIPCUB_304000_NS22TransformInputIteratorIb7NonZeroIdEPdlEEPllNS8_6detail34convert_binary_result_type_wrapperINS8_3SumESD_lEEEE10hipError_tPvRmT1_T2_T3_mT4_P12ihipStream_tbEUlT_E0_NS1_11comp_targetILNS1_3genE0ELNS1_11target_archE4294967295ELNS1_3gpuE0ELNS1_3repE0EEENS1_30default_config_static_selectorELNS0_4arch9wavefront6targetE1EEEvSM_
                                        ; -- End function
	.set _ZN7rocprim17ROCPRIM_400000_NS6detail17trampoline_kernelINS0_14default_configENS1_22reduce_config_selectorIbEEZNS1_11reduce_implILb1ES3_N6hipcub16HIPCUB_304000_NS22TransformInputIteratorIb7NonZeroIdEPdlEEPllNS8_6detail34convert_binary_result_type_wrapperINS8_3SumESD_lEEEE10hipError_tPvRmT1_T2_T3_mT4_P12ihipStream_tbEUlT_E0_NS1_11comp_targetILNS1_3genE0ELNS1_11target_archE4294967295ELNS1_3gpuE0ELNS1_3repE0EEENS1_30default_config_static_selectorELNS0_4arch9wavefront6targetE1EEEvSM_.num_vgpr, 60
	.set _ZN7rocprim17ROCPRIM_400000_NS6detail17trampoline_kernelINS0_14default_configENS1_22reduce_config_selectorIbEEZNS1_11reduce_implILb1ES3_N6hipcub16HIPCUB_304000_NS22TransformInputIteratorIb7NonZeroIdEPdlEEPllNS8_6detail34convert_binary_result_type_wrapperINS8_3SumESD_lEEEE10hipError_tPvRmT1_T2_T3_mT4_P12ihipStream_tbEUlT_E0_NS1_11comp_targetILNS1_3genE0ELNS1_11target_archE4294967295ELNS1_3gpuE0ELNS1_3repE0EEENS1_30default_config_static_selectorELNS0_4arch9wavefront6targetE1EEEvSM_.num_agpr, 0
	.set _ZN7rocprim17ROCPRIM_400000_NS6detail17trampoline_kernelINS0_14default_configENS1_22reduce_config_selectorIbEEZNS1_11reduce_implILb1ES3_N6hipcub16HIPCUB_304000_NS22TransformInputIteratorIb7NonZeroIdEPdlEEPllNS8_6detail34convert_binary_result_type_wrapperINS8_3SumESD_lEEEE10hipError_tPvRmT1_T2_T3_mT4_P12ihipStream_tbEUlT_E0_NS1_11comp_targetILNS1_3genE0ELNS1_11target_archE4294967295ELNS1_3gpuE0ELNS1_3repE0EEENS1_30default_config_static_selectorELNS0_4arch9wavefront6targetE1EEEvSM_.numbered_sgpr, 48
	.set _ZN7rocprim17ROCPRIM_400000_NS6detail17trampoline_kernelINS0_14default_configENS1_22reduce_config_selectorIbEEZNS1_11reduce_implILb1ES3_N6hipcub16HIPCUB_304000_NS22TransformInputIteratorIb7NonZeroIdEPdlEEPllNS8_6detail34convert_binary_result_type_wrapperINS8_3SumESD_lEEEE10hipError_tPvRmT1_T2_T3_mT4_P12ihipStream_tbEUlT_E0_NS1_11comp_targetILNS1_3genE0ELNS1_11target_archE4294967295ELNS1_3gpuE0ELNS1_3repE0EEENS1_30default_config_static_selectorELNS0_4arch9wavefront6targetE1EEEvSM_.num_named_barrier, 0
	.set _ZN7rocprim17ROCPRIM_400000_NS6detail17trampoline_kernelINS0_14default_configENS1_22reduce_config_selectorIbEEZNS1_11reduce_implILb1ES3_N6hipcub16HIPCUB_304000_NS22TransformInputIteratorIb7NonZeroIdEPdlEEPllNS8_6detail34convert_binary_result_type_wrapperINS8_3SumESD_lEEEE10hipError_tPvRmT1_T2_T3_mT4_P12ihipStream_tbEUlT_E0_NS1_11comp_targetILNS1_3genE0ELNS1_11target_archE4294967295ELNS1_3gpuE0ELNS1_3repE0EEENS1_30default_config_static_selectorELNS0_4arch9wavefront6targetE1EEEvSM_.private_seg_size, 0
	.set _ZN7rocprim17ROCPRIM_400000_NS6detail17trampoline_kernelINS0_14default_configENS1_22reduce_config_selectorIbEEZNS1_11reduce_implILb1ES3_N6hipcub16HIPCUB_304000_NS22TransformInputIteratorIb7NonZeroIdEPdlEEPllNS8_6detail34convert_binary_result_type_wrapperINS8_3SumESD_lEEEE10hipError_tPvRmT1_T2_T3_mT4_P12ihipStream_tbEUlT_E0_NS1_11comp_targetILNS1_3genE0ELNS1_11target_archE4294967295ELNS1_3gpuE0ELNS1_3repE0EEENS1_30default_config_static_selectorELNS0_4arch9wavefront6targetE1EEEvSM_.uses_vcc, 1
	.set _ZN7rocprim17ROCPRIM_400000_NS6detail17trampoline_kernelINS0_14default_configENS1_22reduce_config_selectorIbEEZNS1_11reduce_implILb1ES3_N6hipcub16HIPCUB_304000_NS22TransformInputIteratorIb7NonZeroIdEPdlEEPllNS8_6detail34convert_binary_result_type_wrapperINS8_3SumESD_lEEEE10hipError_tPvRmT1_T2_T3_mT4_P12ihipStream_tbEUlT_E0_NS1_11comp_targetILNS1_3genE0ELNS1_11target_archE4294967295ELNS1_3gpuE0ELNS1_3repE0EEENS1_30default_config_static_selectorELNS0_4arch9wavefront6targetE1EEEvSM_.uses_flat_scratch, 0
	.set _ZN7rocprim17ROCPRIM_400000_NS6detail17trampoline_kernelINS0_14default_configENS1_22reduce_config_selectorIbEEZNS1_11reduce_implILb1ES3_N6hipcub16HIPCUB_304000_NS22TransformInputIteratorIb7NonZeroIdEPdlEEPllNS8_6detail34convert_binary_result_type_wrapperINS8_3SumESD_lEEEE10hipError_tPvRmT1_T2_T3_mT4_P12ihipStream_tbEUlT_E0_NS1_11comp_targetILNS1_3genE0ELNS1_11target_archE4294967295ELNS1_3gpuE0ELNS1_3repE0EEENS1_30default_config_static_selectorELNS0_4arch9wavefront6targetE1EEEvSM_.has_dyn_sized_stack, 0
	.set _ZN7rocprim17ROCPRIM_400000_NS6detail17trampoline_kernelINS0_14default_configENS1_22reduce_config_selectorIbEEZNS1_11reduce_implILb1ES3_N6hipcub16HIPCUB_304000_NS22TransformInputIteratorIb7NonZeroIdEPdlEEPllNS8_6detail34convert_binary_result_type_wrapperINS8_3SumESD_lEEEE10hipError_tPvRmT1_T2_T3_mT4_P12ihipStream_tbEUlT_E0_NS1_11comp_targetILNS1_3genE0ELNS1_11target_archE4294967295ELNS1_3gpuE0ELNS1_3repE0EEENS1_30default_config_static_selectorELNS0_4arch9wavefront6targetE1EEEvSM_.has_recursion, 0
	.set _ZN7rocprim17ROCPRIM_400000_NS6detail17trampoline_kernelINS0_14default_configENS1_22reduce_config_selectorIbEEZNS1_11reduce_implILb1ES3_N6hipcub16HIPCUB_304000_NS22TransformInputIteratorIb7NonZeroIdEPdlEEPllNS8_6detail34convert_binary_result_type_wrapperINS8_3SumESD_lEEEE10hipError_tPvRmT1_T2_T3_mT4_P12ihipStream_tbEUlT_E0_NS1_11comp_targetILNS1_3genE0ELNS1_11target_archE4294967295ELNS1_3gpuE0ELNS1_3repE0EEENS1_30default_config_static_selectorELNS0_4arch9wavefront6targetE1EEEvSM_.has_indirect_call, 0
	.section	.AMDGPU.csdata,"",@progbits
; Kernel info:
; codeLenInByte = 3808
; TotalNumSgprs: 54
; NumVgprs: 60
; NumAgprs: 0
; TotalNumVgprs: 60
; ScratchSize: 0
; MemoryBound: 0
; FloatMode: 240
; IeeeMode: 1
; LDSByteSize: 64 bytes/workgroup (compile time only)
; SGPRBlocks: 6
; VGPRBlocks: 7
; NumSGPRsForWavesPerEU: 54
; NumVGPRsForWavesPerEU: 60
; AccumOffset: 60
; Occupancy: 8
; WaveLimiterHint : 1
; COMPUTE_PGM_RSRC2:SCRATCH_EN: 0
; COMPUTE_PGM_RSRC2:USER_SGPR: 2
; COMPUTE_PGM_RSRC2:TRAP_HANDLER: 0
; COMPUTE_PGM_RSRC2:TGID_X_EN: 1
; COMPUTE_PGM_RSRC2:TGID_Y_EN: 0
; COMPUTE_PGM_RSRC2:TGID_Z_EN: 0
; COMPUTE_PGM_RSRC2:TIDIG_COMP_CNT: 0
; COMPUTE_PGM_RSRC3_GFX90A:ACCUM_OFFSET: 14
; COMPUTE_PGM_RSRC3_GFX90A:TG_SPLIT: 0
	.section	.text._ZN7rocprim17ROCPRIM_400000_NS6detail17trampoline_kernelINS0_14default_configENS1_22reduce_config_selectorIbEEZNS1_11reduce_implILb1ES3_N6hipcub16HIPCUB_304000_NS22TransformInputIteratorIb7NonZeroIdEPdlEEPllNS8_6detail34convert_binary_result_type_wrapperINS8_3SumESD_lEEEE10hipError_tPvRmT1_T2_T3_mT4_P12ihipStream_tbEUlT_E0_NS1_11comp_targetILNS1_3genE5ELNS1_11target_archE942ELNS1_3gpuE9ELNS1_3repE0EEENS1_30default_config_static_selectorELNS0_4arch9wavefront6targetE1EEEvSM_,"axG",@progbits,_ZN7rocprim17ROCPRIM_400000_NS6detail17trampoline_kernelINS0_14default_configENS1_22reduce_config_selectorIbEEZNS1_11reduce_implILb1ES3_N6hipcub16HIPCUB_304000_NS22TransformInputIteratorIb7NonZeroIdEPdlEEPllNS8_6detail34convert_binary_result_type_wrapperINS8_3SumESD_lEEEE10hipError_tPvRmT1_T2_T3_mT4_P12ihipStream_tbEUlT_E0_NS1_11comp_targetILNS1_3genE5ELNS1_11target_archE942ELNS1_3gpuE9ELNS1_3repE0EEENS1_30default_config_static_selectorELNS0_4arch9wavefront6targetE1EEEvSM_,comdat
	.protected	_ZN7rocprim17ROCPRIM_400000_NS6detail17trampoline_kernelINS0_14default_configENS1_22reduce_config_selectorIbEEZNS1_11reduce_implILb1ES3_N6hipcub16HIPCUB_304000_NS22TransformInputIteratorIb7NonZeroIdEPdlEEPllNS8_6detail34convert_binary_result_type_wrapperINS8_3SumESD_lEEEE10hipError_tPvRmT1_T2_T3_mT4_P12ihipStream_tbEUlT_E0_NS1_11comp_targetILNS1_3genE5ELNS1_11target_archE942ELNS1_3gpuE9ELNS1_3repE0EEENS1_30default_config_static_selectorELNS0_4arch9wavefront6targetE1EEEvSM_ ; -- Begin function _ZN7rocprim17ROCPRIM_400000_NS6detail17trampoline_kernelINS0_14default_configENS1_22reduce_config_selectorIbEEZNS1_11reduce_implILb1ES3_N6hipcub16HIPCUB_304000_NS22TransformInputIteratorIb7NonZeroIdEPdlEEPllNS8_6detail34convert_binary_result_type_wrapperINS8_3SumESD_lEEEE10hipError_tPvRmT1_T2_T3_mT4_P12ihipStream_tbEUlT_E0_NS1_11comp_targetILNS1_3genE5ELNS1_11target_archE942ELNS1_3gpuE9ELNS1_3repE0EEENS1_30default_config_static_selectorELNS0_4arch9wavefront6targetE1EEEvSM_
	.globl	_ZN7rocprim17ROCPRIM_400000_NS6detail17trampoline_kernelINS0_14default_configENS1_22reduce_config_selectorIbEEZNS1_11reduce_implILb1ES3_N6hipcub16HIPCUB_304000_NS22TransformInputIteratorIb7NonZeroIdEPdlEEPllNS8_6detail34convert_binary_result_type_wrapperINS8_3SumESD_lEEEE10hipError_tPvRmT1_T2_T3_mT4_P12ihipStream_tbEUlT_E0_NS1_11comp_targetILNS1_3genE5ELNS1_11target_archE942ELNS1_3gpuE9ELNS1_3repE0EEENS1_30default_config_static_selectorELNS0_4arch9wavefront6targetE1EEEvSM_
	.p2align	8
	.type	_ZN7rocprim17ROCPRIM_400000_NS6detail17trampoline_kernelINS0_14default_configENS1_22reduce_config_selectorIbEEZNS1_11reduce_implILb1ES3_N6hipcub16HIPCUB_304000_NS22TransformInputIteratorIb7NonZeroIdEPdlEEPllNS8_6detail34convert_binary_result_type_wrapperINS8_3SumESD_lEEEE10hipError_tPvRmT1_T2_T3_mT4_P12ihipStream_tbEUlT_E0_NS1_11comp_targetILNS1_3genE5ELNS1_11target_archE942ELNS1_3gpuE9ELNS1_3repE0EEENS1_30default_config_static_selectorELNS0_4arch9wavefront6targetE1EEEvSM_,@function
_ZN7rocprim17ROCPRIM_400000_NS6detail17trampoline_kernelINS0_14default_configENS1_22reduce_config_selectorIbEEZNS1_11reduce_implILb1ES3_N6hipcub16HIPCUB_304000_NS22TransformInputIteratorIb7NonZeroIdEPdlEEPllNS8_6detail34convert_binary_result_type_wrapperINS8_3SumESD_lEEEE10hipError_tPvRmT1_T2_T3_mT4_P12ihipStream_tbEUlT_E0_NS1_11comp_targetILNS1_3genE5ELNS1_11target_archE942ELNS1_3gpuE9ELNS1_3repE0EEENS1_30default_config_static_selectorELNS0_4arch9wavefront6targetE1EEEvSM_: ; @_ZN7rocprim17ROCPRIM_400000_NS6detail17trampoline_kernelINS0_14default_configENS1_22reduce_config_selectorIbEEZNS1_11reduce_implILb1ES3_N6hipcub16HIPCUB_304000_NS22TransformInputIteratorIb7NonZeroIdEPdlEEPllNS8_6detail34convert_binary_result_type_wrapperINS8_3SumESD_lEEEE10hipError_tPvRmT1_T2_T3_mT4_P12ihipStream_tbEUlT_E0_NS1_11comp_targetILNS1_3genE5ELNS1_11target_archE942ELNS1_3gpuE9ELNS1_3repE0EEENS1_30default_config_static_selectorELNS0_4arch9wavefront6targetE1EEEvSM_
; %bb.0:
	.section	.rodata,"a",@progbits
	.p2align	6, 0x0
	.amdhsa_kernel _ZN7rocprim17ROCPRIM_400000_NS6detail17trampoline_kernelINS0_14default_configENS1_22reduce_config_selectorIbEEZNS1_11reduce_implILb1ES3_N6hipcub16HIPCUB_304000_NS22TransformInputIteratorIb7NonZeroIdEPdlEEPllNS8_6detail34convert_binary_result_type_wrapperINS8_3SumESD_lEEEE10hipError_tPvRmT1_T2_T3_mT4_P12ihipStream_tbEUlT_E0_NS1_11comp_targetILNS1_3genE5ELNS1_11target_archE942ELNS1_3gpuE9ELNS1_3repE0EEENS1_30default_config_static_selectorELNS0_4arch9wavefront6targetE1EEEvSM_
		.amdhsa_group_segment_fixed_size 0
		.amdhsa_private_segment_fixed_size 0
		.amdhsa_kernarg_size 72
		.amdhsa_user_sgpr_count 2
		.amdhsa_user_sgpr_dispatch_ptr 0
		.amdhsa_user_sgpr_queue_ptr 0
		.amdhsa_user_sgpr_kernarg_segment_ptr 1
		.amdhsa_user_sgpr_dispatch_id 0
		.amdhsa_user_sgpr_kernarg_preload_length 0
		.amdhsa_user_sgpr_kernarg_preload_offset 0
		.amdhsa_user_sgpr_private_segment_size 0
		.amdhsa_uses_dynamic_stack 0
		.amdhsa_enable_private_segment 0
		.amdhsa_system_sgpr_workgroup_id_x 1
		.amdhsa_system_sgpr_workgroup_id_y 0
		.amdhsa_system_sgpr_workgroup_id_z 0
		.amdhsa_system_sgpr_workgroup_info 0
		.amdhsa_system_vgpr_workitem_id 0
		.amdhsa_next_free_vgpr 1
		.amdhsa_next_free_sgpr 0
		.amdhsa_accum_offset 4
		.amdhsa_reserve_vcc 0
		.amdhsa_float_round_mode_32 0
		.amdhsa_float_round_mode_16_64 0
		.amdhsa_float_denorm_mode_32 3
		.amdhsa_float_denorm_mode_16_64 3
		.amdhsa_dx10_clamp 1
		.amdhsa_ieee_mode 1
		.amdhsa_fp16_overflow 0
		.amdhsa_tg_split 0
		.amdhsa_exception_fp_ieee_invalid_op 0
		.amdhsa_exception_fp_denorm_src 0
		.amdhsa_exception_fp_ieee_div_zero 0
		.amdhsa_exception_fp_ieee_overflow 0
		.amdhsa_exception_fp_ieee_underflow 0
		.amdhsa_exception_fp_ieee_inexact 0
		.amdhsa_exception_int_div_zero 0
	.end_amdhsa_kernel
	.section	.text._ZN7rocprim17ROCPRIM_400000_NS6detail17trampoline_kernelINS0_14default_configENS1_22reduce_config_selectorIbEEZNS1_11reduce_implILb1ES3_N6hipcub16HIPCUB_304000_NS22TransformInputIteratorIb7NonZeroIdEPdlEEPllNS8_6detail34convert_binary_result_type_wrapperINS8_3SumESD_lEEEE10hipError_tPvRmT1_T2_T3_mT4_P12ihipStream_tbEUlT_E0_NS1_11comp_targetILNS1_3genE5ELNS1_11target_archE942ELNS1_3gpuE9ELNS1_3repE0EEENS1_30default_config_static_selectorELNS0_4arch9wavefront6targetE1EEEvSM_,"axG",@progbits,_ZN7rocprim17ROCPRIM_400000_NS6detail17trampoline_kernelINS0_14default_configENS1_22reduce_config_selectorIbEEZNS1_11reduce_implILb1ES3_N6hipcub16HIPCUB_304000_NS22TransformInputIteratorIb7NonZeroIdEPdlEEPllNS8_6detail34convert_binary_result_type_wrapperINS8_3SumESD_lEEEE10hipError_tPvRmT1_T2_T3_mT4_P12ihipStream_tbEUlT_E0_NS1_11comp_targetILNS1_3genE5ELNS1_11target_archE942ELNS1_3gpuE9ELNS1_3repE0EEENS1_30default_config_static_selectorELNS0_4arch9wavefront6targetE1EEEvSM_,comdat
.Lfunc_end304:
	.size	_ZN7rocprim17ROCPRIM_400000_NS6detail17trampoline_kernelINS0_14default_configENS1_22reduce_config_selectorIbEEZNS1_11reduce_implILb1ES3_N6hipcub16HIPCUB_304000_NS22TransformInputIteratorIb7NonZeroIdEPdlEEPllNS8_6detail34convert_binary_result_type_wrapperINS8_3SumESD_lEEEE10hipError_tPvRmT1_T2_T3_mT4_P12ihipStream_tbEUlT_E0_NS1_11comp_targetILNS1_3genE5ELNS1_11target_archE942ELNS1_3gpuE9ELNS1_3repE0EEENS1_30default_config_static_selectorELNS0_4arch9wavefront6targetE1EEEvSM_, .Lfunc_end304-_ZN7rocprim17ROCPRIM_400000_NS6detail17trampoline_kernelINS0_14default_configENS1_22reduce_config_selectorIbEEZNS1_11reduce_implILb1ES3_N6hipcub16HIPCUB_304000_NS22TransformInputIteratorIb7NonZeroIdEPdlEEPllNS8_6detail34convert_binary_result_type_wrapperINS8_3SumESD_lEEEE10hipError_tPvRmT1_T2_T3_mT4_P12ihipStream_tbEUlT_E0_NS1_11comp_targetILNS1_3genE5ELNS1_11target_archE942ELNS1_3gpuE9ELNS1_3repE0EEENS1_30default_config_static_selectorELNS0_4arch9wavefront6targetE1EEEvSM_
                                        ; -- End function
	.set _ZN7rocprim17ROCPRIM_400000_NS6detail17trampoline_kernelINS0_14default_configENS1_22reduce_config_selectorIbEEZNS1_11reduce_implILb1ES3_N6hipcub16HIPCUB_304000_NS22TransformInputIteratorIb7NonZeroIdEPdlEEPllNS8_6detail34convert_binary_result_type_wrapperINS8_3SumESD_lEEEE10hipError_tPvRmT1_T2_T3_mT4_P12ihipStream_tbEUlT_E0_NS1_11comp_targetILNS1_3genE5ELNS1_11target_archE942ELNS1_3gpuE9ELNS1_3repE0EEENS1_30default_config_static_selectorELNS0_4arch9wavefront6targetE1EEEvSM_.num_vgpr, 0
	.set _ZN7rocprim17ROCPRIM_400000_NS6detail17trampoline_kernelINS0_14default_configENS1_22reduce_config_selectorIbEEZNS1_11reduce_implILb1ES3_N6hipcub16HIPCUB_304000_NS22TransformInputIteratorIb7NonZeroIdEPdlEEPllNS8_6detail34convert_binary_result_type_wrapperINS8_3SumESD_lEEEE10hipError_tPvRmT1_T2_T3_mT4_P12ihipStream_tbEUlT_E0_NS1_11comp_targetILNS1_3genE5ELNS1_11target_archE942ELNS1_3gpuE9ELNS1_3repE0EEENS1_30default_config_static_selectorELNS0_4arch9wavefront6targetE1EEEvSM_.num_agpr, 0
	.set _ZN7rocprim17ROCPRIM_400000_NS6detail17trampoline_kernelINS0_14default_configENS1_22reduce_config_selectorIbEEZNS1_11reduce_implILb1ES3_N6hipcub16HIPCUB_304000_NS22TransformInputIteratorIb7NonZeroIdEPdlEEPllNS8_6detail34convert_binary_result_type_wrapperINS8_3SumESD_lEEEE10hipError_tPvRmT1_T2_T3_mT4_P12ihipStream_tbEUlT_E0_NS1_11comp_targetILNS1_3genE5ELNS1_11target_archE942ELNS1_3gpuE9ELNS1_3repE0EEENS1_30default_config_static_selectorELNS0_4arch9wavefront6targetE1EEEvSM_.numbered_sgpr, 0
	.set _ZN7rocprim17ROCPRIM_400000_NS6detail17trampoline_kernelINS0_14default_configENS1_22reduce_config_selectorIbEEZNS1_11reduce_implILb1ES3_N6hipcub16HIPCUB_304000_NS22TransformInputIteratorIb7NonZeroIdEPdlEEPllNS8_6detail34convert_binary_result_type_wrapperINS8_3SumESD_lEEEE10hipError_tPvRmT1_T2_T3_mT4_P12ihipStream_tbEUlT_E0_NS1_11comp_targetILNS1_3genE5ELNS1_11target_archE942ELNS1_3gpuE9ELNS1_3repE0EEENS1_30default_config_static_selectorELNS0_4arch9wavefront6targetE1EEEvSM_.num_named_barrier, 0
	.set _ZN7rocprim17ROCPRIM_400000_NS6detail17trampoline_kernelINS0_14default_configENS1_22reduce_config_selectorIbEEZNS1_11reduce_implILb1ES3_N6hipcub16HIPCUB_304000_NS22TransformInputIteratorIb7NonZeroIdEPdlEEPllNS8_6detail34convert_binary_result_type_wrapperINS8_3SumESD_lEEEE10hipError_tPvRmT1_T2_T3_mT4_P12ihipStream_tbEUlT_E0_NS1_11comp_targetILNS1_3genE5ELNS1_11target_archE942ELNS1_3gpuE9ELNS1_3repE0EEENS1_30default_config_static_selectorELNS0_4arch9wavefront6targetE1EEEvSM_.private_seg_size, 0
	.set _ZN7rocprim17ROCPRIM_400000_NS6detail17trampoline_kernelINS0_14default_configENS1_22reduce_config_selectorIbEEZNS1_11reduce_implILb1ES3_N6hipcub16HIPCUB_304000_NS22TransformInputIteratorIb7NonZeroIdEPdlEEPllNS8_6detail34convert_binary_result_type_wrapperINS8_3SumESD_lEEEE10hipError_tPvRmT1_T2_T3_mT4_P12ihipStream_tbEUlT_E0_NS1_11comp_targetILNS1_3genE5ELNS1_11target_archE942ELNS1_3gpuE9ELNS1_3repE0EEENS1_30default_config_static_selectorELNS0_4arch9wavefront6targetE1EEEvSM_.uses_vcc, 0
	.set _ZN7rocprim17ROCPRIM_400000_NS6detail17trampoline_kernelINS0_14default_configENS1_22reduce_config_selectorIbEEZNS1_11reduce_implILb1ES3_N6hipcub16HIPCUB_304000_NS22TransformInputIteratorIb7NonZeroIdEPdlEEPllNS8_6detail34convert_binary_result_type_wrapperINS8_3SumESD_lEEEE10hipError_tPvRmT1_T2_T3_mT4_P12ihipStream_tbEUlT_E0_NS1_11comp_targetILNS1_3genE5ELNS1_11target_archE942ELNS1_3gpuE9ELNS1_3repE0EEENS1_30default_config_static_selectorELNS0_4arch9wavefront6targetE1EEEvSM_.uses_flat_scratch, 0
	.set _ZN7rocprim17ROCPRIM_400000_NS6detail17trampoline_kernelINS0_14default_configENS1_22reduce_config_selectorIbEEZNS1_11reduce_implILb1ES3_N6hipcub16HIPCUB_304000_NS22TransformInputIteratorIb7NonZeroIdEPdlEEPllNS8_6detail34convert_binary_result_type_wrapperINS8_3SumESD_lEEEE10hipError_tPvRmT1_T2_T3_mT4_P12ihipStream_tbEUlT_E0_NS1_11comp_targetILNS1_3genE5ELNS1_11target_archE942ELNS1_3gpuE9ELNS1_3repE0EEENS1_30default_config_static_selectorELNS0_4arch9wavefront6targetE1EEEvSM_.has_dyn_sized_stack, 0
	.set _ZN7rocprim17ROCPRIM_400000_NS6detail17trampoline_kernelINS0_14default_configENS1_22reduce_config_selectorIbEEZNS1_11reduce_implILb1ES3_N6hipcub16HIPCUB_304000_NS22TransformInputIteratorIb7NonZeroIdEPdlEEPllNS8_6detail34convert_binary_result_type_wrapperINS8_3SumESD_lEEEE10hipError_tPvRmT1_T2_T3_mT4_P12ihipStream_tbEUlT_E0_NS1_11comp_targetILNS1_3genE5ELNS1_11target_archE942ELNS1_3gpuE9ELNS1_3repE0EEENS1_30default_config_static_selectorELNS0_4arch9wavefront6targetE1EEEvSM_.has_recursion, 0
	.set _ZN7rocprim17ROCPRIM_400000_NS6detail17trampoline_kernelINS0_14default_configENS1_22reduce_config_selectorIbEEZNS1_11reduce_implILb1ES3_N6hipcub16HIPCUB_304000_NS22TransformInputIteratorIb7NonZeroIdEPdlEEPllNS8_6detail34convert_binary_result_type_wrapperINS8_3SumESD_lEEEE10hipError_tPvRmT1_T2_T3_mT4_P12ihipStream_tbEUlT_E0_NS1_11comp_targetILNS1_3genE5ELNS1_11target_archE942ELNS1_3gpuE9ELNS1_3repE0EEENS1_30default_config_static_selectorELNS0_4arch9wavefront6targetE1EEEvSM_.has_indirect_call, 0
	.section	.AMDGPU.csdata,"",@progbits
; Kernel info:
; codeLenInByte = 0
; TotalNumSgprs: 6
; NumVgprs: 0
; NumAgprs: 0
; TotalNumVgprs: 0
; ScratchSize: 0
; MemoryBound: 0
; FloatMode: 240
; IeeeMode: 1
; LDSByteSize: 0 bytes/workgroup (compile time only)
; SGPRBlocks: 0
; VGPRBlocks: 0
; NumSGPRsForWavesPerEU: 6
; NumVGPRsForWavesPerEU: 1
; AccumOffset: 4
; Occupancy: 8
; WaveLimiterHint : 0
; COMPUTE_PGM_RSRC2:SCRATCH_EN: 0
; COMPUTE_PGM_RSRC2:USER_SGPR: 2
; COMPUTE_PGM_RSRC2:TRAP_HANDLER: 0
; COMPUTE_PGM_RSRC2:TGID_X_EN: 1
; COMPUTE_PGM_RSRC2:TGID_Y_EN: 0
; COMPUTE_PGM_RSRC2:TGID_Z_EN: 0
; COMPUTE_PGM_RSRC2:TIDIG_COMP_CNT: 0
; COMPUTE_PGM_RSRC3_GFX90A:ACCUM_OFFSET: 0
; COMPUTE_PGM_RSRC3_GFX90A:TG_SPLIT: 0
	.section	.text._ZN7rocprim17ROCPRIM_400000_NS6detail17trampoline_kernelINS0_14default_configENS1_22reduce_config_selectorIbEEZNS1_11reduce_implILb1ES3_N6hipcub16HIPCUB_304000_NS22TransformInputIteratorIb7NonZeroIdEPdlEEPllNS8_6detail34convert_binary_result_type_wrapperINS8_3SumESD_lEEEE10hipError_tPvRmT1_T2_T3_mT4_P12ihipStream_tbEUlT_E0_NS1_11comp_targetILNS1_3genE4ELNS1_11target_archE910ELNS1_3gpuE8ELNS1_3repE0EEENS1_30default_config_static_selectorELNS0_4arch9wavefront6targetE1EEEvSM_,"axG",@progbits,_ZN7rocprim17ROCPRIM_400000_NS6detail17trampoline_kernelINS0_14default_configENS1_22reduce_config_selectorIbEEZNS1_11reduce_implILb1ES3_N6hipcub16HIPCUB_304000_NS22TransformInputIteratorIb7NonZeroIdEPdlEEPllNS8_6detail34convert_binary_result_type_wrapperINS8_3SumESD_lEEEE10hipError_tPvRmT1_T2_T3_mT4_P12ihipStream_tbEUlT_E0_NS1_11comp_targetILNS1_3genE4ELNS1_11target_archE910ELNS1_3gpuE8ELNS1_3repE0EEENS1_30default_config_static_selectorELNS0_4arch9wavefront6targetE1EEEvSM_,comdat
	.protected	_ZN7rocprim17ROCPRIM_400000_NS6detail17trampoline_kernelINS0_14default_configENS1_22reduce_config_selectorIbEEZNS1_11reduce_implILb1ES3_N6hipcub16HIPCUB_304000_NS22TransformInputIteratorIb7NonZeroIdEPdlEEPllNS8_6detail34convert_binary_result_type_wrapperINS8_3SumESD_lEEEE10hipError_tPvRmT1_T2_T3_mT4_P12ihipStream_tbEUlT_E0_NS1_11comp_targetILNS1_3genE4ELNS1_11target_archE910ELNS1_3gpuE8ELNS1_3repE0EEENS1_30default_config_static_selectorELNS0_4arch9wavefront6targetE1EEEvSM_ ; -- Begin function _ZN7rocprim17ROCPRIM_400000_NS6detail17trampoline_kernelINS0_14default_configENS1_22reduce_config_selectorIbEEZNS1_11reduce_implILb1ES3_N6hipcub16HIPCUB_304000_NS22TransformInputIteratorIb7NonZeroIdEPdlEEPllNS8_6detail34convert_binary_result_type_wrapperINS8_3SumESD_lEEEE10hipError_tPvRmT1_T2_T3_mT4_P12ihipStream_tbEUlT_E0_NS1_11comp_targetILNS1_3genE4ELNS1_11target_archE910ELNS1_3gpuE8ELNS1_3repE0EEENS1_30default_config_static_selectorELNS0_4arch9wavefront6targetE1EEEvSM_
	.globl	_ZN7rocprim17ROCPRIM_400000_NS6detail17trampoline_kernelINS0_14default_configENS1_22reduce_config_selectorIbEEZNS1_11reduce_implILb1ES3_N6hipcub16HIPCUB_304000_NS22TransformInputIteratorIb7NonZeroIdEPdlEEPllNS8_6detail34convert_binary_result_type_wrapperINS8_3SumESD_lEEEE10hipError_tPvRmT1_T2_T3_mT4_P12ihipStream_tbEUlT_E0_NS1_11comp_targetILNS1_3genE4ELNS1_11target_archE910ELNS1_3gpuE8ELNS1_3repE0EEENS1_30default_config_static_selectorELNS0_4arch9wavefront6targetE1EEEvSM_
	.p2align	8
	.type	_ZN7rocprim17ROCPRIM_400000_NS6detail17trampoline_kernelINS0_14default_configENS1_22reduce_config_selectorIbEEZNS1_11reduce_implILb1ES3_N6hipcub16HIPCUB_304000_NS22TransformInputIteratorIb7NonZeroIdEPdlEEPllNS8_6detail34convert_binary_result_type_wrapperINS8_3SumESD_lEEEE10hipError_tPvRmT1_T2_T3_mT4_P12ihipStream_tbEUlT_E0_NS1_11comp_targetILNS1_3genE4ELNS1_11target_archE910ELNS1_3gpuE8ELNS1_3repE0EEENS1_30default_config_static_selectorELNS0_4arch9wavefront6targetE1EEEvSM_,@function
_ZN7rocprim17ROCPRIM_400000_NS6detail17trampoline_kernelINS0_14default_configENS1_22reduce_config_selectorIbEEZNS1_11reduce_implILb1ES3_N6hipcub16HIPCUB_304000_NS22TransformInputIteratorIb7NonZeroIdEPdlEEPllNS8_6detail34convert_binary_result_type_wrapperINS8_3SumESD_lEEEE10hipError_tPvRmT1_T2_T3_mT4_P12ihipStream_tbEUlT_E0_NS1_11comp_targetILNS1_3genE4ELNS1_11target_archE910ELNS1_3gpuE8ELNS1_3repE0EEENS1_30default_config_static_selectorELNS0_4arch9wavefront6targetE1EEEvSM_: ; @_ZN7rocprim17ROCPRIM_400000_NS6detail17trampoline_kernelINS0_14default_configENS1_22reduce_config_selectorIbEEZNS1_11reduce_implILb1ES3_N6hipcub16HIPCUB_304000_NS22TransformInputIteratorIb7NonZeroIdEPdlEEPllNS8_6detail34convert_binary_result_type_wrapperINS8_3SumESD_lEEEE10hipError_tPvRmT1_T2_T3_mT4_P12ihipStream_tbEUlT_E0_NS1_11comp_targetILNS1_3genE4ELNS1_11target_archE910ELNS1_3gpuE8ELNS1_3repE0EEENS1_30default_config_static_selectorELNS0_4arch9wavefront6targetE1EEEvSM_
; %bb.0:
	.section	.rodata,"a",@progbits
	.p2align	6, 0x0
	.amdhsa_kernel _ZN7rocprim17ROCPRIM_400000_NS6detail17trampoline_kernelINS0_14default_configENS1_22reduce_config_selectorIbEEZNS1_11reduce_implILb1ES3_N6hipcub16HIPCUB_304000_NS22TransformInputIteratorIb7NonZeroIdEPdlEEPllNS8_6detail34convert_binary_result_type_wrapperINS8_3SumESD_lEEEE10hipError_tPvRmT1_T2_T3_mT4_P12ihipStream_tbEUlT_E0_NS1_11comp_targetILNS1_3genE4ELNS1_11target_archE910ELNS1_3gpuE8ELNS1_3repE0EEENS1_30default_config_static_selectorELNS0_4arch9wavefront6targetE1EEEvSM_
		.amdhsa_group_segment_fixed_size 0
		.amdhsa_private_segment_fixed_size 0
		.amdhsa_kernarg_size 72
		.amdhsa_user_sgpr_count 2
		.amdhsa_user_sgpr_dispatch_ptr 0
		.amdhsa_user_sgpr_queue_ptr 0
		.amdhsa_user_sgpr_kernarg_segment_ptr 1
		.amdhsa_user_sgpr_dispatch_id 0
		.amdhsa_user_sgpr_kernarg_preload_length 0
		.amdhsa_user_sgpr_kernarg_preload_offset 0
		.amdhsa_user_sgpr_private_segment_size 0
		.amdhsa_uses_dynamic_stack 0
		.amdhsa_enable_private_segment 0
		.amdhsa_system_sgpr_workgroup_id_x 1
		.amdhsa_system_sgpr_workgroup_id_y 0
		.amdhsa_system_sgpr_workgroup_id_z 0
		.amdhsa_system_sgpr_workgroup_info 0
		.amdhsa_system_vgpr_workitem_id 0
		.amdhsa_next_free_vgpr 1
		.amdhsa_next_free_sgpr 0
		.amdhsa_accum_offset 4
		.amdhsa_reserve_vcc 0
		.amdhsa_float_round_mode_32 0
		.amdhsa_float_round_mode_16_64 0
		.amdhsa_float_denorm_mode_32 3
		.amdhsa_float_denorm_mode_16_64 3
		.amdhsa_dx10_clamp 1
		.amdhsa_ieee_mode 1
		.amdhsa_fp16_overflow 0
		.amdhsa_tg_split 0
		.amdhsa_exception_fp_ieee_invalid_op 0
		.amdhsa_exception_fp_denorm_src 0
		.amdhsa_exception_fp_ieee_div_zero 0
		.amdhsa_exception_fp_ieee_overflow 0
		.amdhsa_exception_fp_ieee_underflow 0
		.amdhsa_exception_fp_ieee_inexact 0
		.amdhsa_exception_int_div_zero 0
	.end_amdhsa_kernel
	.section	.text._ZN7rocprim17ROCPRIM_400000_NS6detail17trampoline_kernelINS0_14default_configENS1_22reduce_config_selectorIbEEZNS1_11reduce_implILb1ES3_N6hipcub16HIPCUB_304000_NS22TransformInputIteratorIb7NonZeroIdEPdlEEPllNS8_6detail34convert_binary_result_type_wrapperINS8_3SumESD_lEEEE10hipError_tPvRmT1_T2_T3_mT4_P12ihipStream_tbEUlT_E0_NS1_11comp_targetILNS1_3genE4ELNS1_11target_archE910ELNS1_3gpuE8ELNS1_3repE0EEENS1_30default_config_static_selectorELNS0_4arch9wavefront6targetE1EEEvSM_,"axG",@progbits,_ZN7rocprim17ROCPRIM_400000_NS6detail17trampoline_kernelINS0_14default_configENS1_22reduce_config_selectorIbEEZNS1_11reduce_implILb1ES3_N6hipcub16HIPCUB_304000_NS22TransformInputIteratorIb7NonZeroIdEPdlEEPllNS8_6detail34convert_binary_result_type_wrapperINS8_3SumESD_lEEEE10hipError_tPvRmT1_T2_T3_mT4_P12ihipStream_tbEUlT_E0_NS1_11comp_targetILNS1_3genE4ELNS1_11target_archE910ELNS1_3gpuE8ELNS1_3repE0EEENS1_30default_config_static_selectorELNS0_4arch9wavefront6targetE1EEEvSM_,comdat
.Lfunc_end305:
	.size	_ZN7rocprim17ROCPRIM_400000_NS6detail17trampoline_kernelINS0_14default_configENS1_22reduce_config_selectorIbEEZNS1_11reduce_implILb1ES3_N6hipcub16HIPCUB_304000_NS22TransformInputIteratorIb7NonZeroIdEPdlEEPllNS8_6detail34convert_binary_result_type_wrapperINS8_3SumESD_lEEEE10hipError_tPvRmT1_T2_T3_mT4_P12ihipStream_tbEUlT_E0_NS1_11comp_targetILNS1_3genE4ELNS1_11target_archE910ELNS1_3gpuE8ELNS1_3repE0EEENS1_30default_config_static_selectorELNS0_4arch9wavefront6targetE1EEEvSM_, .Lfunc_end305-_ZN7rocprim17ROCPRIM_400000_NS6detail17trampoline_kernelINS0_14default_configENS1_22reduce_config_selectorIbEEZNS1_11reduce_implILb1ES3_N6hipcub16HIPCUB_304000_NS22TransformInputIteratorIb7NonZeroIdEPdlEEPllNS8_6detail34convert_binary_result_type_wrapperINS8_3SumESD_lEEEE10hipError_tPvRmT1_T2_T3_mT4_P12ihipStream_tbEUlT_E0_NS1_11comp_targetILNS1_3genE4ELNS1_11target_archE910ELNS1_3gpuE8ELNS1_3repE0EEENS1_30default_config_static_selectorELNS0_4arch9wavefront6targetE1EEEvSM_
                                        ; -- End function
	.set _ZN7rocprim17ROCPRIM_400000_NS6detail17trampoline_kernelINS0_14default_configENS1_22reduce_config_selectorIbEEZNS1_11reduce_implILb1ES3_N6hipcub16HIPCUB_304000_NS22TransformInputIteratorIb7NonZeroIdEPdlEEPllNS8_6detail34convert_binary_result_type_wrapperINS8_3SumESD_lEEEE10hipError_tPvRmT1_T2_T3_mT4_P12ihipStream_tbEUlT_E0_NS1_11comp_targetILNS1_3genE4ELNS1_11target_archE910ELNS1_3gpuE8ELNS1_3repE0EEENS1_30default_config_static_selectorELNS0_4arch9wavefront6targetE1EEEvSM_.num_vgpr, 0
	.set _ZN7rocprim17ROCPRIM_400000_NS6detail17trampoline_kernelINS0_14default_configENS1_22reduce_config_selectorIbEEZNS1_11reduce_implILb1ES3_N6hipcub16HIPCUB_304000_NS22TransformInputIteratorIb7NonZeroIdEPdlEEPllNS8_6detail34convert_binary_result_type_wrapperINS8_3SumESD_lEEEE10hipError_tPvRmT1_T2_T3_mT4_P12ihipStream_tbEUlT_E0_NS1_11comp_targetILNS1_3genE4ELNS1_11target_archE910ELNS1_3gpuE8ELNS1_3repE0EEENS1_30default_config_static_selectorELNS0_4arch9wavefront6targetE1EEEvSM_.num_agpr, 0
	.set _ZN7rocprim17ROCPRIM_400000_NS6detail17trampoline_kernelINS0_14default_configENS1_22reduce_config_selectorIbEEZNS1_11reduce_implILb1ES3_N6hipcub16HIPCUB_304000_NS22TransformInputIteratorIb7NonZeroIdEPdlEEPllNS8_6detail34convert_binary_result_type_wrapperINS8_3SumESD_lEEEE10hipError_tPvRmT1_T2_T3_mT4_P12ihipStream_tbEUlT_E0_NS1_11comp_targetILNS1_3genE4ELNS1_11target_archE910ELNS1_3gpuE8ELNS1_3repE0EEENS1_30default_config_static_selectorELNS0_4arch9wavefront6targetE1EEEvSM_.numbered_sgpr, 0
	.set _ZN7rocprim17ROCPRIM_400000_NS6detail17trampoline_kernelINS0_14default_configENS1_22reduce_config_selectorIbEEZNS1_11reduce_implILb1ES3_N6hipcub16HIPCUB_304000_NS22TransformInputIteratorIb7NonZeroIdEPdlEEPllNS8_6detail34convert_binary_result_type_wrapperINS8_3SumESD_lEEEE10hipError_tPvRmT1_T2_T3_mT4_P12ihipStream_tbEUlT_E0_NS1_11comp_targetILNS1_3genE4ELNS1_11target_archE910ELNS1_3gpuE8ELNS1_3repE0EEENS1_30default_config_static_selectorELNS0_4arch9wavefront6targetE1EEEvSM_.num_named_barrier, 0
	.set _ZN7rocprim17ROCPRIM_400000_NS6detail17trampoline_kernelINS0_14default_configENS1_22reduce_config_selectorIbEEZNS1_11reduce_implILb1ES3_N6hipcub16HIPCUB_304000_NS22TransformInputIteratorIb7NonZeroIdEPdlEEPllNS8_6detail34convert_binary_result_type_wrapperINS8_3SumESD_lEEEE10hipError_tPvRmT1_T2_T3_mT4_P12ihipStream_tbEUlT_E0_NS1_11comp_targetILNS1_3genE4ELNS1_11target_archE910ELNS1_3gpuE8ELNS1_3repE0EEENS1_30default_config_static_selectorELNS0_4arch9wavefront6targetE1EEEvSM_.private_seg_size, 0
	.set _ZN7rocprim17ROCPRIM_400000_NS6detail17trampoline_kernelINS0_14default_configENS1_22reduce_config_selectorIbEEZNS1_11reduce_implILb1ES3_N6hipcub16HIPCUB_304000_NS22TransformInputIteratorIb7NonZeroIdEPdlEEPllNS8_6detail34convert_binary_result_type_wrapperINS8_3SumESD_lEEEE10hipError_tPvRmT1_T2_T3_mT4_P12ihipStream_tbEUlT_E0_NS1_11comp_targetILNS1_3genE4ELNS1_11target_archE910ELNS1_3gpuE8ELNS1_3repE0EEENS1_30default_config_static_selectorELNS0_4arch9wavefront6targetE1EEEvSM_.uses_vcc, 0
	.set _ZN7rocprim17ROCPRIM_400000_NS6detail17trampoline_kernelINS0_14default_configENS1_22reduce_config_selectorIbEEZNS1_11reduce_implILb1ES3_N6hipcub16HIPCUB_304000_NS22TransformInputIteratorIb7NonZeroIdEPdlEEPllNS8_6detail34convert_binary_result_type_wrapperINS8_3SumESD_lEEEE10hipError_tPvRmT1_T2_T3_mT4_P12ihipStream_tbEUlT_E0_NS1_11comp_targetILNS1_3genE4ELNS1_11target_archE910ELNS1_3gpuE8ELNS1_3repE0EEENS1_30default_config_static_selectorELNS0_4arch9wavefront6targetE1EEEvSM_.uses_flat_scratch, 0
	.set _ZN7rocprim17ROCPRIM_400000_NS6detail17trampoline_kernelINS0_14default_configENS1_22reduce_config_selectorIbEEZNS1_11reduce_implILb1ES3_N6hipcub16HIPCUB_304000_NS22TransformInputIteratorIb7NonZeroIdEPdlEEPllNS8_6detail34convert_binary_result_type_wrapperINS8_3SumESD_lEEEE10hipError_tPvRmT1_T2_T3_mT4_P12ihipStream_tbEUlT_E0_NS1_11comp_targetILNS1_3genE4ELNS1_11target_archE910ELNS1_3gpuE8ELNS1_3repE0EEENS1_30default_config_static_selectorELNS0_4arch9wavefront6targetE1EEEvSM_.has_dyn_sized_stack, 0
	.set _ZN7rocprim17ROCPRIM_400000_NS6detail17trampoline_kernelINS0_14default_configENS1_22reduce_config_selectorIbEEZNS1_11reduce_implILb1ES3_N6hipcub16HIPCUB_304000_NS22TransformInputIteratorIb7NonZeroIdEPdlEEPllNS8_6detail34convert_binary_result_type_wrapperINS8_3SumESD_lEEEE10hipError_tPvRmT1_T2_T3_mT4_P12ihipStream_tbEUlT_E0_NS1_11comp_targetILNS1_3genE4ELNS1_11target_archE910ELNS1_3gpuE8ELNS1_3repE0EEENS1_30default_config_static_selectorELNS0_4arch9wavefront6targetE1EEEvSM_.has_recursion, 0
	.set _ZN7rocprim17ROCPRIM_400000_NS6detail17trampoline_kernelINS0_14default_configENS1_22reduce_config_selectorIbEEZNS1_11reduce_implILb1ES3_N6hipcub16HIPCUB_304000_NS22TransformInputIteratorIb7NonZeroIdEPdlEEPllNS8_6detail34convert_binary_result_type_wrapperINS8_3SumESD_lEEEE10hipError_tPvRmT1_T2_T3_mT4_P12ihipStream_tbEUlT_E0_NS1_11comp_targetILNS1_3genE4ELNS1_11target_archE910ELNS1_3gpuE8ELNS1_3repE0EEENS1_30default_config_static_selectorELNS0_4arch9wavefront6targetE1EEEvSM_.has_indirect_call, 0
	.section	.AMDGPU.csdata,"",@progbits
; Kernel info:
; codeLenInByte = 0
; TotalNumSgprs: 6
; NumVgprs: 0
; NumAgprs: 0
; TotalNumVgprs: 0
; ScratchSize: 0
; MemoryBound: 0
; FloatMode: 240
; IeeeMode: 1
; LDSByteSize: 0 bytes/workgroup (compile time only)
; SGPRBlocks: 0
; VGPRBlocks: 0
; NumSGPRsForWavesPerEU: 6
; NumVGPRsForWavesPerEU: 1
; AccumOffset: 4
; Occupancy: 8
; WaveLimiterHint : 0
; COMPUTE_PGM_RSRC2:SCRATCH_EN: 0
; COMPUTE_PGM_RSRC2:USER_SGPR: 2
; COMPUTE_PGM_RSRC2:TRAP_HANDLER: 0
; COMPUTE_PGM_RSRC2:TGID_X_EN: 1
; COMPUTE_PGM_RSRC2:TGID_Y_EN: 0
; COMPUTE_PGM_RSRC2:TGID_Z_EN: 0
; COMPUTE_PGM_RSRC2:TIDIG_COMP_CNT: 0
; COMPUTE_PGM_RSRC3_GFX90A:ACCUM_OFFSET: 0
; COMPUTE_PGM_RSRC3_GFX90A:TG_SPLIT: 0
	.section	.text._ZN7rocprim17ROCPRIM_400000_NS6detail17trampoline_kernelINS0_14default_configENS1_22reduce_config_selectorIbEEZNS1_11reduce_implILb1ES3_N6hipcub16HIPCUB_304000_NS22TransformInputIteratorIb7NonZeroIdEPdlEEPllNS8_6detail34convert_binary_result_type_wrapperINS8_3SumESD_lEEEE10hipError_tPvRmT1_T2_T3_mT4_P12ihipStream_tbEUlT_E0_NS1_11comp_targetILNS1_3genE3ELNS1_11target_archE908ELNS1_3gpuE7ELNS1_3repE0EEENS1_30default_config_static_selectorELNS0_4arch9wavefront6targetE1EEEvSM_,"axG",@progbits,_ZN7rocprim17ROCPRIM_400000_NS6detail17trampoline_kernelINS0_14default_configENS1_22reduce_config_selectorIbEEZNS1_11reduce_implILb1ES3_N6hipcub16HIPCUB_304000_NS22TransformInputIteratorIb7NonZeroIdEPdlEEPllNS8_6detail34convert_binary_result_type_wrapperINS8_3SumESD_lEEEE10hipError_tPvRmT1_T2_T3_mT4_P12ihipStream_tbEUlT_E0_NS1_11comp_targetILNS1_3genE3ELNS1_11target_archE908ELNS1_3gpuE7ELNS1_3repE0EEENS1_30default_config_static_selectorELNS0_4arch9wavefront6targetE1EEEvSM_,comdat
	.protected	_ZN7rocprim17ROCPRIM_400000_NS6detail17trampoline_kernelINS0_14default_configENS1_22reduce_config_selectorIbEEZNS1_11reduce_implILb1ES3_N6hipcub16HIPCUB_304000_NS22TransformInputIteratorIb7NonZeroIdEPdlEEPllNS8_6detail34convert_binary_result_type_wrapperINS8_3SumESD_lEEEE10hipError_tPvRmT1_T2_T3_mT4_P12ihipStream_tbEUlT_E0_NS1_11comp_targetILNS1_3genE3ELNS1_11target_archE908ELNS1_3gpuE7ELNS1_3repE0EEENS1_30default_config_static_selectorELNS0_4arch9wavefront6targetE1EEEvSM_ ; -- Begin function _ZN7rocprim17ROCPRIM_400000_NS6detail17trampoline_kernelINS0_14default_configENS1_22reduce_config_selectorIbEEZNS1_11reduce_implILb1ES3_N6hipcub16HIPCUB_304000_NS22TransformInputIteratorIb7NonZeroIdEPdlEEPllNS8_6detail34convert_binary_result_type_wrapperINS8_3SumESD_lEEEE10hipError_tPvRmT1_T2_T3_mT4_P12ihipStream_tbEUlT_E0_NS1_11comp_targetILNS1_3genE3ELNS1_11target_archE908ELNS1_3gpuE7ELNS1_3repE0EEENS1_30default_config_static_selectorELNS0_4arch9wavefront6targetE1EEEvSM_
	.globl	_ZN7rocprim17ROCPRIM_400000_NS6detail17trampoline_kernelINS0_14default_configENS1_22reduce_config_selectorIbEEZNS1_11reduce_implILb1ES3_N6hipcub16HIPCUB_304000_NS22TransformInputIteratorIb7NonZeroIdEPdlEEPllNS8_6detail34convert_binary_result_type_wrapperINS8_3SumESD_lEEEE10hipError_tPvRmT1_T2_T3_mT4_P12ihipStream_tbEUlT_E0_NS1_11comp_targetILNS1_3genE3ELNS1_11target_archE908ELNS1_3gpuE7ELNS1_3repE0EEENS1_30default_config_static_selectorELNS0_4arch9wavefront6targetE1EEEvSM_
	.p2align	8
	.type	_ZN7rocprim17ROCPRIM_400000_NS6detail17trampoline_kernelINS0_14default_configENS1_22reduce_config_selectorIbEEZNS1_11reduce_implILb1ES3_N6hipcub16HIPCUB_304000_NS22TransformInputIteratorIb7NonZeroIdEPdlEEPllNS8_6detail34convert_binary_result_type_wrapperINS8_3SumESD_lEEEE10hipError_tPvRmT1_T2_T3_mT4_P12ihipStream_tbEUlT_E0_NS1_11comp_targetILNS1_3genE3ELNS1_11target_archE908ELNS1_3gpuE7ELNS1_3repE0EEENS1_30default_config_static_selectorELNS0_4arch9wavefront6targetE1EEEvSM_,@function
_ZN7rocprim17ROCPRIM_400000_NS6detail17trampoline_kernelINS0_14default_configENS1_22reduce_config_selectorIbEEZNS1_11reduce_implILb1ES3_N6hipcub16HIPCUB_304000_NS22TransformInputIteratorIb7NonZeroIdEPdlEEPllNS8_6detail34convert_binary_result_type_wrapperINS8_3SumESD_lEEEE10hipError_tPvRmT1_T2_T3_mT4_P12ihipStream_tbEUlT_E0_NS1_11comp_targetILNS1_3genE3ELNS1_11target_archE908ELNS1_3gpuE7ELNS1_3repE0EEENS1_30default_config_static_selectorELNS0_4arch9wavefront6targetE1EEEvSM_: ; @_ZN7rocprim17ROCPRIM_400000_NS6detail17trampoline_kernelINS0_14default_configENS1_22reduce_config_selectorIbEEZNS1_11reduce_implILb1ES3_N6hipcub16HIPCUB_304000_NS22TransformInputIteratorIb7NonZeroIdEPdlEEPllNS8_6detail34convert_binary_result_type_wrapperINS8_3SumESD_lEEEE10hipError_tPvRmT1_T2_T3_mT4_P12ihipStream_tbEUlT_E0_NS1_11comp_targetILNS1_3genE3ELNS1_11target_archE908ELNS1_3gpuE7ELNS1_3repE0EEENS1_30default_config_static_selectorELNS0_4arch9wavefront6targetE1EEEvSM_
; %bb.0:
	.section	.rodata,"a",@progbits
	.p2align	6, 0x0
	.amdhsa_kernel _ZN7rocprim17ROCPRIM_400000_NS6detail17trampoline_kernelINS0_14default_configENS1_22reduce_config_selectorIbEEZNS1_11reduce_implILb1ES3_N6hipcub16HIPCUB_304000_NS22TransformInputIteratorIb7NonZeroIdEPdlEEPllNS8_6detail34convert_binary_result_type_wrapperINS8_3SumESD_lEEEE10hipError_tPvRmT1_T2_T3_mT4_P12ihipStream_tbEUlT_E0_NS1_11comp_targetILNS1_3genE3ELNS1_11target_archE908ELNS1_3gpuE7ELNS1_3repE0EEENS1_30default_config_static_selectorELNS0_4arch9wavefront6targetE1EEEvSM_
		.amdhsa_group_segment_fixed_size 0
		.amdhsa_private_segment_fixed_size 0
		.amdhsa_kernarg_size 72
		.amdhsa_user_sgpr_count 2
		.amdhsa_user_sgpr_dispatch_ptr 0
		.amdhsa_user_sgpr_queue_ptr 0
		.amdhsa_user_sgpr_kernarg_segment_ptr 1
		.amdhsa_user_sgpr_dispatch_id 0
		.amdhsa_user_sgpr_kernarg_preload_length 0
		.amdhsa_user_sgpr_kernarg_preload_offset 0
		.amdhsa_user_sgpr_private_segment_size 0
		.amdhsa_uses_dynamic_stack 0
		.amdhsa_enable_private_segment 0
		.amdhsa_system_sgpr_workgroup_id_x 1
		.amdhsa_system_sgpr_workgroup_id_y 0
		.amdhsa_system_sgpr_workgroup_id_z 0
		.amdhsa_system_sgpr_workgroup_info 0
		.amdhsa_system_vgpr_workitem_id 0
		.amdhsa_next_free_vgpr 1
		.amdhsa_next_free_sgpr 0
		.amdhsa_accum_offset 4
		.amdhsa_reserve_vcc 0
		.amdhsa_float_round_mode_32 0
		.amdhsa_float_round_mode_16_64 0
		.amdhsa_float_denorm_mode_32 3
		.amdhsa_float_denorm_mode_16_64 3
		.amdhsa_dx10_clamp 1
		.amdhsa_ieee_mode 1
		.amdhsa_fp16_overflow 0
		.amdhsa_tg_split 0
		.amdhsa_exception_fp_ieee_invalid_op 0
		.amdhsa_exception_fp_denorm_src 0
		.amdhsa_exception_fp_ieee_div_zero 0
		.amdhsa_exception_fp_ieee_overflow 0
		.amdhsa_exception_fp_ieee_underflow 0
		.amdhsa_exception_fp_ieee_inexact 0
		.amdhsa_exception_int_div_zero 0
	.end_amdhsa_kernel
	.section	.text._ZN7rocprim17ROCPRIM_400000_NS6detail17trampoline_kernelINS0_14default_configENS1_22reduce_config_selectorIbEEZNS1_11reduce_implILb1ES3_N6hipcub16HIPCUB_304000_NS22TransformInputIteratorIb7NonZeroIdEPdlEEPllNS8_6detail34convert_binary_result_type_wrapperINS8_3SumESD_lEEEE10hipError_tPvRmT1_T2_T3_mT4_P12ihipStream_tbEUlT_E0_NS1_11comp_targetILNS1_3genE3ELNS1_11target_archE908ELNS1_3gpuE7ELNS1_3repE0EEENS1_30default_config_static_selectorELNS0_4arch9wavefront6targetE1EEEvSM_,"axG",@progbits,_ZN7rocprim17ROCPRIM_400000_NS6detail17trampoline_kernelINS0_14default_configENS1_22reduce_config_selectorIbEEZNS1_11reduce_implILb1ES3_N6hipcub16HIPCUB_304000_NS22TransformInputIteratorIb7NonZeroIdEPdlEEPllNS8_6detail34convert_binary_result_type_wrapperINS8_3SumESD_lEEEE10hipError_tPvRmT1_T2_T3_mT4_P12ihipStream_tbEUlT_E0_NS1_11comp_targetILNS1_3genE3ELNS1_11target_archE908ELNS1_3gpuE7ELNS1_3repE0EEENS1_30default_config_static_selectorELNS0_4arch9wavefront6targetE1EEEvSM_,comdat
.Lfunc_end306:
	.size	_ZN7rocprim17ROCPRIM_400000_NS6detail17trampoline_kernelINS0_14default_configENS1_22reduce_config_selectorIbEEZNS1_11reduce_implILb1ES3_N6hipcub16HIPCUB_304000_NS22TransformInputIteratorIb7NonZeroIdEPdlEEPllNS8_6detail34convert_binary_result_type_wrapperINS8_3SumESD_lEEEE10hipError_tPvRmT1_T2_T3_mT4_P12ihipStream_tbEUlT_E0_NS1_11comp_targetILNS1_3genE3ELNS1_11target_archE908ELNS1_3gpuE7ELNS1_3repE0EEENS1_30default_config_static_selectorELNS0_4arch9wavefront6targetE1EEEvSM_, .Lfunc_end306-_ZN7rocprim17ROCPRIM_400000_NS6detail17trampoline_kernelINS0_14default_configENS1_22reduce_config_selectorIbEEZNS1_11reduce_implILb1ES3_N6hipcub16HIPCUB_304000_NS22TransformInputIteratorIb7NonZeroIdEPdlEEPllNS8_6detail34convert_binary_result_type_wrapperINS8_3SumESD_lEEEE10hipError_tPvRmT1_T2_T3_mT4_P12ihipStream_tbEUlT_E0_NS1_11comp_targetILNS1_3genE3ELNS1_11target_archE908ELNS1_3gpuE7ELNS1_3repE0EEENS1_30default_config_static_selectorELNS0_4arch9wavefront6targetE1EEEvSM_
                                        ; -- End function
	.set _ZN7rocprim17ROCPRIM_400000_NS6detail17trampoline_kernelINS0_14default_configENS1_22reduce_config_selectorIbEEZNS1_11reduce_implILb1ES3_N6hipcub16HIPCUB_304000_NS22TransformInputIteratorIb7NonZeroIdEPdlEEPllNS8_6detail34convert_binary_result_type_wrapperINS8_3SumESD_lEEEE10hipError_tPvRmT1_T2_T3_mT4_P12ihipStream_tbEUlT_E0_NS1_11comp_targetILNS1_3genE3ELNS1_11target_archE908ELNS1_3gpuE7ELNS1_3repE0EEENS1_30default_config_static_selectorELNS0_4arch9wavefront6targetE1EEEvSM_.num_vgpr, 0
	.set _ZN7rocprim17ROCPRIM_400000_NS6detail17trampoline_kernelINS0_14default_configENS1_22reduce_config_selectorIbEEZNS1_11reduce_implILb1ES3_N6hipcub16HIPCUB_304000_NS22TransformInputIteratorIb7NonZeroIdEPdlEEPllNS8_6detail34convert_binary_result_type_wrapperINS8_3SumESD_lEEEE10hipError_tPvRmT1_T2_T3_mT4_P12ihipStream_tbEUlT_E0_NS1_11comp_targetILNS1_3genE3ELNS1_11target_archE908ELNS1_3gpuE7ELNS1_3repE0EEENS1_30default_config_static_selectorELNS0_4arch9wavefront6targetE1EEEvSM_.num_agpr, 0
	.set _ZN7rocprim17ROCPRIM_400000_NS6detail17trampoline_kernelINS0_14default_configENS1_22reduce_config_selectorIbEEZNS1_11reduce_implILb1ES3_N6hipcub16HIPCUB_304000_NS22TransformInputIteratorIb7NonZeroIdEPdlEEPllNS8_6detail34convert_binary_result_type_wrapperINS8_3SumESD_lEEEE10hipError_tPvRmT1_T2_T3_mT4_P12ihipStream_tbEUlT_E0_NS1_11comp_targetILNS1_3genE3ELNS1_11target_archE908ELNS1_3gpuE7ELNS1_3repE0EEENS1_30default_config_static_selectorELNS0_4arch9wavefront6targetE1EEEvSM_.numbered_sgpr, 0
	.set _ZN7rocprim17ROCPRIM_400000_NS6detail17trampoline_kernelINS0_14default_configENS1_22reduce_config_selectorIbEEZNS1_11reduce_implILb1ES3_N6hipcub16HIPCUB_304000_NS22TransformInputIteratorIb7NonZeroIdEPdlEEPllNS8_6detail34convert_binary_result_type_wrapperINS8_3SumESD_lEEEE10hipError_tPvRmT1_T2_T3_mT4_P12ihipStream_tbEUlT_E0_NS1_11comp_targetILNS1_3genE3ELNS1_11target_archE908ELNS1_3gpuE7ELNS1_3repE0EEENS1_30default_config_static_selectorELNS0_4arch9wavefront6targetE1EEEvSM_.num_named_barrier, 0
	.set _ZN7rocprim17ROCPRIM_400000_NS6detail17trampoline_kernelINS0_14default_configENS1_22reduce_config_selectorIbEEZNS1_11reduce_implILb1ES3_N6hipcub16HIPCUB_304000_NS22TransformInputIteratorIb7NonZeroIdEPdlEEPllNS8_6detail34convert_binary_result_type_wrapperINS8_3SumESD_lEEEE10hipError_tPvRmT1_T2_T3_mT4_P12ihipStream_tbEUlT_E0_NS1_11comp_targetILNS1_3genE3ELNS1_11target_archE908ELNS1_3gpuE7ELNS1_3repE0EEENS1_30default_config_static_selectorELNS0_4arch9wavefront6targetE1EEEvSM_.private_seg_size, 0
	.set _ZN7rocprim17ROCPRIM_400000_NS6detail17trampoline_kernelINS0_14default_configENS1_22reduce_config_selectorIbEEZNS1_11reduce_implILb1ES3_N6hipcub16HIPCUB_304000_NS22TransformInputIteratorIb7NonZeroIdEPdlEEPllNS8_6detail34convert_binary_result_type_wrapperINS8_3SumESD_lEEEE10hipError_tPvRmT1_T2_T3_mT4_P12ihipStream_tbEUlT_E0_NS1_11comp_targetILNS1_3genE3ELNS1_11target_archE908ELNS1_3gpuE7ELNS1_3repE0EEENS1_30default_config_static_selectorELNS0_4arch9wavefront6targetE1EEEvSM_.uses_vcc, 0
	.set _ZN7rocprim17ROCPRIM_400000_NS6detail17trampoline_kernelINS0_14default_configENS1_22reduce_config_selectorIbEEZNS1_11reduce_implILb1ES3_N6hipcub16HIPCUB_304000_NS22TransformInputIteratorIb7NonZeroIdEPdlEEPllNS8_6detail34convert_binary_result_type_wrapperINS8_3SumESD_lEEEE10hipError_tPvRmT1_T2_T3_mT4_P12ihipStream_tbEUlT_E0_NS1_11comp_targetILNS1_3genE3ELNS1_11target_archE908ELNS1_3gpuE7ELNS1_3repE0EEENS1_30default_config_static_selectorELNS0_4arch9wavefront6targetE1EEEvSM_.uses_flat_scratch, 0
	.set _ZN7rocprim17ROCPRIM_400000_NS6detail17trampoline_kernelINS0_14default_configENS1_22reduce_config_selectorIbEEZNS1_11reduce_implILb1ES3_N6hipcub16HIPCUB_304000_NS22TransformInputIteratorIb7NonZeroIdEPdlEEPllNS8_6detail34convert_binary_result_type_wrapperINS8_3SumESD_lEEEE10hipError_tPvRmT1_T2_T3_mT4_P12ihipStream_tbEUlT_E0_NS1_11comp_targetILNS1_3genE3ELNS1_11target_archE908ELNS1_3gpuE7ELNS1_3repE0EEENS1_30default_config_static_selectorELNS0_4arch9wavefront6targetE1EEEvSM_.has_dyn_sized_stack, 0
	.set _ZN7rocprim17ROCPRIM_400000_NS6detail17trampoline_kernelINS0_14default_configENS1_22reduce_config_selectorIbEEZNS1_11reduce_implILb1ES3_N6hipcub16HIPCUB_304000_NS22TransformInputIteratorIb7NonZeroIdEPdlEEPllNS8_6detail34convert_binary_result_type_wrapperINS8_3SumESD_lEEEE10hipError_tPvRmT1_T2_T3_mT4_P12ihipStream_tbEUlT_E0_NS1_11comp_targetILNS1_3genE3ELNS1_11target_archE908ELNS1_3gpuE7ELNS1_3repE0EEENS1_30default_config_static_selectorELNS0_4arch9wavefront6targetE1EEEvSM_.has_recursion, 0
	.set _ZN7rocprim17ROCPRIM_400000_NS6detail17trampoline_kernelINS0_14default_configENS1_22reduce_config_selectorIbEEZNS1_11reduce_implILb1ES3_N6hipcub16HIPCUB_304000_NS22TransformInputIteratorIb7NonZeroIdEPdlEEPllNS8_6detail34convert_binary_result_type_wrapperINS8_3SumESD_lEEEE10hipError_tPvRmT1_T2_T3_mT4_P12ihipStream_tbEUlT_E0_NS1_11comp_targetILNS1_3genE3ELNS1_11target_archE908ELNS1_3gpuE7ELNS1_3repE0EEENS1_30default_config_static_selectorELNS0_4arch9wavefront6targetE1EEEvSM_.has_indirect_call, 0
	.section	.AMDGPU.csdata,"",@progbits
; Kernel info:
; codeLenInByte = 0
; TotalNumSgprs: 6
; NumVgprs: 0
; NumAgprs: 0
; TotalNumVgprs: 0
; ScratchSize: 0
; MemoryBound: 0
; FloatMode: 240
; IeeeMode: 1
; LDSByteSize: 0 bytes/workgroup (compile time only)
; SGPRBlocks: 0
; VGPRBlocks: 0
; NumSGPRsForWavesPerEU: 6
; NumVGPRsForWavesPerEU: 1
; AccumOffset: 4
; Occupancy: 8
; WaveLimiterHint : 0
; COMPUTE_PGM_RSRC2:SCRATCH_EN: 0
; COMPUTE_PGM_RSRC2:USER_SGPR: 2
; COMPUTE_PGM_RSRC2:TRAP_HANDLER: 0
; COMPUTE_PGM_RSRC2:TGID_X_EN: 1
; COMPUTE_PGM_RSRC2:TGID_Y_EN: 0
; COMPUTE_PGM_RSRC2:TGID_Z_EN: 0
; COMPUTE_PGM_RSRC2:TIDIG_COMP_CNT: 0
; COMPUTE_PGM_RSRC3_GFX90A:ACCUM_OFFSET: 0
; COMPUTE_PGM_RSRC3_GFX90A:TG_SPLIT: 0
	.section	.text._ZN7rocprim17ROCPRIM_400000_NS6detail17trampoline_kernelINS0_14default_configENS1_22reduce_config_selectorIbEEZNS1_11reduce_implILb1ES3_N6hipcub16HIPCUB_304000_NS22TransformInputIteratorIb7NonZeroIdEPdlEEPllNS8_6detail34convert_binary_result_type_wrapperINS8_3SumESD_lEEEE10hipError_tPvRmT1_T2_T3_mT4_P12ihipStream_tbEUlT_E0_NS1_11comp_targetILNS1_3genE2ELNS1_11target_archE906ELNS1_3gpuE6ELNS1_3repE0EEENS1_30default_config_static_selectorELNS0_4arch9wavefront6targetE1EEEvSM_,"axG",@progbits,_ZN7rocprim17ROCPRIM_400000_NS6detail17trampoline_kernelINS0_14default_configENS1_22reduce_config_selectorIbEEZNS1_11reduce_implILb1ES3_N6hipcub16HIPCUB_304000_NS22TransformInputIteratorIb7NonZeroIdEPdlEEPllNS8_6detail34convert_binary_result_type_wrapperINS8_3SumESD_lEEEE10hipError_tPvRmT1_T2_T3_mT4_P12ihipStream_tbEUlT_E0_NS1_11comp_targetILNS1_3genE2ELNS1_11target_archE906ELNS1_3gpuE6ELNS1_3repE0EEENS1_30default_config_static_selectorELNS0_4arch9wavefront6targetE1EEEvSM_,comdat
	.protected	_ZN7rocprim17ROCPRIM_400000_NS6detail17trampoline_kernelINS0_14default_configENS1_22reduce_config_selectorIbEEZNS1_11reduce_implILb1ES3_N6hipcub16HIPCUB_304000_NS22TransformInputIteratorIb7NonZeroIdEPdlEEPllNS8_6detail34convert_binary_result_type_wrapperINS8_3SumESD_lEEEE10hipError_tPvRmT1_T2_T3_mT4_P12ihipStream_tbEUlT_E0_NS1_11comp_targetILNS1_3genE2ELNS1_11target_archE906ELNS1_3gpuE6ELNS1_3repE0EEENS1_30default_config_static_selectorELNS0_4arch9wavefront6targetE1EEEvSM_ ; -- Begin function _ZN7rocprim17ROCPRIM_400000_NS6detail17trampoline_kernelINS0_14default_configENS1_22reduce_config_selectorIbEEZNS1_11reduce_implILb1ES3_N6hipcub16HIPCUB_304000_NS22TransformInputIteratorIb7NonZeroIdEPdlEEPllNS8_6detail34convert_binary_result_type_wrapperINS8_3SumESD_lEEEE10hipError_tPvRmT1_T2_T3_mT4_P12ihipStream_tbEUlT_E0_NS1_11comp_targetILNS1_3genE2ELNS1_11target_archE906ELNS1_3gpuE6ELNS1_3repE0EEENS1_30default_config_static_selectorELNS0_4arch9wavefront6targetE1EEEvSM_
	.globl	_ZN7rocprim17ROCPRIM_400000_NS6detail17trampoline_kernelINS0_14default_configENS1_22reduce_config_selectorIbEEZNS1_11reduce_implILb1ES3_N6hipcub16HIPCUB_304000_NS22TransformInputIteratorIb7NonZeroIdEPdlEEPllNS8_6detail34convert_binary_result_type_wrapperINS8_3SumESD_lEEEE10hipError_tPvRmT1_T2_T3_mT4_P12ihipStream_tbEUlT_E0_NS1_11comp_targetILNS1_3genE2ELNS1_11target_archE906ELNS1_3gpuE6ELNS1_3repE0EEENS1_30default_config_static_selectorELNS0_4arch9wavefront6targetE1EEEvSM_
	.p2align	8
	.type	_ZN7rocprim17ROCPRIM_400000_NS6detail17trampoline_kernelINS0_14default_configENS1_22reduce_config_selectorIbEEZNS1_11reduce_implILb1ES3_N6hipcub16HIPCUB_304000_NS22TransformInputIteratorIb7NonZeroIdEPdlEEPllNS8_6detail34convert_binary_result_type_wrapperINS8_3SumESD_lEEEE10hipError_tPvRmT1_T2_T3_mT4_P12ihipStream_tbEUlT_E0_NS1_11comp_targetILNS1_3genE2ELNS1_11target_archE906ELNS1_3gpuE6ELNS1_3repE0EEENS1_30default_config_static_selectorELNS0_4arch9wavefront6targetE1EEEvSM_,@function
_ZN7rocprim17ROCPRIM_400000_NS6detail17trampoline_kernelINS0_14default_configENS1_22reduce_config_selectorIbEEZNS1_11reduce_implILb1ES3_N6hipcub16HIPCUB_304000_NS22TransformInputIteratorIb7NonZeroIdEPdlEEPllNS8_6detail34convert_binary_result_type_wrapperINS8_3SumESD_lEEEE10hipError_tPvRmT1_T2_T3_mT4_P12ihipStream_tbEUlT_E0_NS1_11comp_targetILNS1_3genE2ELNS1_11target_archE906ELNS1_3gpuE6ELNS1_3repE0EEENS1_30default_config_static_selectorELNS0_4arch9wavefront6targetE1EEEvSM_: ; @_ZN7rocprim17ROCPRIM_400000_NS6detail17trampoline_kernelINS0_14default_configENS1_22reduce_config_selectorIbEEZNS1_11reduce_implILb1ES3_N6hipcub16HIPCUB_304000_NS22TransformInputIteratorIb7NonZeroIdEPdlEEPllNS8_6detail34convert_binary_result_type_wrapperINS8_3SumESD_lEEEE10hipError_tPvRmT1_T2_T3_mT4_P12ihipStream_tbEUlT_E0_NS1_11comp_targetILNS1_3genE2ELNS1_11target_archE906ELNS1_3gpuE6ELNS1_3repE0EEENS1_30default_config_static_selectorELNS0_4arch9wavefront6targetE1EEEvSM_
; %bb.0:
	.section	.rodata,"a",@progbits
	.p2align	6, 0x0
	.amdhsa_kernel _ZN7rocprim17ROCPRIM_400000_NS6detail17trampoline_kernelINS0_14default_configENS1_22reduce_config_selectorIbEEZNS1_11reduce_implILb1ES3_N6hipcub16HIPCUB_304000_NS22TransformInputIteratorIb7NonZeroIdEPdlEEPllNS8_6detail34convert_binary_result_type_wrapperINS8_3SumESD_lEEEE10hipError_tPvRmT1_T2_T3_mT4_P12ihipStream_tbEUlT_E0_NS1_11comp_targetILNS1_3genE2ELNS1_11target_archE906ELNS1_3gpuE6ELNS1_3repE0EEENS1_30default_config_static_selectorELNS0_4arch9wavefront6targetE1EEEvSM_
		.amdhsa_group_segment_fixed_size 0
		.amdhsa_private_segment_fixed_size 0
		.amdhsa_kernarg_size 72
		.amdhsa_user_sgpr_count 2
		.amdhsa_user_sgpr_dispatch_ptr 0
		.amdhsa_user_sgpr_queue_ptr 0
		.amdhsa_user_sgpr_kernarg_segment_ptr 1
		.amdhsa_user_sgpr_dispatch_id 0
		.amdhsa_user_sgpr_kernarg_preload_length 0
		.amdhsa_user_sgpr_kernarg_preload_offset 0
		.amdhsa_user_sgpr_private_segment_size 0
		.amdhsa_uses_dynamic_stack 0
		.amdhsa_enable_private_segment 0
		.amdhsa_system_sgpr_workgroup_id_x 1
		.amdhsa_system_sgpr_workgroup_id_y 0
		.amdhsa_system_sgpr_workgroup_id_z 0
		.amdhsa_system_sgpr_workgroup_info 0
		.amdhsa_system_vgpr_workitem_id 0
		.amdhsa_next_free_vgpr 1
		.amdhsa_next_free_sgpr 0
		.amdhsa_accum_offset 4
		.amdhsa_reserve_vcc 0
		.amdhsa_float_round_mode_32 0
		.amdhsa_float_round_mode_16_64 0
		.amdhsa_float_denorm_mode_32 3
		.amdhsa_float_denorm_mode_16_64 3
		.amdhsa_dx10_clamp 1
		.amdhsa_ieee_mode 1
		.amdhsa_fp16_overflow 0
		.amdhsa_tg_split 0
		.amdhsa_exception_fp_ieee_invalid_op 0
		.amdhsa_exception_fp_denorm_src 0
		.amdhsa_exception_fp_ieee_div_zero 0
		.amdhsa_exception_fp_ieee_overflow 0
		.amdhsa_exception_fp_ieee_underflow 0
		.amdhsa_exception_fp_ieee_inexact 0
		.amdhsa_exception_int_div_zero 0
	.end_amdhsa_kernel
	.section	.text._ZN7rocprim17ROCPRIM_400000_NS6detail17trampoline_kernelINS0_14default_configENS1_22reduce_config_selectorIbEEZNS1_11reduce_implILb1ES3_N6hipcub16HIPCUB_304000_NS22TransformInputIteratorIb7NonZeroIdEPdlEEPllNS8_6detail34convert_binary_result_type_wrapperINS8_3SumESD_lEEEE10hipError_tPvRmT1_T2_T3_mT4_P12ihipStream_tbEUlT_E0_NS1_11comp_targetILNS1_3genE2ELNS1_11target_archE906ELNS1_3gpuE6ELNS1_3repE0EEENS1_30default_config_static_selectorELNS0_4arch9wavefront6targetE1EEEvSM_,"axG",@progbits,_ZN7rocprim17ROCPRIM_400000_NS6detail17trampoline_kernelINS0_14default_configENS1_22reduce_config_selectorIbEEZNS1_11reduce_implILb1ES3_N6hipcub16HIPCUB_304000_NS22TransformInputIteratorIb7NonZeroIdEPdlEEPllNS8_6detail34convert_binary_result_type_wrapperINS8_3SumESD_lEEEE10hipError_tPvRmT1_T2_T3_mT4_P12ihipStream_tbEUlT_E0_NS1_11comp_targetILNS1_3genE2ELNS1_11target_archE906ELNS1_3gpuE6ELNS1_3repE0EEENS1_30default_config_static_selectorELNS0_4arch9wavefront6targetE1EEEvSM_,comdat
.Lfunc_end307:
	.size	_ZN7rocprim17ROCPRIM_400000_NS6detail17trampoline_kernelINS0_14default_configENS1_22reduce_config_selectorIbEEZNS1_11reduce_implILb1ES3_N6hipcub16HIPCUB_304000_NS22TransformInputIteratorIb7NonZeroIdEPdlEEPllNS8_6detail34convert_binary_result_type_wrapperINS8_3SumESD_lEEEE10hipError_tPvRmT1_T2_T3_mT4_P12ihipStream_tbEUlT_E0_NS1_11comp_targetILNS1_3genE2ELNS1_11target_archE906ELNS1_3gpuE6ELNS1_3repE0EEENS1_30default_config_static_selectorELNS0_4arch9wavefront6targetE1EEEvSM_, .Lfunc_end307-_ZN7rocprim17ROCPRIM_400000_NS6detail17trampoline_kernelINS0_14default_configENS1_22reduce_config_selectorIbEEZNS1_11reduce_implILb1ES3_N6hipcub16HIPCUB_304000_NS22TransformInputIteratorIb7NonZeroIdEPdlEEPllNS8_6detail34convert_binary_result_type_wrapperINS8_3SumESD_lEEEE10hipError_tPvRmT1_T2_T3_mT4_P12ihipStream_tbEUlT_E0_NS1_11comp_targetILNS1_3genE2ELNS1_11target_archE906ELNS1_3gpuE6ELNS1_3repE0EEENS1_30default_config_static_selectorELNS0_4arch9wavefront6targetE1EEEvSM_
                                        ; -- End function
	.set _ZN7rocprim17ROCPRIM_400000_NS6detail17trampoline_kernelINS0_14default_configENS1_22reduce_config_selectorIbEEZNS1_11reduce_implILb1ES3_N6hipcub16HIPCUB_304000_NS22TransformInputIteratorIb7NonZeroIdEPdlEEPllNS8_6detail34convert_binary_result_type_wrapperINS8_3SumESD_lEEEE10hipError_tPvRmT1_T2_T3_mT4_P12ihipStream_tbEUlT_E0_NS1_11comp_targetILNS1_3genE2ELNS1_11target_archE906ELNS1_3gpuE6ELNS1_3repE0EEENS1_30default_config_static_selectorELNS0_4arch9wavefront6targetE1EEEvSM_.num_vgpr, 0
	.set _ZN7rocprim17ROCPRIM_400000_NS6detail17trampoline_kernelINS0_14default_configENS1_22reduce_config_selectorIbEEZNS1_11reduce_implILb1ES3_N6hipcub16HIPCUB_304000_NS22TransformInputIteratorIb7NonZeroIdEPdlEEPllNS8_6detail34convert_binary_result_type_wrapperINS8_3SumESD_lEEEE10hipError_tPvRmT1_T2_T3_mT4_P12ihipStream_tbEUlT_E0_NS1_11comp_targetILNS1_3genE2ELNS1_11target_archE906ELNS1_3gpuE6ELNS1_3repE0EEENS1_30default_config_static_selectorELNS0_4arch9wavefront6targetE1EEEvSM_.num_agpr, 0
	.set _ZN7rocprim17ROCPRIM_400000_NS6detail17trampoline_kernelINS0_14default_configENS1_22reduce_config_selectorIbEEZNS1_11reduce_implILb1ES3_N6hipcub16HIPCUB_304000_NS22TransformInputIteratorIb7NonZeroIdEPdlEEPllNS8_6detail34convert_binary_result_type_wrapperINS8_3SumESD_lEEEE10hipError_tPvRmT1_T2_T3_mT4_P12ihipStream_tbEUlT_E0_NS1_11comp_targetILNS1_3genE2ELNS1_11target_archE906ELNS1_3gpuE6ELNS1_3repE0EEENS1_30default_config_static_selectorELNS0_4arch9wavefront6targetE1EEEvSM_.numbered_sgpr, 0
	.set _ZN7rocprim17ROCPRIM_400000_NS6detail17trampoline_kernelINS0_14default_configENS1_22reduce_config_selectorIbEEZNS1_11reduce_implILb1ES3_N6hipcub16HIPCUB_304000_NS22TransformInputIteratorIb7NonZeroIdEPdlEEPllNS8_6detail34convert_binary_result_type_wrapperINS8_3SumESD_lEEEE10hipError_tPvRmT1_T2_T3_mT4_P12ihipStream_tbEUlT_E0_NS1_11comp_targetILNS1_3genE2ELNS1_11target_archE906ELNS1_3gpuE6ELNS1_3repE0EEENS1_30default_config_static_selectorELNS0_4arch9wavefront6targetE1EEEvSM_.num_named_barrier, 0
	.set _ZN7rocprim17ROCPRIM_400000_NS6detail17trampoline_kernelINS0_14default_configENS1_22reduce_config_selectorIbEEZNS1_11reduce_implILb1ES3_N6hipcub16HIPCUB_304000_NS22TransformInputIteratorIb7NonZeroIdEPdlEEPllNS8_6detail34convert_binary_result_type_wrapperINS8_3SumESD_lEEEE10hipError_tPvRmT1_T2_T3_mT4_P12ihipStream_tbEUlT_E0_NS1_11comp_targetILNS1_3genE2ELNS1_11target_archE906ELNS1_3gpuE6ELNS1_3repE0EEENS1_30default_config_static_selectorELNS0_4arch9wavefront6targetE1EEEvSM_.private_seg_size, 0
	.set _ZN7rocprim17ROCPRIM_400000_NS6detail17trampoline_kernelINS0_14default_configENS1_22reduce_config_selectorIbEEZNS1_11reduce_implILb1ES3_N6hipcub16HIPCUB_304000_NS22TransformInputIteratorIb7NonZeroIdEPdlEEPllNS8_6detail34convert_binary_result_type_wrapperINS8_3SumESD_lEEEE10hipError_tPvRmT1_T2_T3_mT4_P12ihipStream_tbEUlT_E0_NS1_11comp_targetILNS1_3genE2ELNS1_11target_archE906ELNS1_3gpuE6ELNS1_3repE0EEENS1_30default_config_static_selectorELNS0_4arch9wavefront6targetE1EEEvSM_.uses_vcc, 0
	.set _ZN7rocprim17ROCPRIM_400000_NS6detail17trampoline_kernelINS0_14default_configENS1_22reduce_config_selectorIbEEZNS1_11reduce_implILb1ES3_N6hipcub16HIPCUB_304000_NS22TransformInputIteratorIb7NonZeroIdEPdlEEPllNS8_6detail34convert_binary_result_type_wrapperINS8_3SumESD_lEEEE10hipError_tPvRmT1_T2_T3_mT4_P12ihipStream_tbEUlT_E0_NS1_11comp_targetILNS1_3genE2ELNS1_11target_archE906ELNS1_3gpuE6ELNS1_3repE0EEENS1_30default_config_static_selectorELNS0_4arch9wavefront6targetE1EEEvSM_.uses_flat_scratch, 0
	.set _ZN7rocprim17ROCPRIM_400000_NS6detail17trampoline_kernelINS0_14default_configENS1_22reduce_config_selectorIbEEZNS1_11reduce_implILb1ES3_N6hipcub16HIPCUB_304000_NS22TransformInputIteratorIb7NonZeroIdEPdlEEPllNS8_6detail34convert_binary_result_type_wrapperINS8_3SumESD_lEEEE10hipError_tPvRmT1_T2_T3_mT4_P12ihipStream_tbEUlT_E0_NS1_11comp_targetILNS1_3genE2ELNS1_11target_archE906ELNS1_3gpuE6ELNS1_3repE0EEENS1_30default_config_static_selectorELNS0_4arch9wavefront6targetE1EEEvSM_.has_dyn_sized_stack, 0
	.set _ZN7rocprim17ROCPRIM_400000_NS6detail17trampoline_kernelINS0_14default_configENS1_22reduce_config_selectorIbEEZNS1_11reduce_implILb1ES3_N6hipcub16HIPCUB_304000_NS22TransformInputIteratorIb7NonZeroIdEPdlEEPllNS8_6detail34convert_binary_result_type_wrapperINS8_3SumESD_lEEEE10hipError_tPvRmT1_T2_T3_mT4_P12ihipStream_tbEUlT_E0_NS1_11comp_targetILNS1_3genE2ELNS1_11target_archE906ELNS1_3gpuE6ELNS1_3repE0EEENS1_30default_config_static_selectorELNS0_4arch9wavefront6targetE1EEEvSM_.has_recursion, 0
	.set _ZN7rocprim17ROCPRIM_400000_NS6detail17trampoline_kernelINS0_14default_configENS1_22reduce_config_selectorIbEEZNS1_11reduce_implILb1ES3_N6hipcub16HIPCUB_304000_NS22TransformInputIteratorIb7NonZeroIdEPdlEEPllNS8_6detail34convert_binary_result_type_wrapperINS8_3SumESD_lEEEE10hipError_tPvRmT1_T2_T3_mT4_P12ihipStream_tbEUlT_E0_NS1_11comp_targetILNS1_3genE2ELNS1_11target_archE906ELNS1_3gpuE6ELNS1_3repE0EEENS1_30default_config_static_selectorELNS0_4arch9wavefront6targetE1EEEvSM_.has_indirect_call, 0
	.section	.AMDGPU.csdata,"",@progbits
; Kernel info:
; codeLenInByte = 0
; TotalNumSgprs: 6
; NumVgprs: 0
; NumAgprs: 0
; TotalNumVgprs: 0
; ScratchSize: 0
; MemoryBound: 0
; FloatMode: 240
; IeeeMode: 1
; LDSByteSize: 0 bytes/workgroup (compile time only)
; SGPRBlocks: 0
; VGPRBlocks: 0
; NumSGPRsForWavesPerEU: 6
; NumVGPRsForWavesPerEU: 1
; AccumOffset: 4
; Occupancy: 8
; WaveLimiterHint : 0
; COMPUTE_PGM_RSRC2:SCRATCH_EN: 0
; COMPUTE_PGM_RSRC2:USER_SGPR: 2
; COMPUTE_PGM_RSRC2:TRAP_HANDLER: 0
; COMPUTE_PGM_RSRC2:TGID_X_EN: 1
; COMPUTE_PGM_RSRC2:TGID_Y_EN: 0
; COMPUTE_PGM_RSRC2:TGID_Z_EN: 0
; COMPUTE_PGM_RSRC2:TIDIG_COMP_CNT: 0
; COMPUTE_PGM_RSRC3_GFX90A:ACCUM_OFFSET: 0
; COMPUTE_PGM_RSRC3_GFX90A:TG_SPLIT: 0
	.section	.text._ZN7rocprim17ROCPRIM_400000_NS6detail17trampoline_kernelINS0_14default_configENS1_22reduce_config_selectorIbEEZNS1_11reduce_implILb1ES3_N6hipcub16HIPCUB_304000_NS22TransformInputIteratorIb7NonZeroIdEPdlEEPllNS8_6detail34convert_binary_result_type_wrapperINS8_3SumESD_lEEEE10hipError_tPvRmT1_T2_T3_mT4_P12ihipStream_tbEUlT_E0_NS1_11comp_targetILNS1_3genE10ELNS1_11target_archE1201ELNS1_3gpuE5ELNS1_3repE0EEENS1_30default_config_static_selectorELNS0_4arch9wavefront6targetE1EEEvSM_,"axG",@progbits,_ZN7rocprim17ROCPRIM_400000_NS6detail17trampoline_kernelINS0_14default_configENS1_22reduce_config_selectorIbEEZNS1_11reduce_implILb1ES3_N6hipcub16HIPCUB_304000_NS22TransformInputIteratorIb7NonZeroIdEPdlEEPllNS8_6detail34convert_binary_result_type_wrapperINS8_3SumESD_lEEEE10hipError_tPvRmT1_T2_T3_mT4_P12ihipStream_tbEUlT_E0_NS1_11comp_targetILNS1_3genE10ELNS1_11target_archE1201ELNS1_3gpuE5ELNS1_3repE0EEENS1_30default_config_static_selectorELNS0_4arch9wavefront6targetE1EEEvSM_,comdat
	.protected	_ZN7rocprim17ROCPRIM_400000_NS6detail17trampoline_kernelINS0_14default_configENS1_22reduce_config_selectorIbEEZNS1_11reduce_implILb1ES3_N6hipcub16HIPCUB_304000_NS22TransformInputIteratorIb7NonZeroIdEPdlEEPllNS8_6detail34convert_binary_result_type_wrapperINS8_3SumESD_lEEEE10hipError_tPvRmT1_T2_T3_mT4_P12ihipStream_tbEUlT_E0_NS1_11comp_targetILNS1_3genE10ELNS1_11target_archE1201ELNS1_3gpuE5ELNS1_3repE0EEENS1_30default_config_static_selectorELNS0_4arch9wavefront6targetE1EEEvSM_ ; -- Begin function _ZN7rocprim17ROCPRIM_400000_NS6detail17trampoline_kernelINS0_14default_configENS1_22reduce_config_selectorIbEEZNS1_11reduce_implILb1ES3_N6hipcub16HIPCUB_304000_NS22TransformInputIteratorIb7NonZeroIdEPdlEEPllNS8_6detail34convert_binary_result_type_wrapperINS8_3SumESD_lEEEE10hipError_tPvRmT1_T2_T3_mT4_P12ihipStream_tbEUlT_E0_NS1_11comp_targetILNS1_3genE10ELNS1_11target_archE1201ELNS1_3gpuE5ELNS1_3repE0EEENS1_30default_config_static_selectorELNS0_4arch9wavefront6targetE1EEEvSM_
	.globl	_ZN7rocprim17ROCPRIM_400000_NS6detail17trampoline_kernelINS0_14default_configENS1_22reduce_config_selectorIbEEZNS1_11reduce_implILb1ES3_N6hipcub16HIPCUB_304000_NS22TransformInputIteratorIb7NonZeroIdEPdlEEPllNS8_6detail34convert_binary_result_type_wrapperINS8_3SumESD_lEEEE10hipError_tPvRmT1_T2_T3_mT4_P12ihipStream_tbEUlT_E0_NS1_11comp_targetILNS1_3genE10ELNS1_11target_archE1201ELNS1_3gpuE5ELNS1_3repE0EEENS1_30default_config_static_selectorELNS0_4arch9wavefront6targetE1EEEvSM_
	.p2align	8
	.type	_ZN7rocprim17ROCPRIM_400000_NS6detail17trampoline_kernelINS0_14default_configENS1_22reduce_config_selectorIbEEZNS1_11reduce_implILb1ES3_N6hipcub16HIPCUB_304000_NS22TransformInputIteratorIb7NonZeroIdEPdlEEPllNS8_6detail34convert_binary_result_type_wrapperINS8_3SumESD_lEEEE10hipError_tPvRmT1_T2_T3_mT4_P12ihipStream_tbEUlT_E0_NS1_11comp_targetILNS1_3genE10ELNS1_11target_archE1201ELNS1_3gpuE5ELNS1_3repE0EEENS1_30default_config_static_selectorELNS0_4arch9wavefront6targetE1EEEvSM_,@function
_ZN7rocprim17ROCPRIM_400000_NS6detail17trampoline_kernelINS0_14default_configENS1_22reduce_config_selectorIbEEZNS1_11reduce_implILb1ES3_N6hipcub16HIPCUB_304000_NS22TransformInputIteratorIb7NonZeroIdEPdlEEPllNS8_6detail34convert_binary_result_type_wrapperINS8_3SumESD_lEEEE10hipError_tPvRmT1_T2_T3_mT4_P12ihipStream_tbEUlT_E0_NS1_11comp_targetILNS1_3genE10ELNS1_11target_archE1201ELNS1_3gpuE5ELNS1_3repE0EEENS1_30default_config_static_selectorELNS0_4arch9wavefront6targetE1EEEvSM_: ; @_ZN7rocprim17ROCPRIM_400000_NS6detail17trampoline_kernelINS0_14default_configENS1_22reduce_config_selectorIbEEZNS1_11reduce_implILb1ES3_N6hipcub16HIPCUB_304000_NS22TransformInputIteratorIb7NonZeroIdEPdlEEPllNS8_6detail34convert_binary_result_type_wrapperINS8_3SumESD_lEEEE10hipError_tPvRmT1_T2_T3_mT4_P12ihipStream_tbEUlT_E0_NS1_11comp_targetILNS1_3genE10ELNS1_11target_archE1201ELNS1_3gpuE5ELNS1_3repE0EEENS1_30default_config_static_selectorELNS0_4arch9wavefront6targetE1EEEvSM_
; %bb.0:
	.section	.rodata,"a",@progbits
	.p2align	6, 0x0
	.amdhsa_kernel _ZN7rocprim17ROCPRIM_400000_NS6detail17trampoline_kernelINS0_14default_configENS1_22reduce_config_selectorIbEEZNS1_11reduce_implILb1ES3_N6hipcub16HIPCUB_304000_NS22TransformInputIteratorIb7NonZeroIdEPdlEEPllNS8_6detail34convert_binary_result_type_wrapperINS8_3SumESD_lEEEE10hipError_tPvRmT1_T2_T3_mT4_P12ihipStream_tbEUlT_E0_NS1_11comp_targetILNS1_3genE10ELNS1_11target_archE1201ELNS1_3gpuE5ELNS1_3repE0EEENS1_30default_config_static_selectorELNS0_4arch9wavefront6targetE1EEEvSM_
		.amdhsa_group_segment_fixed_size 0
		.amdhsa_private_segment_fixed_size 0
		.amdhsa_kernarg_size 72
		.amdhsa_user_sgpr_count 2
		.amdhsa_user_sgpr_dispatch_ptr 0
		.amdhsa_user_sgpr_queue_ptr 0
		.amdhsa_user_sgpr_kernarg_segment_ptr 1
		.amdhsa_user_sgpr_dispatch_id 0
		.amdhsa_user_sgpr_kernarg_preload_length 0
		.amdhsa_user_sgpr_kernarg_preload_offset 0
		.amdhsa_user_sgpr_private_segment_size 0
		.amdhsa_uses_dynamic_stack 0
		.amdhsa_enable_private_segment 0
		.amdhsa_system_sgpr_workgroup_id_x 1
		.amdhsa_system_sgpr_workgroup_id_y 0
		.amdhsa_system_sgpr_workgroup_id_z 0
		.amdhsa_system_sgpr_workgroup_info 0
		.amdhsa_system_vgpr_workitem_id 0
		.amdhsa_next_free_vgpr 1
		.amdhsa_next_free_sgpr 0
		.amdhsa_accum_offset 4
		.amdhsa_reserve_vcc 0
		.amdhsa_float_round_mode_32 0
		.amdhsa_float_round_mode_16_64 0
		.amdhsa_float_denorm_mode_32 3
		.amdhsa_float_denorm_mode_16_64 3
		.amdhsa_dx10_clamp 1
		.amdhsa_ieee_mode 1
		.amdhsa_fp16_overflow 0
		.amdhsa_tg_split 0
		.amdhsa_exception_fp_ieee_invalid_op 0
		.amdhsa_exception_fp_denorm_src 0
		.amdhsa_exception_fp_ieee_div_zero 0
		.amdhsa_exception_fp_ieee_overflow 0
		.amdhsa_exception_fp_ieee_underflow 0
		.amdhsa_exception_fp_ieee_inexact 0
		.amdhsa_exception_int_div_zero 0
	.end_amdhsa_kernel
	.section	.text._ZN7rocprim17ROCPRIM_400000_NS6detail17trampoline_kernelINS0_14default_configENS1_22reduce_config_selectorIbEEZNS1_11reduce_implILb1ES3_N6hipcub16HIPCUB_304000_NS22TransformInputIteratorIb7NonZeroIdEPdlEEPllNS8_6detail34convert_binary_result_type_wrapperINS8_3SumESD_lEEEE10hipError_tPvRmT1_T2_T3_mT4_P12ihipStream_tbEUlT_E0_NS1_11comp_targetILNS1_3genE10ELNS1_11target_archE1201ELNS1_3gpuE5ELNS1_3repE0EEENS1_30default_config_static_selectorELNS0_4arch9wavefront6targetE1EEEvSM_,"axG",@progbits,_ZN7rocprim17ROCPRIM_400000_NS6detail17trampoline_kernelINS0_14default_configENS1_22reduce_config_selectorIbEEZNS1_11reduce_implILb1ES3_N6hipcub16HIPCUB_304000_NS22TransformInputIteratorIb7NonZeroIdEPdlEEPllNS8_6detail34convert_binary_result_type_wrapperINS8_3SumESD_lEEEE10hipError_tPvRmT1_T2_T3_mT4_P12ihipStream_tbEUlT_E0_NS1_11comp_targetILNS1_3genE10ELNS1_11target_archE1201ELNS1_3gpuE5ELNS1_3repE0EEENS1_30default_config_static_selectorELNS0_4arch9wavefront6targetE1EEEvSM_,comdat
.Lfunc_end308:
	.size	_ZN7rocprim17ROCPRIM_400000_NS6detail17trampoline_kernelINS0_14default_configENS1_22reduce_config_selectorIbEEZNS1_11reduce_implILb1ES3_N6hipcub16HIPCUB_304000_NS22TransformInputIteratorIb7NonZeroIdEPdlEEPllNS8_6detail34convert_binary_result_type_wrapperINS8_3SumESD_lEEEE10hipError_tPvRmT1_T2_T3_mT4_P12ihipStream_tbEUlT_E0_NS1_11comp_targetILNS1_3genE10ELNS1_11target_archE1201ELNS1_3gpuE5ELNS1_3repE0EEENS1_30default_config_static_selectorELNS0_4arch9wavefront6targetE1EEEvSM_, .Lfunc_end308-_ZN7rocprim17ROCPRIM_400000_NS6detail17trampoline_kernelINS0_14default_configENS1_22reduce_config_selectorIbEEZNS1_11reduce_implILb1ES3_N6hipcub16HIPCUB_304000_NS22TransformInputIteratorIb7NonZeroIdEPdlEEPllNS8_6detail34convert_binary_result_type_wrapperINS8_3SumESD_lEEEE10hipError_tPvRmT1_T2_T3_mT4_P12ihipStream_tbEUlT_E0_NS1_11comp_targetILNS1_3genE10ELNS1_11target_archE1201ELNS1_3gpuE5ELNS1_3repE0EEENS1_30default_config_static_selectorELNS0_4arch9wavefront6targetE1EEEvSM_
                                        ; -- End function
	.set _ZN7rocprim17ROCPRIM_400000_NS6detail17trampoline_kernelINS0_14default_configENS1_22reduce_config_selectorIbEEZNS1_11reduce_implILb1ES3_N6hipcub16HIPCUB_304000_NS22TransformInputIteratorIb7NonZeroIdEPdlEEPllNS8_6detail34convert_binary_result_type_wrapperINS8_3SumESD_lEEEE10hipError_tPvRmT1_T2_T3_mT4_P12ihipStream_tbEUlT_E0_NS1_11comp_targetILNS1_3genE10ELNS1_11target_archE1201ELNS1_3gpuE5ELNS1_3repE0EEENS1_30default_config_static_selectorELNS0_4arch9wavefront6targetE1EEEvSM_.num_vgpr, 0
	.set _ZN7rocprim17ROCPRIM_400000_NS6detail17trampoline_kernelINS0_14default_configENS1_22reduce_config_selectorIbEEZNS1_11reduce_implILb1ES3_N6hipcub16HIPCUB_304000_NS22TransformInputIteratorIb7NonZeroIdEPdlEEPllNS8_6detail34convert_binary_result_type_wrapperINS8_3SumESD_lEEEE10hipError_tPvRmT1_T2_T3_mT4_P12ihipStream_tbEUlT_E0_NS1_11comp_targetILNS1_3genE10ELNS1_11target_archE1201ELNS1_3gpuE5ELNS1_3repE0EEENS1_30default_config_static_selectorELNS0_4arch9wavefront6targetE1EEEvSM_.num_agpr, 0
	.set _ZN7rocprim17ROCPRIM_400000_NS6detail17trampoline_kernelINS0_14default_configENS1_22reduce_config_selectorIbEEZNS1_11reduce_implILb1ES3_N6hipcub16HIPCUB_304000_NS22TransformInputIteratorIb7NonZeroIdEPdlEEPllNS8_6detail34convert_binary_result_type_wrapperINS8_3SumESD_lEEEE10hipError_tPvRmT1_T2_T3_mT4_P12ihipStream_tbEUlT_E0_NS1_11comp_targetILNS1_3genE10ELNS1_11target_archE1201ELNS1_3gpuE5ELNS1_3repE0EEENS1_30default_config_static_selectorELNS0_4arch9wavefront6targetE1EEEvSM_.numbered_sgpr, 0
	.set _ZN7rocprim17ROCPRIM_400000_NS6detail17trampoline_kernelINS0_14default_configENS1_22reduce_config_selectorIbEEZNS1_11reduce_implILb1ES3_N6hipcub16HIPCUB_304000_NS22TransformInputIteratorIb7NonZeroIdEPdlEEPllNS8_6detail34convert_binary_result_type_wrapperINS8_3SumESD_lEEEE10hipError_tPvRmT1_T2_T3_mT4_P12ihipStream_tbEUlT_E0_NS1_11comp_targetILNS1_3genE10ELNS1_11target_archE1201ELNS1_3gpuE5ELNS1_3repE0EEENS1_30default_config_static_selectorELNS0_4arch9wavefront6targetE1EEEvSM_.num_named_barrier, 0
	.set _ZN7rocprim17ROCPRIM_400000_NS6detail17trampoline_kernelINS0_14default_configENS1_22reduce_config_selectorIbEEZNS1_11reduce_implILb1ES3_N6hipcub16HIPCUB_304000_NS22TransformInputIteratorIb7NonZeroIdEPdlEEPllNS8_6detail34convert_binary_result_type_wrapperINS8_3SumESD_lEEEE10hipError_tPvRmT1_T2_T3_mT4_P12ihipStream_tbEUlT_E0_NS1_11comp_targetILNS1_3genE10ELNS1_11target_archE1201ELNS1_3gpuE5ELNS1_3repE0EEENS1_30default_config_static_selectorELNS0_4arch9wavefront6targetE1EEEvSM_.private_seg_size, 0
	.set _ZN7rocprim17ROCPRIM_400000_NS6detail17trampoline_kernelINS0_14default_configENS1_22reduce_config_selectorIbEEZNS1_11reduce_implILb1ES3_N6hipcub16HIPCUB_304000_NS22TransformInputIteratorIb7NonZeroIdEPdlEEPllNS8_6detail34convert_binary_result_type_wrapperINS8_3SumESD_lEEEE10hipError_tPvRmT1_T2_T3_mT4_P12ihipStream_tbEUlT_E0_NS1_11comp_targetILNS1_3genE10ELNS1_11target_archE1201ELNS1_3gpuE5ELNS1_3repE0EEENS1_30default_config_static_selectorELNS0_4arch9wavefront6targetE1EEEvSM_.uses_vcc, 0
	.set _ZN7rocprim17ROCPRIM_400000_NS6detail17trampoline_kernelINS0_14default_configENS1_22reduce_config_selectorIbEEZNS1_11reduce_implILb1ES3_N6hipcub16HIPCUB_304000_NS22TransformInputIteratorIb7NonZeroIdEPdlEEPllNS8_6detail34convert_binary_result_type_wrapperINS8_3SumESD_lEEEE10hipError_tPvRmT1_T2_T3_mT4_P12ihipStream_tbEUlT_E0_NS1_11comp_targetILNS1_3genE10ELNS1_11target_archE1201ELNS1_3gpuE5ELNS1_3repE0EEENS1_30default_config_static_selectorELNS0_4arch9wavefront6targetE1EEEvSM_.uses_flat_scratch, 0
	.set _ZN7rocprim17ROCPRIM_400000_NS6detail17trampoline_kernelINS0_14default_configENS1_22reduce_config_selectorIbEEZNS1_11reduce_implILb1ES3_N6hipcub16HIPCUB_304000_NS22TransformInputIteratorIb7NonZeroIdEPdlEEPllNS8_6detail34convert_binary_result_type_wrapperINS8_3SumESD_lEEEE10hipError_tPvRmT1_T2_T3_mT4_P12ihipStream_tbEUlT_E0_NS1_11comp_targetILNS1_3genE10ELNS1_11target_archE1201ELNS1_3gpuE5ELNS1_3repE0EEENS1_30default_config_static_selectorELNS0_4arch9wavefront6targetE1EEEvSM_.has_dyn_sized_stack, 0
	.set _ZN7rocprim17ROCPRIM_400000_NS6detail17trampoline_kernelINS0_14default_configENS1_22reduce_config_selectorIbEEZNS1_11reduce_implILb1ES3_N6hipcub16HIPCUB_304000_NS22TransformInputIteratorIb7NonZeroIdEPdlEEPllNS8_6detail34convert_binary_result_type_wrapperINS8_3SumESD_lEEEE10hipError_tPvRmT1_T2_T3_mT4_P12ihipStream_tbEUlT_E0_NS1_11comp_targetILNS1_3genE10ELNS1_11target_archE1201ELNS1_3gpuE5ELNS1_3repE0EEENS1_30default_config_static_selectorELNS0_4arch9wavefront6targetE1EEEvSM_.has_recursion, 0
	.set _ZN7rocprim17ROCPRIM_400000_NS6detail17trampoline_kernelINS0_14default_configENS1_22reduce_config_selectorIbEEZNS1_11reduce_implILb1ES3_N6hipcub16HIPCUB_304000_NS22TransformInputIteratorIb7NonZeroIdEPdlEEPllNS8_6detail34convert_binary_result_type_wrapperINS8_3SumESD_lEEEE10hipError_tPvRmT1_T2_T3_mT4_P12ihipStream_tbEUlT_E0_NS1_11comp_targetILNS1_3genE10ELNS1_11target_archE1201ELNS1_3gpuE5ELNS1_3repE0EEENS1_30default_config_static_selectorELNS0_4arch9wavefront6targetE1EEEvSM_.has_indirect_call, 0
	.section	.AMDGPU.csdata,"",@progbits
; Kernel info:
; codeLenInByte = 0
; TotalNumSgprs: 6
; NumVgprs: 0
; NumAgprs: 0
; TotalNumVgprs: 0
; ScratchSize: 0
; MemoryBound: 0
; FloatMode: 240
; IeeeMode: 1
; LDSByteSize: 0 bytes/workgroup (compile time only)
; SGPRBlocks: 0
; VGPRBlocks: 0
; NumSGPRsForWavesPerEU: 6
; NumVGPRsForWavesPerEU: 1
; AccumOffset: 4
; Occupancy: 8
; WaveLimiterHint : 0
; COMPUTE_PGM_RSRC2:SCRATCH_EN: 0
; COMPUTE_PGM_RSRC2:USER_SGPR: 2
; COMPUTE_PGM_RSRC2:TRAP_HANDLER: 0
; COMPUTE_PGM_RSRC2:TGID_X_EN: 1
; COMPUTE_PGM_RSRC2:TGID_Y_EN: 0
; COMPUTE_PGM_RSRC2:TGID_Z_EN: 0
; COMPUTE_PGM_RSRC2:TIDIG_COMP_CNT: 0
; COMPUTE_PGM_RSRC3_GFX90A:ACCUM_OFFSET: 0
; COMPUTE_PGM_RSRC3_GFX90A:TG_SPLIT: 0
	.section	.text._ZN7rocprim17ROCPRIM_400000_NS6detail17trampoline_kernelINS0_14default_configENS1_22reduce_config_selectorIbEEZNS1_11reduce_implILb1ES3_N6hipcub16HIPCUB_304000_NS22TransformInputIteratorIb7NonZeroIdEPdlEEPllNS8_6detail34convert_binary_result_type_wrapperINS8_3SumESD_lEEEE10hipError_tPvRmT1_T2_T3_mT4_P12ihipStream_tbEUlT_E0_NS1_11comp_targetILNS1_3genE10ELNS1_11target_archE1200ELNS1_3gpuE4ELNS1_3repE0EEENS1_30default_config_static_selectorELNS0_4arch9wavefront6targetE1EEEvSM_,"axG",@progbits,_ZN7rocprim17ROCPRIM_400000_NS6detail17trampoline_kernelINS0_14default_configENS1_22reduce_config_selectorIbEEZNS1_11reduce_implILb1ES3_N6hipcub16HIPCUB_304000_NS22TransformInputIteratorIb7NonZeroIdEPdlEEPllNS8_6detail34convert_binary_result_type_wrapperINS8_3SumESD_lEEEE10hipError_tPvRmT1_T2_T3_mT4_P12ihipStream_tbEUlT_E0_NS1_11comp_targetILNS1_3genE10ELNS1_11target_archE1200ELNS1_3gpuE4ELNS1_3repE0EEENS1_30default_config_static_selectorELNS0_4arch9wavefront6targetE1EEEvSM_,comdat
	.protected	_ZN7rocprim17ROCPRIM_400000_NS6detail17trampoline_kernelINS0_14default_configENS1_22reduce_config_selectorIbEEZNS1_11reduce_implILb1ES3_N6hipcub16HIPCUB_304000_NS22TransformInputIteratorIb7NonZeroIdEPdlEEPllNS8_6detail34convert_binary_result_type_wrapperINS8_3SumESD_lEEEE10hipError_tPvRmT1_T2_T3_mT4_P12ihipStream_tbEUlT_E0_NS1_11comp_targetILNS1_3genE10ELNS1_11target_archE1200ELNS1_3gpuE4ELNS1_3repE0EEENS1_30default_config_static_selectorELNS0_4arch9wavefront6targetE1EEEvSM_ ; -- Begin function _ZN7rocprim17ROCPRIM_400000_NS6detail17trampoline_kernelINS0_14default_configENS1_22reduce_config_selectorIbEEZNS1_11reduce_implILb1ES3_N6hipcub16HIPCUB_304000_NS22TransformInputIteratorIb7NonZeroIdEPdlEEPllNS8_6detail34convert_binary_result_type_wrapperINS8_3SumESD_lEEEE10hipError_tPvRmT1_T2_T3_mT4_P12ihipStream_tbEUlT_E0_NS1_11comp_targetILNS1_3genE10ELNS1_11target_archE1200ELNS1_3gpuE4ELNS1_3repE0EEENS1_30default_config_static_selectorELNS0_4arch9wavefront6targetE1EEEvSM_
	.globl	_ZN7rocprim17ROCPRIM_400000_NS6detail17trampoline_kernelINS0_14default_configENS1_22reduce_config_selectorIbEEZNS1_11reduce_implILb1ES3_N6hipcub16HIPCUB_304000_NS22TransformInputIteratorIb7NonZeroIdEPdlEEPllNS8_6detail34convert_binary_result_type_wrapperINS8_3SumESD_lEEEE10hipError_tPvRmT1_T2_T3_mT4_P12ihipStream_tbEUlT_E0_NS1_11comp_targetILNS1_3genE10ELNS1_11target_archE1200ELNS1_3gpuE4ELNS1_3repE0EEENS1_30default_config_static_selectorELNS0_4arch9wavefront6targetE1EEEvSM_
	.p2align	8
	.type	_ZN7rocprim17ROCPRIM_400000_NS6detail17trampoline_kernelINS0_14default_configENS1_22reduce_config_selectorIbEEZNS1_11reduce_implILb1ES3_N6hipcub16HIPCUB_304000_NS22TransformInputIteratorIb7NonZeroIdEPdlEEPllNS8_6detail34convert_binary_result_type_wrapperINS8_3SumESD_lEEEE10hipError_tPvRmT1_T2_T3_mT4_P12ihipStream_tbEUlT_E0_NS1_11comp_targetILNS1_3genE10ELNS1_11target_archE1200ELNS1_3gpuE4ELNS1_3repE0EEENS1_30default_config_static_selectorELNS0_4arch9wavefront6targetE1EEEvSM_,@function
_ZN7rocprim17ROCPRIM_400000_NS6detail17trampoline_kernelINS0_14default_configENS1_22reduce_config_selectorIbEEZNS1_11reduce_implILb1ES3_N6hipcub16HIPCUB_304000_NS22TransformInputIteratorIb7NonZeroIdEPdlEEPllNS8_6detail34convert_binary_result_type_wrapperINS8_3SumESD_lEEEE10hipError_tPvRmT1_T2_T3_mT4_P12ihipStream_tbEUlT_E0_NS1_11comp_targetILNS1_3genE10ELNS1_11target_archE1200ELNS1_3gpuE4ELNS1_3repE0EEENS1_30default_config_static_selectorELNS0_4arch9wavefront6targetE1EEEvSM_: ; @_ZN7rocprim17ROCPRIM_400000_NS6detail17trampoline_kernelINS0_14default_configENS1_22reduce_config_selectorIbEEZNS1_11reduce_implILb1ES3_N6hipcub16HIPCUB_304000_NS22TransformInputIteratorIb7NonZeroIdEPdlEEPllNS8_6detail34convert_binary_result_type_wrapperINS8_3SumESD_lEEEE10hipError_tPvRmT1_T2_T3_mT4_P12ihipStream_tbEUlT_E0_NS1_11comp_targetILNS1_3genE10ELNS1_11target_archE1200ELNS1_3gpuE4ELNS1_3repE0EEENS1_30default_config_static_selectorELNS0_4arch9wavefront6targetE1EEEvSM_
; %bb.0:
	.section	.rodata,"a",@progbits
	.p2align	6, 0x0
	.amdhsa_kernel _ZN7rocprim17ROCPRIM_400000_NS6detail17trampoline_kernelINS0_14default_configENS1_22reduce_config_selectorIbEEZNS1_11reduce_implILb1ES3_N6hipcub16HIPCUB_304000_NS22TransformInputIteratorIb7NonZeroIdEPdlEEPllNS8_6detail34convert_binary_result_type_wrapperINS8_3SumESD_lEEEE10hipError_tPvRmT1_T2_T3_mT4_P12ihipStream_tbEUlT_E0_NS1_11comp_targetILNS1_3genE10ELNS1_11target_archE1200ELNS1_3gpuE4ELNS1_3repE0EEENS1_30default_config_static_selectorELNS0_4arch9wavefront6targetE1EEEvSM_
		.amdhsa_group_segment_fixed_size 0
		.amdhsa_private_segment_fixed_size 0
		.amdhsa_kernarg_size 72
		.amdhsa_user_sgpr_count 2
		.amdhsa_user_sgpr_dispatch_ptr 0
		.amdhsa_user_sgpr_queue_ptr 0
		.amdhsa_user_sgpr_kernarg_segment_ptr 1
		.amdhsa_user_sgpr_dispatch_id 0
		.amdhsa_user_sgpr_kernarg_preload_length 0
		.amdhsa_user_sgpr_kernarg_preload_offset 0
		.amdhsa_user_sgpr_private_segment_size 0
		.amdhsa_uses_dynamic_stack 0
		.amdhsa_enable_private_segment 0
		.amdhsa_system_sgpr_workgroup_id_x 1
		.amdhsa_system_sgpr_workgroup_id_y 0
		.amdhsa_system_sgpr_workgroup_id_z 0
		.amdhsa_system_sgpr_workgroup_info 0
		.amdhsa_system_vgpr_workitem_id 0
		.amdhsa_next_free_vgpr 1
		.amdhsa_next_free_sgpr 0
		.amdhsa_accum_offset 4
		.amdhsa_reserve_vcc 0
		.amdhsa_float_round_mode_32 0
		.amdhsa_float_round_mode_16_64 0
		.amdhsa_float_denorm_mode_32 3
		.amdhsa_float_denorm_mode_16_64 3
		.amdhsa_dx10_clamp 1
		.amdhsa_ieee_mode 1
		.amdhsa_fp16_overflow 0
		.amdhsa_tg_split 0
		.amdhsa_exception_fp_ieee_invalid_op 0
		.amdhsa_exception_fp_denorm_src 0
		.amdhsa_exception_fp_ieee_div_zero 0
		.amdhsa_exception_fp_ieee_overflow 0
		.amdhsa_exception_fp_ieee_underflow 0
		.amdhsa_exception_fp_ieee_inexact 0
		.amdhsa_exception_int_div_zero 0
	.end_amdhsa_kernel
	.section	.text._ZN7rocprim17ROCPRIM_400000_NS6detail17trampoline_kernelINS0_14default_configENS1_22reduce_config_selectorIbEEZNS1_11reduce_implILb1ES3_N6hipcub16HIPCUB_304000_NS22TransformInputIteratorIb7NonZeroIdEPdlEEPllNS8_6detail34convert_binary_result_type_wrapperINS8_3SumESD_lEEEE10hipError_tPvRmT1_T2_T3_mT4_P12ihipStream_tbEUlT_E0_NS1_11comp_targetILNS1_3genE10ELNS1_11target_archE1200ELNS1_3gpuE4ELNS1_3repE0EEENS1_30default_config_static_selectorELNS0_4arch9wavefront6targetE1EEEvSM_,"axG",@progbits,_ZN7rocprim17ROCPRIM_400000_NS6detail17trampoline_kernelINS0_14default_configENS1_22reduce_config_selectorIbEEZNS1_11reduce_implILb1ES3_N6hipcub16HIPCUB_304000_NS22TransformInputIteratorIb7NonZeroIdEPdlEEPllNS8_6detail34convert_binary_result_type_wrapperINS8_3SumESD_lEEEE10hipError_tPvRmT1_T2_T3_mT4_P12ihipStream_tbEUlT_E0_NS1_11comp_targetILNS1_3genE10ELNS1_11target_archE1200ELNS1_3gpuE4ELNS1_3repE0EEENS1_30default_config_static_selectorELNS0_4arch9wavefront6targetE1EEEvSM_,comdat
.Lfunc_end309:
	.size	_ZN7rocprim17ROCPRIM_400000_NS6detail17trampoline_kernelINS0_14default_configENS1_22reduce_config_selectorIbEEZNS1_11reduce_implILb1ES3_N6hipcub16HIPCUB_304000_NS22TransformInputIteratorIb7NonZeroIdEPdlEEPllNS8_6detail34convert_binary_result_type_wrapperINS8_3SumESD_lEEEE10hipError_tPvRmT1_T2_T3_mT4_P12ihipStream_tbEUlT_E0_NS1_11comp_targetILNS1_3genE10ELNS1_11target_archE1200ELNS1_3gpuE4ELNS1_3repE0EEENS1_30default_config_static_selectorELNS0_4arch9wavefront6targetE1EEEvSM_, .Lfunc_end309-_ZN7rocprim17ROCPRIM_400000_NS6detail17trampoline_kernelINS0_14default_configENS1_22reduce_config_selectorIbEEZNS1_11reduce_implILb1ES3_N6hipcub16HIPCUB_304000_NS22TransformInputIteratorIb7NonZeroIdEPdlEEPllNS8_6detail34convert_binary_result_type_wrapperINS8_3SumESD_lEEEE10hipError_tPvRmT1_T2_T3_mT4_P12ihipStream_tbEUlT_E0_NS1_11comp_targetILNS1_3genE10ELNS1_11target_archE1200ELNS1_3gpuE4ELNS1_3repE0EEENS1_30default_config_static_selectorELNS0_4arch9wavefront6targetE1EEEvSM_
                                        ; -- End function
	.set _ZN7rocprim17ROCPRIM_400000_NS6detail17trampoline_kernelINS0_14default_configENS1_22reduce_config_selectorIbEEZNS1_11reduce_implILb1ES3_N6hipcub16HIPCUB_304000_NS22TransformInputIteratorIb7NonZeroIdEPdlEEPllNS8_6detail34convert_binary_result_type_wrapperINS8_3SumESD_lEEEE10hipError_tPvRmT1_T2_T3_mT4_P12ihipStream_tbEUlT_E0_NS1_11comp_targetILNS1_3genE10ELNS1_11target_archE1200ELNS1_3gpuE4ELNS1_3repE0EEENS1_30default_config_static_selectorELNS0_4arch9wavefront6targetE1EEEvSM_.num_vgpr, 0
	.set _ZN7rocprim17ROCPRIM_400000_NS6detail17trampoline_kernelINS0_14default_configENS1_22reduce_config_selectorIbEEZNS1_11reduce_implILb1ES3_N6hipcub16HIPCUB_304000_NS22TransformInputIteratorIb7NonZeroIdEPdlEEPllNS8_6detail34convert_binary_result_type_wrapperINS8_3SumESD_lEEEE10hipError_tPvRmT1_T2_T3_mT4_P12ihipStream_tbEUlT_E0_NS1_11comp_targetILNS1_3genE10ELNS1_11target_archE1200ELNS1_3gpuE4ELNS1_3repE0EEENS1_30default_config_static_selectorELNS0_4arch9wavefront6targetE1EEEvSM_.num_agpr, 0
	.set _ZN7rocprim17ROCPRIM_400000_NS6detail17trampoline_kernelINS0_14default_configENS1_22reduce_config_selectorIbEEZNS1_11reduce_implILb1ES3_N6hipcub16HIPCUB_304000_NS22TransformInputIteratorIb7NonZeroIdEPdlEEPllNS8_6detail34convert_binary_result_type_wrapperINS8_3SumESD_lEEEE10hipError_tPvRmT1_T2_T3_mT4_P12ihipStream_tbEUlT_E0_NS1_11comp_targetILNS1_3genE10ELNS1_11target_archE1200ELNS1_3gpuE4ELNS1_3repE0EEENS1_30default_config_static_selectorELNS0_4arch9wavefront6targetE1EEEvSM_.numbered_sgpr, 0
	.set _ZN7rocprim17ROCPRIM_400000_NS6detail17trampoline_kernelINS0_14default_configENS1_22reduce_config_selectorIbEEZNS1_11reduce_implILb1ES3_N6hipcub16HIPCUB_304000_NS22TransformInputIteratorIb7NonZeroIdEPdlEEPllNS8_6detail34convert_binary_result_type_wrapperINS8_3SumESD_lEEEE10hipError_tPvRmT1_T2_T3_mT4_P12ihipStream_tbEUlT_E0_NS1_11comp_targetILNS1_3genE10ELNS1_11target_archE1200ELNS1_3gpuE4ELNS1_3repE0EEENS1_30default_config_static_selectorELNS0_4arch9wavefront6targetE1EEEvSM_.num_named_barrier, 0
	.set _ZN7rocprim17ROCPRIM_400000_NS6detail17trampoline_kernelINS0_14default_configENS1_22reduce_config_selectorIbEEZNS1_11reduce_implILb1ES3_N6hipcub16HIPCUB_304000_NS22TransformInputIteratorIb7NonZeroIdEPdlEEPllNS8_6detail34convert_binary_result_type_wrapperINS8_3SumESD_lEEEE10hipError_tPvRmT1_T2_T3_mT4_P12ihipStream_tbEUlT_E0_NS1_11comp_targetILNS1_3genE10ELNS1_11target_archE1200ELNS1_3gpuE4ELNS1_3repE0EEENS1_30default_config_static_selectorELNS0_4arch9wavefront6targetE1EEEvSM_.private_seg_size, 0
	.set _ZN7rocprim17ROCPRIM_400000_NS6detail17trampoline_kernelINS0_14default_configENS1_22reduce_config_selectorIbEEZNS1_11reduce_implILb1ES3_N6hipcub16HIPCUB_304000_NS22TransformInputIteratorIb7NonZeroIdEPdlEEPllNS8_6detail34convert_binary_result_type_wrapperINS8_3SumESD_lEEEE10hipError_tPvRmT1_T2_T3_mT4_P12ihipStream_tbEUlT_E0_NS1_11comp_targetILNS1_3genE10ELNS1_11target_archE1200ELNS1_3gpuE4ELNS1_3repE0EEENS1_30default_config_static_selectorELNS0_4arch9wavefront6targetE1EEEvSM_.uses_vcc, 0
	.set _ZN7rocprim17ROCPRIM_400000_NS6detail17trampoline_kernelINS0_14default_configENS1_22reduce_config_selectorIbEEZNS1_11reduce_implILb1ES3_N6hipcub16HIPCUB_304000_NS22TransformInputIteratorIb7NonZeroIdEPdlEEPllNS8_6detail34convert_binary_result_type_wrapperINS8_3SumESD_lEEEE10hipError_tPvRmT1_T2_T3_mT4_P12ihipStream_tbEUlT_E0_NS1_11comp_targetILNS1_3genE10ELNS1_11target_archE1200ELNS1_3gpuE4ELNS1_3repE0EEENS1_30default_config_static_selectorELNS0_4arch9wavefront6targetE1EEEvSM_.uses_flat_scratch, 0
	.set _ZN7rocprim17ROCPRIM_400000_NS6detail17trampoline_kernelINS0_14default_configENS1_22reduce_config_selectorIbEEZNS1_11reduce_implILb1ES3_N6hipcub16HIPCUB_304000_NS22TransformInputIteratorIb7NonZeroIdEPdlEEPllNS8_6detail34convert_binary_result_type_wrapperINS8_3SumESD_lEEEE10hipError_tPvRmT1_T2_T3_mT4_P12ihipStream_tbEUlT_E0_NS1_11comp_targetILNS1_3genE10ELNS1_11target_archE1200ELNS1_3gpuE4ELNS1_3repE0EEENS1_30default_config_static_selectorELNS0_4arch9wavefront6targetE1EEEvSM_.has_dyn_sized_stack, 0
	.set _ZN7rocprim17ROCPRIM_400000_NS6detail17trampoline_kernelINS0_14default_configENS1_22reduce_config_selectorIbEEZNS1_11reduce_implILb1ES3_N6hipcub16HIPCUB_304000_NS22TransformInputIteratorIb7NonZeroIdEPdlEEPllNS8_6detail34convert_binary_result_type_wrapperINS8_3SumESD_lEEEE10hipError_tPvRmT1_T2_T3_mT4_P12ihipStream_tbEUlT_E0_NS1_11comp_targetILNS1_3genE10ELNS1_11target_archE1200ELNS1_3gpuE4ELNS1_3repE0EEENS1_30default_config_static_selectorELNS0_4arch9wavefront6targetE1EEEvSM_.has_recursion, 0
	.set _ZN7rocprim17ROCPRIM_400000_NS6detail17trampoline_kernelINS0_14default_configENS1_22reduce_config_selectorIbEEZNS1_11reduce_implILb1ES3_N6hipcub16HIPCUB_304000_NS22TransformInputIteratorIb7NonZeroIdEPdlEEPllNS8_6detail34convert_binary_result_type_wrapperINS8_3SumESD_lEEEE10hipError_tPvRmT1_T2_T3_mT4_P12ihipStream_tbEUlT_E0_NS1_11comp_targetILNS1_3genE10ELNS1_11target_archE1200ELNS1_3gpuE4ELNS1_3repE0EEENS1_30default_config_static_selectorELNS0_4arch9wavefront6targetE1EEEvSM_.has_indirect_call, 0
	.section	.AMDGPU.csdata,"",@progbits
; Kernel info:
; codeLenInByte = 0
; TotalNumSgprs: 6
; NumVgprs: 0
; NumAgprs: 0
; TotalNumVgprs: 0
; ScratchSize: 0
; MemoryBound: 0
; FloatMode: 240
; IeeeMode: 1
; LDSByteSize: 0 bytes/workgroup (compile time only)
; SGPRBlocks: 0
; VGPRBlocks: 0
; NumSGPRsForWavesPerEU: 6
; NumVGPRsForWavesPerEU: 1
; AccumOffset: 4
; Occupancy: 8
; WaveLimiterHint : 0
; COMPUTE_PGM_RSRC2:SCRATCH_EN: 0
; COMPUTE_PGM_RSRC2:USER_SGPR: 2
; COMPUTE_PGM_RSRC2:TRAP_HANDLER: 0
; COMPUTE_PGM_RSRC2:TGID_X_EN: 1
; COMPUTE_PGM_RSRC2:TGID_Y_EN: 0
; COMPUTE_PGM_RSRC2:TGID_Z_EN: 0
; COMPUTE_PGM_RSRC2:TIDIG_COMP_CNT: 0
; COMPUTE_PGM_RSRC3_GFX90A:ACCUM_OFFSET: 0
; COMPUTE_PGM_RSRC3_GFX90A:TG_SPLIT: 0
	.section	.text._ZN7rocprim17ROCPRIM_400000_NS6detail17trampoline_kernelINS0_14default_configENS1_22reduce_config_selectorIbEEZNS1_11reduce_implILb1ES3_N6hipcub16HIPCUB_304000_NS22TransformInputIteratorIb7NonZeroIdEPdlEEPllNS8_6detail34convert_binary_result_type_wrapperINS8_3SumESD_lEEEE10hipError_tPvRmT1_T2_T3_mT4_P12ihipStream_tbEUlT_E0_NS1_11comp_targetILNS1_3genE9ELNS1_11target_archE1100ELNS1_3gpuE3ELNS1_3repE0EEENS1_30default_config_static_selectorELNS0_4arch9wavefront6targetE1EEEvSM_,"axG",@progbits,_ZN7rocprim17ROCPRIM_400000_NS6detail17trampoline_kernelINS0_14default_configENS1_22reduce_config_selectorIbEEZNS1_11reduce_implILb1ES3_N6hipcub16HIPCUB_304000_NS22TransformInputIteratorIb7NonZeroIdEPdlEEPllNS8_6detail34convert_binary_result_type_wrapperINS8_3SumESD_lEEEE10hipError_tPvRmT1_T2_T3_mT4_P12ihipStream_tbEUlT_E0_NS1_11comp_targetILNS1_3genE9ELNS1_11target_archE1100ELNS1_3gpuE3ELNS1_3repE0EEENS1_30default_config_static_selectorELNS0_4arch9wavefront6targetE1EEEvSM_,comdat
	.protected	_ZN7rocprim17ROCPRIM_400000_NS6detail17trampoline_kernelINS0_14default_configENS1_22reduce_config_selectorIbEEZNS1_11reduce_implILb1ES3_N6hipcub16HIPCUB_304000_NS22TransformInputIteratorIb7NonZeroIdEPdlEEPllNS8_6detail34convert_binary_result_type_wrapperINS8_3SumESD_lEEEE10hipError_tPvRmT1_T2_T3_mT4_P12ihipStream_tbEUlT_E0_NS1_11comp_targetILNS1_3genE9ELNS1_11target_archE1100ELNS1_3gpuE3ELNS1_3repE0EEENS1_30default_config_static_selectorELNS0_4arch9wavefront6targetE1EEEvSM_ ; -- Begin function _ZN7rocprim17ROCPRIM_400000_NS6detail17trampoline_kernelINS0_14default_configENS1_22reduce_config_selectorIbEEZNS1_11reduce_implILb1ES3_N6hipcub16HIPCUB_304000_NS22TransformInputIteratorIb7NonZeroIdEPdlEEPllNS8_6detail34convert_binary_result_type_wrapperINS8_3SumESD_lEEEE10hipError_tPvRmT1_T2_T3_mT4_P12ihipStream_tbEUlT_E0_NS1_11comp_targetILNS1_3genE9ELNS1_11target_archE1100ELNS1_3gpuE3ELNS1_3repE0EEENS1_30default_config_static_selectorELNS0_4arch9wavefront6targetE1EEEvSM_
	.globl	_ZN7rocprim17ROCPRIM_400000_NS6detail17trampoline_kernelINS0_14default_configENS1_22reduce_config_selectorIbEEZNS1_11reduce_implILb1ES3_N6hipcub16HIPCUB_304000_NS22TransformInputIteratorIb7NonZeroIdEPdlEEPllNS8_6detail34convert_binary_result_type_wrapperINS8_3SumESD_lEEEE10hipError_tPvRmT1_T2_T3_mT4_P12ihipStream_tbEUlT_E0_NS1_11comp_targetILNS1_3genE9ELNS1_11target_archE1100ELNS1_3gpuE3ELNS1_3repE0EEENS1_30default_config_static_selectorELNS0_4arch9wavefront6targetE1EEEvSM_
	.p2align	8
	.type	_ZN7rocprim17ROCPRIM_400000_NS6detail17trampoline_kernelINS0_14default_configENS1_22reduce_config_selectorIbEEZNS1_11reduce_implILb1ES3_N6hipcub16HIPCUB_304000_NS22TransformInputIteratorIb7NonZeroIdEPdlEEPllNS8_6detail34convert_binary_result_type_wrapperINS8_3SumESD_lEEEE10hipError_tPvRmT1_T2_T3_mT4_P12ihipStream_tbEUlT_E0_NS1_11comp_targetILNS1_3genE9ELNS1_11target_archE1100ELNS1_3gpuE3ELNS1_3repE0EEENS1_30default_config_static_selectorELNS0_4arch9wavefront6targetE1EEEvSM_,@function
_ZN7rocprim17ROCPRIM_400000_NS6detail17trampoline_kernelINS0_14default_configENS1_22reduce_config_selectorIbEEZNS1_11reduce_implILb1ES3_N6hipcub16HIPCUB_304000_NS22TransformInputIteratorIb7NonZeroIdEPdlEEPllNS8_6detail34convert_binary_result_type_wrapperINS8_3SumESD_lEEEE10hipError_tPvRmT1_T2_T3_mT4_P12ihipStream_tbEUlT_E0_NS1_11comp_targetILNS1_3genE9ELNS1_11target_archE1100ELNS1_3gpuE3ELNS1_3repE0EEENS1_30default_config_static_selectorELNS0_4arch9wavefront6targetE1EEEvSM_: ; @_ZN7rocprim17ROCPRIM_400000_NS6detail17trampoline_kernelINS0_14default_configENS1_22reduce_config_selectorIbEEZNS1_11reduce_implILb1ES3_N6hipcub16HIPCUB_304000_NS22TransformInputIteratorIb7NonZeroIdEPdlEEPllNS8_6detail34convert_binary_result_type_wrapperINS8_3SumESD_lEEEE10hipError_tPvRmT1_T2_T3_mT4_P12ihipStream_tbEUlT_E0_NS1_11comp_targetILNS1_3genE9ELNS1_11target_archE1100ELNS1_3gpuE3ELNS1_3repE0EEENS1_30default_config_static_selectorELNS0_4arch9wavefront6targetE1EEEvSM_
; %bb.0:
	.section	.rodata,"a",@progbits
	.p2align	6, 0x0
	.amdhsa_kernel _ZN7rocprim17ROCPRIM_400000_NS6detail17trampoline_kernelINS0_14default_configENS1_22reduce_config_selectorIbEEZNS1_11reduce_implILb1ES3_N6hipcub16HIPCUB_304000_NS22TransformInputIteratorIb7NonZeroIdEPdlEEPllNS8_6detail34convert_binary_result_type_wrapperINS8_3SumESD_lEEEE10hipError_tPvRmT1_T2_T3_mT4_P12ihipStream_tbEUlT_E0_NS1_11comp_targetILNS1_3genE9ELNS1_11target_archE1100ELNS1_3gpuE3ELNS1_3repE0EEENS1_30default_config_static_selectorELNS0_4arch9wavefront6targetE1EEEvSM_
		.amdhsa_group_segment_fixed_size 0
		.amdhsa_private_segment_fixed_size 0
		.amdhsa_kernarg_size 72
		.amdhsa_user_sgpr_count 2
		.amdhsa_user_sgpr_dispatch_ptr 0
		.amdhsa_user_sgpr_queue_ptr 0
		.amdhsa_user_sgpr_kernarg_segment_ptr 1
		.amdhsa_user_sgpr_dispatch_id 0
		.amdhsa_user_sgpr_kernarg_preload_length 0
		.amdhsa_user_sgpr_kernarg_preload_offset 0
		.amdhsa_user_sgpr_private_segment_size 0
		.amdhsa_uses_dynamic_stack 0
		.amdhsa_enable_private_segment 0
		.amdhsa_system_sgpr_workgroup_id_x 1
		.amdhsa_system_sgpr_workgroup_id_y 0
		.amdhsa_system_sgpr_workgroup_id_z 0
		.amdhsa_system_sgpr_workgroup_info 0
		.amdhsa_system_vgpr_workitem_id 0
		.amdhsa_next_free_vgpr 1
		.amdhsa_next_free_sgpr 0
		.amdhsa_accum_offset 4
		.amdhsa_reserve_vcc 0
		.amdhsa_float_round_mode_32 0
		.amdhsa_float_round_mode_16_64 0
		.amdhsa_float_denorm_mode_32 3
		.amdhsa_float_denorm_mode_16_64 3
		.amdhsa_dx10_clamp 1
		.amdhsa_ieee_mode 1
		.amdhsa_fp16_overflow 0
		.amdhsa_tg_split 0
		.amdhsa_exception_fp_ieee_invalid_op 0
		.amdhsa_exception_fp_denorm_src 0
		.amdhsa_exception_fp_ieee_div_zero 0
		.amdhsa_exception_fp_ieee_overflow 0
		.amdhsa_exception_fp_ieee_underflow 0
		.amdhsa_exception_fp_ieee_inexact 0
		.amdhsa_exception_int_div_zero 0
	.end_amdhsa_kernel
	.section	.text._ZN7rocprim17ROCPRIM_400000_NS6detail17trampoline_kernelINS0_14default_configENS1_22reduce_config_selectorIbEEZNS1_11reduce_implILb1ES3_N6hipcub16HIPCUB_304000_NS22TransformInputIteratorIb7NonZeroIdEPdlEEPllNS8_6detail34convert_binary_result_type_wrapperINS8_3SumESD_lEEEE10hipError_tPvRmT1_T2_T3_mT4_P12ihipStream_tbEUlT_E0_NS1_11comp_targetILNS1_3genE9ELNS1_11target_archE1100ELNS1_3gpuE3ELNS1_3repE0EEENS1_30default_config_static_selectorELNS0_4arch9wavefront6targetE1EEEvSM_,"axG",@progbits,_ZN7rocprim17ROCPRIM_400000_NS6detail17trampoline_kernelINS0_14default_configENS1_22reduce_config_selectorIbEEZNS1_11reduce_implILb1ES3_N6hipcub16HIPCUB_304000_NS22TransformInputIteratorIb7NonZeroIdEPdlEEPllNS8_6detail34convert_binary_result_type_wrapperINS8_3SumESD_lEEEE10hipError_tPvRmT1_T2_T3_mT4_P12ihipStream_tbEUlT_E0_NS1_11comp_targetILNS1_3genE9ELNS1_11target_archE1100ELNS1_3gpuE3ELNS1_3repE0EEENS1_30default_config_static_selectorELNS0_4arch9wavefront6targetE1EEEvSM_,comdat
.Lfunc_end310:
	.size	_ZN7rocprim17ROCPRIM_400000_NS6detail17trampoline_kernelINS0_14default_configENS1_22reduce_config_selectorIbEEZNS1_11reduce_implILb1ES3_N6hipcub16HIPCUB_304000_NS22TransformInputIteratorIb7NonZeroIdEPdlEEPllNS8_6detail34convert_binary_result_type_wrapperINS8_3SumESD_lEEEE10hipError_tPvRmT1_T2_T3_mT4_P12ihipStream_tbEUlT_E0_NS1_11comp_targetILNS1_3genE9ELNS1_11target_archE1100ELNS1_3gpuE3ELNS1_3repE0EEENS1_30default_config_static_selectorELNS0_4arch9wavefront6targetE1EEEvSM_, .Lfunc_end310-_ZN7rocprim17ROCPRIM_400000_NS6detail17trampoline_kernelINS0_14default_configENS1_22reduce_config_selectorIbEEZNS1_11reduce_implILb1ES3_N6hipcub16HIPCUB_304000_NS22TransformInputIteratorIb7NonZeroIdEPdlEEPllNS8_6detail34convert_binary_result_type_wrapperINS8_3SumESD_lEEEE10hipError_tPvRmT1_T2_T3_mT4_P12ihipStream_tbEUlT_E0_NS1_11comp_targetILNS1_3genE9ELNS1_11target_archE1100ELNS1_3gpuE3ELNS1_3repE0EEENS1_30default_config_static_selectorELNS0_4arch9wavefront6targetE1EEEvSM_
                                        ; -- End function
	.set _ZN7rocprim17ROCPRIM_400000_NS6detail17trampoline_kernelINS0_14default_configENS1_22reduce_config_selectorIbEEZNS1_11reduce_implILb1ES3_N6hipcub16HIPCUB_304000_NS22TransformInputIteratorIb7NonZeroIdEPdlEEPllNS8_6detail34convert_binary_result_type_wrapperINS8_3SumESD_lEEEE10hipError_tPvRmT1_T2_T3_mT4_P12ihipStream_tbEUlT_E0_NS1_11comp_targetILNS1_3genE9ELNS1_11target_archE1100ELNS1_3gpuE3ELNS1_3repE0EEENS1_30default_config_static_selectorELNS0_4arch9wavefront6targetE1EEEvSM_.num_vgpr, 0
	.set _ZN7rocprim17ROCPRIM_400000_NS6detail17trampoline_kernelINS0_14default_configENS1_22reduce_config_selectorIbEEZNS1_11reduce_implILb1ES3_N6hipcub16HIPCUB_304000_NS22TransformInputIteratorIb7NonZeroIdEPdlEEPllNS8_6detail34convert_binary_result_type_wrapperINS8_3SumESD_lEEEE10hipError_tPvRmT1_T2_T3_mT4_P12ihipStream_tbEUlT_E0_NS1_11comp_targetILNS1_3genE9ELNS1_11target_archE1100ELNS1_3gpuE3ELNS1_3repE0EEENS1_30default_config_static_selectorELNS0_4arch9wavefront6targetE1EEEvSM_.num_agpr, 0
	.set _ZN7rocprim17ROCPRIM_400000_NS6detail17trampoline_kernelINS0_14default_configENS1_22reduce_config_selectorIbEEZNS1_11reduce_implILb1ES3_N6hipcub16HIPCUB_304000_NS22TransformInputIteratorIb7NonZeroIdEPdlEEPllNS8_6detail34convert_binary_result_type_wrapperINS8_3SumESD_lEEEE10hipError_tPvRmT1_T2_T3_mT4_P12ihipStream_tbEUlT_E0_NS1_11comp_targetILNS1_3genE9ELNS1_11target_archE1100ELNS1_3gpuE3ELNS1_3repE0EEENS1_30default_config_static_selectorELNS0_4arch9wavefront6targetE1EEEvSM_.numbered_sgpr, 0
	.set _ZN7rocprim17ROCPRIM_400000_NS6detail17trampoline_kernelINS0_14default_configENS1_22reduce_config_selectorIbEEZNS1_11reduce_implILb1ES3_N6hipcub16HIPCUB_304000_NS22TransformInputIteratorIb7NonZeroIdEPdlEEPllNS8_6detail34convert_binary_result_type_wrapperINS8_3SumESD_lEEEE10hipError_tPvRmT1_T2_T3_mT4_P12ihipStream_tbEUlT_E0_NS1_11comp_targetILNS1_3genE9ELNS1_11target_archE1100ELNS1_3gpuE3ELNS1_3repE0EEENS1_30default_config_static_selectorELNS0_4arch9wavefront6targetE1EEEvSM_.num_named_barrier, 0
	.set _ZN7rocprim17ROCPRIM_400000_NS6detail17trampoline_kernelINS0_14default_configENS1_22reduce_config_selectorIbEEZNS1_11reduce_implILb1ES3_N6hipcub16HIPCUB_304000_NS22TransformInputIteratorIb7NonZeroIdEPdlEEPllNS8_6detail34convert_binary_result_type_wrapperINS8_3SumESD_lEEEE10hipError_tPvRmT1_T2_T3_mT4_P12ihipStream_tbEUlT_E0_NS1_11comp_targetILNS1_3genE9ELNS1_11target_archE1100ELNS1_3gpuE3ELNS1_3repE0EEENS1_30default_config_static_selectorELNS0_4arch9wavefront6targetE1EEEvSM_.private_seg_size, 0
	.set _ZN7rocprim17ROCPRIM_400000_NS6detail17trampoline_kernelINS0_14default_configENS1_22reduce_config_selectorIbEEZNS1_11reduce_implILb1ES3_N6hipcub16HIPCUB_304000_NS22TransformInputIteratorIb7NonZeroIdEPdlEEPllNS8_6detail34convert_binary_result_type_wrapperINS8_3SumESD_lEEEE10hipError_tPvRmT1_T2_T3_mT4_P12ihipStream_tbEUlT_E0_NS1_11comp_targetILNS1_3genE9ELNS1_11target_archE1100ELNS1_3gpuE3ELNS1_3repE0EEENS1_30default_config_static_selectorELNS0_4arch9wavefront6targetE1EEEvSM_.uses_vcc, 0
	.set _ZN7rocprim17ROCPRIM_400000_NS6detail17trampoline_kernelINS0_14default_configENS1_22reduce_config_selectorIbEEZNS1_11reduce_implILb1ES3_N6hipcub16HIPCUB_304000_NS22TransformInputIteratorIb7NonZeroIdEPdlEEPllNS8_6detail34convert_binary_result_type_wrapperINS8_3SumESD_lEEEE10hipError_tPvRmT1_T2_T3_mT4_P12ihipStream_tbEUlT_E0_NS1_11comp_targetILNS1_3genE9ELNS1_11target_archE1100ELNS1_3gpuE3ELNS1_3repE0EEENS1_30default_config_static_selectorELNS0_4arch9wavefront6targetE1EEEvSM_.uses_flat_scratch, 0
	.set _ZN7rocprim17ROCPRIM_400000_NS6detail17trampoline_kernelINS0_14default_configENS1_22reduce_config_selectorIbEEZNS1_11reduce_implILb1ES3_N6hipcub16HIPCUB_304000_NS22TransformInputIteratorIb7NonZeroIdEPdlEEPllNS8_6detail34convert_binary_result_type_wrapperINS8_3SumESD_lEEEE10hipError_tPvRmT1_T2_T3_mT4_P12ihipStream_tbEUlT_E0_NS1_11comp_targetILNS1_3genE9ELNS1_11target_archE1100ELNS1_3gpuE3ELNS1_3repE0EEENS1_30default_config_static_selectorELNS0_4arch9wavefront6targetE1EEEvSM_.has_dyn_sized_stack, 0
	.set _ZN7rocprim17ROCPRIM_400000_NS6detail17trampoline_kernelINS0_14default_configENS1_22reduce_config_selectorIbEEZNS1_11reduce_implILb1ES3_N6hipcub16HIPCUB_304000_NS22TransformInputIteratorIb7NonZeroIdEPdlEEPllNS8_6detail34convert_binary_result_type_wrapperINS8_3SumESD_lEEEE10hipError_tPvRmT1_T2_T3_mT4_P12ihipStream_tbEUlT_E0_NS1_11comp_targetILNS1_3genE9ELNS1_11target_archE1100ELNS1_3gpuE3ELNS1_3repE0EEENS1_30default_config_static_selectorELNS0_4arch9wavefront6targetE1EEEvSM_.has_recursion, 0
	.set _ZN7rocprim17ROCPRIM_400000_NS6detail17trampoline_kernelINS0_14default_configENS1_22reduce_config_selectorIbEEZNS1_11reduce_implILb1ES3_N6hipcub16HIPCUB_304000_NS22TransformInputIteratorIb7NonZeroIdEPdlEEPllNS8_6detail34convert_binary_result_type_wrapperINS8_3SumESD_lEEEE10hipError_tPvRmT1_T2_T3_mT4_P12ihipStream_tbEUlT_E0_NS1_11comp_targetILNS1_3genE9ELNS1_11target_archE1100ELNS1_3gpuE3ELNS1_3repE0EEENS1_30default_config_static_selectorELNS0_4arch9wavefront6targetE1EEEvSM_.has_indirect_call, 0
	.section	.AMDGPU.csdata,"",@progbits
; Kernel info:
; codeLenInByte = 0
; TotalNumSgprs: 6
; NumVgprs: 0
; NumAgprs: 0
; TotalNumVgprs: 0
; ScratchSize: 0
; MemoryBound: 0
; FloatMode: 240
; IeeeMode: 1
; LDSByteSize: 0 bytes/workgroup (compile time only)
; SGPRBlocks: 0
; VGPRBlocks: 0
; NumSGPRsForWavesPerEU: 6
; NumVGPRsForWavesPerEU: 1
; AccumOffset: 4
; Occupancy: 8
; WaveLimiterHint : 0
; COMPUTE_PGM_RSRC2:SCRATCH_EN: 0
; COMPUTE_PGM_RSRC2:USER_SGPR: 2
; COMPUTE_PGM_RSRC2:TRAP_HANDLER: 0
; COMPUTE_PGM_RSRC2:TGID_X_EN: 1
; COMPUTE_PGM_RSRC2:TGID_Y_EN: 0
; COMPUTE_PGM_RSRC2:TGID_Z_EN: 0
; COMPUTE_PGM_RSRC2:TIDIG_COMP_CNT: 0
; COMPUTE_PGM_RSRC3_GFX90A:ACCUM_OFFSET: 0
; COMPUTE_PGM_RSRC3_GFX90A:TG_SPLIT: 0
	.section	.text._ZN7rocprim17ROCPRIM_400000_NS6detail17trampoline_kernelINS0_14default_configENS1_22reduce_config_selectorIbEEZNS1_11reduce_implILb1ES3_N6hipcub16HIPCUB_304000_NS22TransformInputIteratorIb7NonZeroIdEPdlEEPllNS8_6detail34convert_binary_result_type_wrapperINS8_3SumESD_lEEEE10hipError_tPvRmT1_T2_T3_mT4_P12ihipStream_tbEUlT_E0_NS1_11comp_targetILNS1_3genE8ELNS1_11target_archE1030ELNS1_3gpuE2ELNS1_3repE0EEENS1_30default_config_static_selectorELNS0_4arch9wavefront6targetE1EEEvSM_,"axG",@progbits,_ZN7rocprim17ROCPRIM_400000_NS6detail17trampoline_kernelINS0_14default_configENS1_22reduce_config_selectorIbEEZNS1_11reduce_implILb1ES3_N6hipcub16HIPCUB_304000_NS22TransformInputIteratorIb7NonZeroIdEPdlEEPllNS8_6detail34convert_binary_result_type_wrapperINS8_3SumESD_lEEEE10hipError_tPvRmT1_T2_T3_mT4_P12ihipStream_tbEUlT_E0_NS1_11comp_targetILNS1_3genE8ELNS1_11target_archE1030ELNS1_3gpuE2ELNS1_3repE0EEENS1_30default_config_static_selectorELNS0_4arch9wavefront6targetE1EEEvSM_,comdat
	.protected	_ZN7rocprim17ROCPRIM_400000_NS6detail17trampoline_kernelINS0_14default_configENS1_22reduce_config_selectorIbEEZNS1_11reduce_implILb1ES3_N6hipcub16HIPCUB_304000_NS22TransformInputIteratorIb7NonZeroIdEPdlEEPllNS8_6detail34convert_binary_result_type_wrapperINS8_3SumESD_lEEEE10hipError_tPvRmT1_T2_T3_mT4_P12ihipStream_tbEUlT_E0_NS1_11comp_targetILNS1_3genE8ELNS1_11target_archE1030ELNS1_3gpuE2ELNS1_3repE0EEENS1_30default_config_static_selectorELNS0_4arch9wavefront6targetE1EEEvSM_ ; -- Begin function _ZN7rocprim17ROCPRIM_400000_NS6detail17trampoline_kernelINS0_14default_configENS1_22reduce_config_selectorIbEEZNS1_11reduce_implILb1ES3_N6hipcub16HIPCUB_304000_NS22TransformInputIteratorIb7NonZeroIdEPdlEEPllNS8_6detail34convert_binary_result_type_wrapperINS8_3SumESD_lEEEE10hipError_tPvRmT1_T2_T3_mT4_P12ihipStream_tbEUlT_E0_NS1_11comp_targetILNS1_3genE8ELNS1_11target_archE1030ELNS1_3gpuE2ELNS1_3repE0EEENS1_30default_config_static_selectorELNS0_4arch9wavefront6targetE1EEEvSM_
	.globl	_ZN7rocprim17ROCPRIM_400000_NS6detail17trampoline_kernelINS0_14default_configENS1_22reduce_config_selectorIbEEZNS1_11reduce_implILb1ES3_N6hipcub16HIPCUB_304000_NS22TransformInputIteratorIb7NonZeroIdEPdlEEPllNS8_6detail34convert_binary_result_type_wrapperINS8_3SumESD_lEEEE10hipError_tPvRmT1_T2_T3_mT4_P12ihipStream_tbEUlT_E0_NS1_11comp_targetILNS1_3genE8ELNS1_11target_archE1030ELNS1_3gpuE2ELNS1_3repE0EEENS1_30default_config_static_selectorELNS0_4arch9wavefront6targetE1EEEvSM_
	.p2align	8
	.type	_ZN7rocprim17ROCPRIM_400000_NS6detail17trampoline_kernelINS0_14default_configENS1_22reduce_config_selectorIbEEZNS1_11reduce_implILb1ES3_N6hipcub16HIPCUB_304000_NS22TransformInputIteratorIb7NonZeroIdEPdlEEPllNS8_6detail34convert_binary_result_type_wrapperINS8_3SumESD_lEEEE10hipError_tPvRmT1_T2_T3_mT4_P12ihipStream_tbEUlT_E0_NS1_11comp_targetILNS1_3genE8ELNS1_11target_archE1030ELNS1_3gpuE2ELNS1_3repE0EEENS1_30default_config_static_selectorELNS0_4arch9wavefront6targetE1EEEvSM_,@function
_ZN7rocprim17ROCPRIM_400000_NS6detail17trampoline_kernelINS0_14default_configENS1_22reduce_config_selectorIbEEZNS1_11reduce_implILb1ES3_N6hipcub16HIPCUB_304000_NS22TransformInputIteratorIb7NonZeroIdEPdlEEPllNS8_6detail34convert_binary_result_type_wrapperINS8_3SumESD_lEEEE10hipError_tPvRmT1_T2_T3_mT4_P12ihipStream_tbEUlT_E0_NS1_11comp_targetILNS1_3genE8ELNS1_11target_archE1030ELNS1_3gpuE2ELNS1_3repE0EEENS1_30default_config_static_selectorELNS0_4arch9wavefront6targetE1EEEvSM_: ; @_ZN7rocprim17ROCPRIM_400000_NS6detail17trampoline_kernelINS0_14default_configENS1_22reduce_config_selectorIbEEZNS1_11reduce_implILb1ES3_N6hipcub16HIPCUB_304000_NS22TransformInputIteratorIb7NonZeroIdEPdlEEPllNS8_6detail34convert_binary_result_type_wrapperINS8_3SumESD_lEEEE10hipError_tPvRmT1_T2_T3_mT4_P12ihipStream_tbEUlT_E0_NS1_11comp_targetILNS1_3genE8ELNS1_11target_archE1030ELNS1_3gpuE2ELNS1_3repE0EEENS1_30default_config_static_selectorELNS0_4arch9wavefront6targetE1EEEvSM_
; %bb.0:
	.section	.rodata,"a",@progbits
	.p2align	6, 0x0
	.amdhsa_kernel _ZN7rocprim17ROCPRIM_400000_NS6detail17trampoline_kernelINS0_14default_configENS1_22reduce_config_selectorIbEEZNS1_11reduce_implILb1ES3_N6hipcub16HIPCUB_304000_NS22TransformInputIteratorIb7NonZeroIdEPdlEEPllNS8_6detail34convert_binary_result_type_wrapperINS8_3SumESD_lEEEE10hipError_tPvRmT1_T2_T3_mT4_P12ihipStream_tbEUlT_E0_NS1_11comp_targetILNS1_3genE8ELNS1_11target_archE1030ELNS1_3gpuE2ELNS1_3repE0EEENS1_30default_config_static_selectorELNS0_4arch9wavefront6targetE1EEEvSM_
		.amdhsa_group_segment_fixed_size 0
		.amdhsa_private_segment_fixed_size 0
		.amdhsa_kernarg_size 72
		.amdhsa_user_sgpr_count 2
		.amdhsa_user_sgpr_dispatch_ptr 0
		.amdhsa_user_sgpr_queue_ptr 0
		.amdhsa_user_sgpr_kernarg_segment_ptr 1
		.amdhsa_user_sgpr_dispatch_id 0
		.amdhsa_user_sgpr_kernarg_preload_length 0
		.amdhsa_user_sgpr_kernarg_preload_offset 0
		.amdhsa_user_sgpr_private_segment_size 0
		.amdhsa_uses_dynamic_stack 0
		.amdhsa_enable_private_segment 0
		.amdhsa_system_sgpr_workgroup_id_x 1
		.amdhsa_system_sgpr_workgroup_id_y 0
		.amdhsa_system_sgpr_workgroup_id_z 0
		.amdhsa_system_sgpr_workgroup_info 0
		.amdhsa_system_vgpr_workitem_id 0
		.amdhsa_next_free_vgpr 1
		.amdhsa_next_free_sgpr 0
		.amdhsa_accum_offset 4
		.amdhsa_reserve_vcc 0
		.amdhsa_float_round_mode_32 0
		.amdhsa_float_round_mode_16_64 0
		.amdhsa_float_denorm_mode_32 3
		.amdhsa_float_denorm_mode_16_64 3
		.amdhsa_dx10_clamp 1
		.amdhsa_ieee_mode 1
		.amdhsa_fp16_overflow 0
		.amdhsa_tg_split 0
		.amdhsa_exception_fp_ieee_invalid_op 0
		.amdhsa_exception_fp_denorm_src 0
		.amdhsa_exception_fp_ieee_div_zero 0
		.amdhsa_exception_fp_ieee_overflow 0
		.amdhsa_exception_fp_ieee_underflow 0
		.amdhsa_exception_fp_ieee_inexact 0
		.amdhsa_exception_int_div_zero 0
	.end_amdhsa_kernel
	.section	.text._ZN7rocprim17ROCPRIM_400000_NS6detail17trampoline_kernelINS0_14default_configENS1_22reduce_config_selectorIbEEZNS1_11reduce_implILb1ES3_N6hipcub16HIPCUB_304000_NS22TransformInputIteratorIb7NonZeroIdEPdlEEPllNS8_6detail34convert_binary_result_type_wrapperINS8_3SumESD_lEEEE10hipError_tPvRmT1_T2_T3_mT4_P12ihipStream_tbEUlT_E0_NS1_11comp_targetILNS1_3genE8ELNS1_11target_archE1030ELNS1_3gpuE2ELNS1_3repE0EEENS1_30default_config_static_selectorELNS0_4arch9wavefront6targetE1EEEvSM_,"axG",@progbits,_ZN7rocprim17ROCPRIM_400000_NS6detail17trampoline_kernelINS0_14default_configENS1_22reduce_config_selectorIbEEZNS1_11reduce_implILb1ES3_N6hipcub16HIPCUB_304000_NS22TransformInputIteratorIb7NonZeroIdEPdlEEPllNS8_6detail34convert_binary_result_type_wrapperINS8_3SumESD_lEEEE10hipError_tPvRmT1_T2_T3_mT4_P12ihipStream_tbEUlT_E0_NS1_11comp_targetILNS1_3genE8ELNS1_11target_archE1030ELNS1_3gpuE2ELNS1_3repE0EEENS1_30default_config_static_selectorELNS0_4arch9wavefront6targetE1EEEvSM_,comdat
.Lfunc_end311:
	.size	_ZN7rocprim17ROCPRIM_400000_NS6detail17trampoline_kernelINS0_14default_configENS1_22reduce_config_selectorIbEEZNS1_11reduce_implILb1ES3_N6hipcub16HIPCUB_304000_NS22TransformInputIteratorIb7NonZeroIdEPdlEEPllNS8_6detail34convert_binary_result_type_wrapperINS8_3SumESD_lEEEE10hipError_tPvRmT1_T2_T3_mT4_P12ihipStream_tbEUlT_E0_NS1_11comp_targetILNS1_3genE8ELNS1_11target_archE1030ELNS1_3gpuE2ELNS1_3repE0EEENS1_30default_config_static_selectorELNS0_4arch9wavefront6targetE1EEEvSM_, .Lfunc_end311-_ZN7rocprim17ROCPRIM_400000_NS6detail17trampoline_kernelINS0_14default_configENS1_22reduce_config_selectorIbEEZNS1_11reduce_implILb1ES3_N6hipcub16HIPCUB_304000_NS22TransformInputIteratorIb7NonZeroIdEPdlEEPllNS8_6detail34convert_binary_result_type_wrapperINS8_3SumESD_lEEEE10hipError_tPvRmT1_T2_T3_mT4_P12ihipStream_tbEUlT_E0_NS1_11comp_targetILNS1_3genE8ELNS1_11target_archE1030ELNS1_3gpuE2ELNS1_3repE0EEENS1_30default_config_static_selectorELNS0_4arch9wavefront6targetE1EEEvSM_
                                        ; -- End function
	.set _ZN7rocprim17ROCPRIM_400000_NS6detail17trampoline_kernelINS0_14default_configENS1_22reduce_config_selectorIbEEZNS1_11reduce_implILb1ES3_N6hipcub16HIPCUB_304000_NS22TransformInputIteratorIb7NonZeroIdEPdlEEPllNS8_6detail34convert_binary_result_type_wrapperINS8_3SumESD_lEEEE10hipError_tPvRmT1_T2_T3_mT4_P12ihipStream_tbEUlT_E0_NS1_11comp_targetILNS1_3genE8ELNS1_11target_archE1030ELNS1_3gpuE2ELNS1_3repE0EEENS1_30default_config_static_selectorELNS0_4arch9wavefront6targetE1EEEvSM_.num_vgpr, 0
	.set _ZN7rocprim17ROCPRIM_400000_NS6detail17trampoline_kernelINS0_14default_configENS1_22reduce_config_selectorIbEEZNS1_11reduce_implILb1ES3_N6hipcub16HIPCUB_304000_NS22TransformInputIteratorIb7NonZeroIdEPdlEEPllNS8_6detail34convert_binary_result_type_wrapperINS8_3SumESD_lEEEE10hipError_tPvRmT1_T2_T3_mT4_P12ihipStream_tbEUlT_E0_NS1_11comp_targetILNS1_3genE8ELNS1_11target_archE1030ELNS1_3gpuE2ELNS1_3repE0EEENS1_30default_config_static_selectorELNS0_4arch9wavefront6targetE1EEEvSM_.num_agpr, 0
	.set _ZN7rocprim17ROCPRIM_400000_NS6detail17trampoline_kernelINS0_14default_configENS1_22reduce_config_selectorIbEEZNS1_11reduce_implILb1ES3_N6hipcub16HIPCUB_304000_NS22TransformInputIteratorIb7NonZeroIdEPdlEEPllNS8_6detail34convert_binary_result_type_wrapperINS8_3SumESD_lEEEE10hipError_tPvRmT1_T2_T3_mT4_P12ihipStream_tbEUlT_E0_NS1_11comp_targetILNS1_3genE8ELNS1_11target_archE1030ELNS1_3gpuE2ELNS1_3repE0EEENS1_30default_config_static_selectorELNS0_4arch9wavefront6targetE1EEEvSM_.numbered_sgpr, 0
	.set _ZN7rocprim17ROCPRIM_400000_NS6detail17trampoline_kernelINS0_14default_configENS1_22reduce_config_selectorIbEEZNS1_11reduce_implILb1ES3_N6hipcub16HIPCUB_304000_NS22TransformInputIteratorIb7NonZeroIdEPdlEEPllNS8_6detail34convert_binary_result_type_wrapperINS8_3SumESD_lEEEE10hipError_tPvRmT1_T2_T3_mT4_P12ihipStream_tbEUlT_E0_NS1_11comp_targetILNS1_3genE8ELNS1_11target_archE1030ELNS1_3gpuE2ELNS1_3repE0EEENS1_30default_config_static_selectorELNS0_4arch9wavefront6targetE1EEEvSM_.num_named_barrier, 0
	.set _ZN7rocprim17ROCPRIM_400000_NS6detail17trampoline_kernelINS0_14default_configENS1_22reduce_config_selectorIbEEZNS1_11reduce_implILb1ES3_N6hipcub16HIPCUB_304000_NS22TransformInputIteratorIb7NonZeroIdEPdlEEPllNS8_6detail34convert_binary_result_type_wrapperINS8_3SumESD_lEEEE10hipError_tPvRmT1_T2_T3_mT4_P12ihipStream_tbEUlT_E0_NS1_11comp_targetILNS1_3genE8ELNS1_11target_archE1030ELNS1_3gpuE2ELNS1_3repE0EEENS1_30default_config_static_selectorELNS0_4arch9wavefront6targetE1EEEvSM_.private_seg_size, 0
	.set _ZN7rocprim17ROCPRIM_400000_NS6detail17trampoline_kernelINS0_14default_configENS1_22reduce_config_selectorIbEEZNS1_11reduce_implILb1ES3_N6hipcub16HIPCUB_304000_NS22TransformInputIteratorIb7NonZeroIdEPdlEEPllNS8_6detail34convert_binary_result_type_wrapperINS8_3SumESD_lEEEE10hipError_tPvRmT1_T2_T3_mT4_P12ihipStream_tbEUlT_E0_NS1_11comp_targetILNS1_3genE8ELNS1_11target_archE1030ELNS1_3gpuE2ELNS1_3repE0EEENS1_30default_config_static_selectorELNS0_4arch9wavefront6targetE1EEEvSM_.uses_vcc, 0
	.set _ZN7rocprim17ROCPRIM_400000_NS6detail17trampoline_kernelINS0_14default_configENS1_22reduce_config_selectorIbEEZNS1_11reduce_implILb1ES3_N6hipcub16HIPCUB_304000_NS22TransformInputIteratorIb7NonZeroIdEPdlEEPllNS8_6detail34convert_binary_result_type_wrapperINS8_3SumESD_lEEEE10hipError_tPvRmT1_T2_T3_mT4_P12ihipStream_tbEUlT_E0_NS1_11comp_targetILNS1_3genE8ELNS1_11target_archE1030ELNS1_3gpuE2ELNS1_3repE0EEENS1_30default_config_static_selectorELNS0_4arch9wavefront6targetE1EEEvSM_.uses_flat_scratch, 0
	.set _ZN7rocprim17ROCPRIM_400000_NS6detail17trampoline_kernelINS0_14default_configENS1_22reduce_config_selectorIbEEZNS1_11reduce_implILb1ES3_N6hipcub16HIPCUB_304000_NS22TransformInputIteratorIb7NonZeroIdEPdlEEPllNS8_6detail34convert_binary_result_type_wrapperINS8_3SumESD_lEEEE10hipError_tPvRmT1_T2_T3_mT4_P12ihipStream_tbEUlT_E0_NS1_11comp_targetILNS1_3genE8ELNS1_11target_archE1030ELNS1_3gpuE2ELNS1_3repE0EEENS1_30default_config_static_selectorELNS0_4arch9wavefront6targetE1EEEvSM_.has_dyn_sized_stack, 0
	.set _ZN7rocprim17ROCPRIM_400000_NS6detail17trampoline_kernelINS0_14default_configENS1_22reduce_config_selectorIbEEZNS1_11reduce_implILb1ES3_N6hipcub16HIPCUB_304000_NS22TransformInputIteratorIb7NonZeroIdEPdlEEPllNS8_6detail34convert_binary_result_type_wrapperINS8_3SumESD_lEEEE10hipError_tPvRmT1_T2_T3_mT4_P12ihipStream_tbEUlT_E0_NS1_11comp_targetILNS1_3genE8ELNS1_11target_archE1030ELNS1_3gpuE2ELNS1_3repE0EEENS1_30default_config_static_selectorELNS0_4arch9wavefront6targetE1EEEvSM_.has_recursion, 0
	.set _ZN7rocprim17ROCPRIM_400000_NS6detail17trampoline_kernelINS0_14default_configENS1_22reduce_config_selectorIbEEZNS1_11reduce_implILb1ES3_N6hipcub16HIPCUB_304000_NS22TransformInputIteratorIb7NonZeroIdEPdlEEPllNS8_6detail34convert_binary_result_type_wrapperINS8_3SumESD_lEEEE10hipError_tPvRmT1_T2_T3_mT4_P12ihipStream_tbEUlT_E0_NS1_11comp_targetILNS1_3genE8ELNS1_11target_archE1030ELNS1_3gpuE2ELNS1_3repE0EEENS1_30default_config_static_selectorELNS0_4arch9wavefront6targetE1EEEvSM_.has_indirect_call, 0
	.section	.AMDGPU.csdata,"",@progbits
; Kernel info:
; codeLenInByte = 0
; TotalNumSgprs: 6
; NumVgprs: 0
; NumAgprs: 0
; TotalNumVgprs: 0
; ScratchSize: 0
; MemoryBound: 0
; FloatMode: 240
; IeeeMode: 1
; LDSByteSize: 0 bytes/workgroup (compile time only)
; SGPRBlocks: 0
; VGPRBlocks: 0
; NumSGPRsForWavesPerEU: 6
; NumVGPRsForWavesPerEU: 1
; AccumOffset: 4
; Occupancy: 8
; WaveLimiterHint : 0
; COMPUTE_PGM_RSRC2:SCRATCH_EN: 0
; COMPUTE_PGM_RSRC2:USER_SGPR: 2
; COMPUTE_PGM_RSRC2:TRAP_HANDLER: 0
; COMPUTE_PGM_RSRC2:TGID_X_EN: 1
; COMPUTE_PGM_RSRC2:TGID_Y_EN: 0
; COMPUTE_PGM_RSRC2:TGID_Z_EN: 0
; COMPUTE_PGM_RSRC2:TIDIG_COMP_CNT: 0
; COMPUTE_PGM_RSRC3_GFX90A:ACCUM_OFFSET: 0
; COMPUTE_PGM_RSRC3_GFX90A:TG_SPLIT: 0
	.section	.text._ZN7rocprim17ROCPRIM_400000_NS6detail17trampoline_kernelINS0_14default_configENS1_22reduce_config_selectorIbEEZNS1_11reduce_implILb1ES3_N6hipcub16HIPCUB_304000_NS22TransformInputIteratorIb7NonZeroIdEPdlEEPllNS8_6detail34convert_binary_result_type_wrapperINS8_3SumESD_lEEEE10hipError_tPvRmT1_T2_T3_mT4_P12ihipStream_tbEUlT_E1_NS1_11comp_targetILNS1_3genE0ELNS1_11target_archE4294967295ELNS1_3gpuE0ELNS1_3repE0EEENS1_30default_config_static_selectorELNS0_4arch9wavefront6targetE1EEEvSM_,"axG",@progbits,_ZN7rocprim17ROCPRIM_400000_NS6detail17trampoline_kernelINS0_14default_configENS1_22reduce_config_selectorIbEEZNS1_11reduce_implILb1ES3_N6hipcub16HIPCUB_304000_NS22TransformInputIteratorIb7NonZeroIdEPdlEEPllNS8_6detail34convert_binary_result_type_wrapperINS8_3SumESD_lEEEE10hipError_tPvRmT1_T2_T3_mT4_P12ihipStream_tbEUlT_E1_NS1_11comp_targetILNS1_3genE0ELNS1_11target_archE4294967295ELNS1_3gpuE0ELNS1_3repE0EEENS1_30default_config_static_selectorELNS0_4arch9wavefront6targetE1EEEvSM_,comdat
	.protected	_ZN7rocprim17ROCPRIM_400000_NS6detail17trampoline_kernelINS0_14default_configENS1_22reduce_config_selectorIbEEZNS1_11reduce_implILb1ES3_N6hipcub16HIPCUB_304000_NS22TransformInputIteratorIb7NonZeroIdEPdlEEPllNS8_6detail34convert_binary_result_type_wrapperINS8_3SumESD_lEEEE10hipError_tPvRmT1_T2_T3_mT4_P12ihipStream_tbEUlT_E1_NS1_11comp_targetILNS1_3genE0ELNS1_11target_archE4294967295ELNS1_3gpuE0ELNS1_3repE0EEENS1_30default_config_static_selectorELNS0_4arch9wavefront6targetE1EEEvSM_ ; -- Begin function _ZN7rocprim17ROCPRIM_400000_NS6detail17trampoline_kernelINS0_14default_configENS1_22reduce_config_selectorIbEEZNS1_11reduce_implILb1ES3_N6hipcub16HIPCUB_304000_NS22TransformInputIteratorIb7NonZeroIdEPdlEEPllNS8_6detail34convert_binary_result_type_wrapperINS8_3SumESD_lEEEE10hipError_tPvRmT1_T2_T3_mT4_P12ihipStream_tbEUlT_E1_NS1_11comp_targetILNS1_3genE0ELNS1_11target_archE4294967295ELNS1_3gpuE0ELNS1_3repE0EEENS1_30default_config_static_selectorELNS0_4arch9wavefront6targetE1EEEvSM_
	.globl	_ZN7rocprim17ROCPRIM_400000_NS6detail17trampoline_kernelINS0_14default_configENS1_22reduce_config_selectorIbEEZNS1_11reduce_implILb1ES3_N6hipcub16HIPCUB_304000_NS22TransformInputIteratorIb7NonZeroIdEPdlEEPllNS8_6detail34convert_binary_result_type_wrapperINS8_3SumESD_lEEEE10hipError_tPvRmT1_T2_T3_mT4_P12ihipStream_tbEUlT_E1_NS1_11comp_targetILNS1_3genE0ELNS1_11target_archE4294967295ELNS1_3gpuE0ELNS1_3repE0EEENS1_30default_config_static_selectorELNS0_4arch9wavefront6targetE1EEEvSM_
	.p2align	8
	.type	_ZN7rocprim17ROCPRIM_400000_NS6detail17trampoline_kernelINS0_14default_configENS1_22reduce_config_selectorIbEEZNS1_11reduce_implILb1ES3_N6hipcub16HIPCUB_304000_NS22TransformInputIteratorIb7NonZeroIdEPdlEEPllNS8_6detail34convert_binary_result_type_wrapperINS8_3SumESD_lEEEE10hipError_tPvRmT1_T2_T3_mT4_P12ihipStream_tbEUlT_E1_NS1_11comp_targetILNS1_3genE0ELNS1_11target_archE4294967295ELNS1_3gpuE0ELNS1_3repE0EEENS1_30default_config_static_selectorELNS0_4arch9wavefront6targetE1EEEvSM_,@function
_ZN7rocprim17ROCPRIM_400000_NS6detail17trampoline_kernelINS0_14default_configENS1_22reduce_config_selectorIbEEZNS1_11reduce_implILb1ES3_N6hipcub16HIPCUB_304000_NS22TransformInputIteratorIb7NonZeroIdEPdlEEPllNS8_6detail34convert_binary_result_type_wrapperINS8_3SumESD_lEEEE10hipError_tPvRmT1_T2_T3_mT4_P12ihipStream_tbEUlT_E1_NS1_11comp_targetILNS1_3genE0ELNS1_11target_archE4294967295ELNS1_3gpuE0ELNS1_3repE0EEENS1_30default_config_static_selectorELNS0_4arch9wavefront6targetE1EEEvSM_: ; @_ZN7rocprim17ROCPRIM_400000_NS6detail17trampoline_kernelINS0_14default_configENS1_22reduce_config_selectorIbEEZNS1_11reduce_implILb1ES3_N6hipcub16HIPCUB_304000_NS22TransformInputIteratorIb7NonZeroIdEPdlEEPllNS8_6detail34convert_binary_result_type_wrapperINS8_3SumESD_lEEEE10hipError_tPvRmT1_T2_T3_mT4_P12ihipStream_tbEUlT_E1_NS1_11comp_targetILNS1_3genE0ELNS1_11target_archE4294967295ELNS1_3gpuE0ELNS1_3repE0EEENS1_30default_config_static_selectorELNS0_4arch9wavefront6targetE1EEEvSM_
; %bb.0:
	s_load_dword s33, s[0:1], 0x4
	s_load_dwordx2 s[40:41], s[0:1], 0x8
	s_load_dwordx4 s[36:39], s[0:1], 0x18
	s_waitcnt lgkmcnt(0)
	s_cmp_lt_i32 s33, 16
	s_cbranch_scc1 .LBB312_10
; %bb.1:
	s_cmp_gt_i32 s33, 63
	s_cbranch_scc0 .LBB312_11
; %bb.2:
	s_cmpk_gt_i32 s33, 0x7f
	s_cbranch_scc0 .LBB312_12
; %bb.3:
	s_mov_b64 s[22:23], 0
	s_cmpk_eq_i32 s33, 0x80
	s_mov_b64 s[4:5], 0
                                        ; implicit-def: $vgpr2_vgpr3
                                        ; implicit-def: $vgpr4_vgpr5
	s_cbranch_scc0 .LBB312_13
; %bb.4:
	s_mov_b32 s3, 0
	s_lshl_b32 s26, s2, 15
	s_mov_b32 s27, s3
	s_lshr_b64 s[4:5], s[36:37], 15
	s_lshl_b64 s[6:7], s[26:27], 3
	s_add_u32 s24, s40, s6
	s_addc_u32 s25, s41, s7
	s_cmp_lg_u64 s[4:5], s[2:3]
	s_cbranch_scc0 .LBB312_21
; %bb.5:
	v_lshlrev_b32_e32 v2, 3, v0
	v_mov_b32_e32 v3, 0
	v_lshl_add_u64 v[86:87], s[24:25], 0, v[2:3]
	v_add_co_u32_e32 v4, vcc, 0x1000, v86
	global_load_dwordx2 v[24:25], v2, s[24:25]
	global_load_dwordx2 v[30:31], v2, s[24:25] offset:2048
	v_addc_co_u32_e32 v5, vcc, 0, v87, vcc
	global_load_dwordx2 v[32:33], v[4:5], off
	global_load_dwordx2 v[34:35], v[4:5], off offset:2048
	v_add_co_u32_e32 v4, vcc, 0x2000, v86
	v_mov_b32_e32 v27, s3
	s_nop 0
	v_addc_co_u32_e32 v5, vcc, 0, v87, vcc
	global_load_dwordx2 v[36:37], v[4:5], off
	global_load_dwordx2 v[38:39], v[4:5], off offset:2048
	v_add_co_u32_e32 v4, vcc, 0x3000, v86
	v_mov_b32_e32 v29, s3
	s_nop 0
	;; [unrolled: 6-line block ×6, first 2 shown]
	v_addc_co_u32_e32 v5, vcc, 0, v87, vcc
	global_load_dwordx2 v[56:57], v[4:5], off
	global_load_dwordx2 v[58:59], v[4:5], off offset:2048
	v_mov_b32_e32 v5, s3
	v_mov_b32_e32 v9, s3
	;; [unrolled: 1-line block ×6, first 2 shown]
	s_waitcnt vmcnt(15)
	v_cmp_neq_f64_e64 s[6:7], 0, v[24:25]
	s_waitcnt vmcnt(14)
	v_cmp_neq_f64_e64 s[8:9], 0, v[30:31]
	v_cndmask_b32_e64 v2, 0, 1, s[6:7]
	s_waitcnt vmcnt(13)
	v_cmp_neq_f64_e64 s[4:5], 0, v[32:33]
	s_waitcnt vmcnt(12)
	v_cmp_neq_f64_e32 vcc, 0, v[34:35]
	v_cndmask_b32_e64 v1, 0, 1, s[8:9]
	v_addc_co_u32_e64 v2, s[4:5], v1, v2, s[4:5]
	v_cndmask_b32_e64 v26, 0, 1, vcc
	s_waitcnt vmcnt(11)
	v_cmp_neq_f64_e32 vcc, 0, v[36:37]
	s_waitcnt vmcnt(10)
	v_cmp_neq_f64_e64 s[10:11], 0, v[38:39]
	v_lshl_add_u64 v[26:27], v[2:3], 0, v[26:27]
	v_cndmask_b32_e64 v28, 0, 1, vcc
	v_cndmask_b32_e64 v22, 0, 1, s[10:11]
	v_lshl_add_u64 v[26:27], v[26:27], 0, v[28:29]
	s_waitcnt vmcnt(9)
	v_cmp_neq_f64_e32 vcc, 0, v[40:41]
	s_waitcnt vmcnt(8)
	v_cmp_neq_f64_e64 s[10:11], 0, v[42:43]
	v_lshl_add_u64 v[22:23], v[26:27], 0, v[22:23]
	v_cndmask_b32_e64 v20, 0, 1, vcc
	v_cndmask_b32_e64 v18, 0, 1, s[10:11]
	v_lshl_add_u64 v[20:21], v[22:23], 0, v[20:21]
	;; [unrolled: 8-line block ×5, first 2 shown]
	s_waitcnt vmcnt(1)
	v_cmp_neq_f64_e32 vcc, 0, v[56:57]
	v_lshl_add_u64 v[4:5], v[4:5], 0, v[14:15]
	v_mov_b32_e32 v25, s3
	v_cndmask_b32_e64 v16, 0, 1, vcc
	s_waitcnt vmcnt(0)
	v_cmp_neq_f64_e32 vcc, 0, v[58:59]
	v_lshl_add_u64 v[4:5], v[4:5], 0, v[16:17]
	v_mov_b32_e32 v27, s3
	v_cndmask_b32_e64 v24, 0, 1, vcc
	v_add_co_u32_e32 v34, vcc, 0x8000, v86
	v_lshl_add_u64 v[4:5], v[4:5], 0, v[24:25]
	s_nop 0
	v_addc_co_u32_e32 v35, vcc, 0, v87, vcc
	v_add_co_u32_e32 v38, vcc, 0x9000, v86
	global_load_dwordx2 v[30:31], v[34:35], off
	global_load_dwordx2 v[32:33], v[34:35], off offset:2048
	v_addc_co_u32_e32 v39, vcc, 0, v87, vcc
	v_add_co_u32_e32 v42, vcc, 0xa000, v86
	global_load_dwordx2 v[34:35], v[38:39], off
	global_load_dwordx2 v[36:37], v[38:39], off offset:2048
	;; [unrolled: 4-line block ×4, first 2 shown]
	v_addc_co_u32_e32 v51, vcc, 0, v87, vcc
	global_load_dwordx2 v[46:47], v[50:51], off
	global_load_dwordx2 v[48:49], v[50:51], off offset:2048
	v_add_co_u32_e32 v50, vcc, 0xd000, v86
	v_mov_b32_e32 v23, s3
	s_nop 0
	v_addc_co_u32_e32 v51, vcc, 0, v87, vcc
	global_load_dwordx2 v[52:53], v[50:51], off
	global_load_dwordx2 v[54:55], v[50:51], off offset:2048
	v_add_co_u32_e32 v50, vcc, 0xe000, v86
	v_mov_b32_e32 v21, s3
	s_nop 0
	v_addc_co_u32_e32 v51, vcc, 0, v87, vcc
	global_load_dwordx2 v[56:57], v[50:51], off
	global_load_dwordx2 v[58:59], v[50:51], off offset:2048
	v_add_co_u32_e32 v50, vcc, 0xf000, v86
	v_mov_b32_dpp v7, v3 quad_perm:[1,0,3,2] row_mask:0xf bank_mask:0xf bound_ctrl:1
	s_nop 0
	v_addc_co_u32_e32 v51, vcc, 0, v87, vcc
	global_load_dwordx2 v[60:61], v[50:51], off
	global_load_dwordx2 v[62:63], v[50:51], off offset:2048
	v_add_co_u32_e32 v50, vcc, 0x10000, v86
	v_mov_b32_e32 v6, v3
	s_nop 0
	v_addc_co_u32_e32 v51, vcc, 0, v87, vcc
	global_load_dwordx2 v[64:65], v[50:51], off
	global_load_dwordx2 v[66:67], v[50:51], off offset:2048
	v_add_co_u32_e32 v50, vcc, 0x11000, v86
	v_mbcnt_lo_u32_b32 v1, -1, 0
	s_nop 0
	v_addc_co_u32_e32 v51, vcc, 0, v87, vcc
	global_load_dwordx2 v[68:69], v[50:51], off
	global_load_dwordx2 v[70:71], v[50:51], off offset:2048
	v_add_co_u32_e32 v50, vcc, 0x12000, v86
	v_mbcnt_hi_u32_b32 v1, -1, v1
	s_nop 0
	v_addc_co_u32_e32 v51, vcc, 0, v87, vcc
	global_load_dwordx2 v[72:73], v[50:51], off
	global_load_dwordx2 v[74:75], v[50:51], off offset:2048
	v_add_co_u32_e32 v50, vcc, 0x13000, v86
	s_nop 1
	v_addc_co_u32_e32 v51, vcc, 0, v87, vcc
	global_load_dwordx2 v[76:77], v[50:51], off
	global_load_dwordx2 v[78:79], v[50:51], off offset:2048
	v_add_co_u32_e32 v50, vcc, 0x14000, v86
	;; [unrolled: 5-line block ×3, first 2 shown]
	s_nop 1
	v_addc_co_u32_e32 v51, vcc, 0, v87, vcc
	global_load_dwordx2 v[84:85], v[50:51], off
	global_load_dwordx2 v[88:89], v[50:51], off offset:2048
	v_mov_b32_e32 v51, s3
	s_waitcnt vmcnt(27)
	v_cmp_neq_f64_e32 vcc, 0, v[30:31]
	s_nop 1
	v_cndmask_b32_e64 v30, 0, 1, vcc
	s_waitcnt vmcnt(26)
	v_cmp_neq_f64_e32 vcc, 0, v[32:33]
	v_mov_b32_e32 v31, s3
	v_mov_b32_e32 v33, s3
	v_cndmask_b32_e64 v32, 0, 1, vcc
	s_waitcnt vmcnt(25)
	v_cmp_neq_f64_e32 vcc, 0, v[34:35]
	v_lshl_add_u64 v[4:5], v[4:5], 0, v[30:31]
	v_mov_b32_e32 v35, s3
	v_cndmask_b32_e64 v34, 0, 1, vcc
	s_waitcnt vmcnt(24)
	v_cmp_neq_f64_e32 vcc, 0, v[36:37]
	v_lshl_add_u64 v[4:5], v[4:5], 0, v[32:33]
	;; [unrolled: 5-line block ×9, first 2 shown]
	v_lshl_add_u64 v[4:5], v[4:5], 0, v[48:49]
	v_cndmask_b32_e64 v50, 0, 1, vcc
	s_waitcnt vmcnt(16)
	v_cmp_neq_f64_e32 vcc, 0, v[54:55]
	v_mov_b32_e32 v53, s3
	v_lshl_add_u64 v[4:5], v[4:5], 0, v[50:51]
	v_cndmask_b32_e64 v52, 0, 1, vcc
	s_waitcnt vmcnt(15)
	v_cmp_neq_f64_e32 vcc, 0, v[56:57]
	v_mov_b32_e32 v55, s3
	v_lshl_add_u64 v[4:5], v[4:5], 0, v[52:53]
	v_cndmask_b32_e64 v54, 0, 1, vcc
	s_waitcnt vmcnt(14)
	v_cmp_neq_f64_e32 vcc, 0, v[58:59]
	v_mov_b32_e32 v57, s3
	v_lshl_add_u64 v[4:5], v[4:5], 0, v[54:55]
	v_cndmask_b32_e64 v56, 0, 1, vcc
	s_waitcnt vmcnt(13)
	v_cmp_neq_f64_e32 vcc, 0, v[60:61]
	v_mov_b32_e32 v59, s3
	v_lshl_add_u64 v[4:5], v[4:5], 0, v[56:57]
	v_cndmask_b32_e64 v58, 0, 1, vcc
	s_waitcnt vmcnt(12)
	v_cmp_neq_f64_e32 vcc, 0, v[62:63]
	v_mov_b32_e32 v61, s3
	v_lshl_add_u64 v[4:5], v[4:5], 0, v[58:59]
	v_cndmask_b32_e64 v60, 0, 1, vcc
	s_waitcnt vmcnt(11)
	v_cmp_neq_f64_e32 vcc, 0, v[64:65]
	v_mov_b32_e32 v63, s3
	v_lshl_add_u64 v[4:5], v[4:5], 0, v[60:61]
	v_cndmask_b32_e64 v62, 0, 1, vcc
	s_waitcnt vmcnt(10)
	v_cmp_neq_f64_e32 vcc, 0, v[66:67]
	v_mov_b32_e32 v65, s3
	v_lshl_add_u64 v[4:5], v[4:5], 0, v[62:63]
	v_cndmask_b32_e64 v64, 0, 1, vcc
	s_waitcnt vmcnt(9)
	v_cmp_neq_f64_e32 vcc, 0, v[68:69]
	v_mov_b32_e32 v67, s3
	v_lshl_add_u64 v[4:5], v[4:5], 0, v[64:65]
	v_cndmask_b32_e64 v66, 0, 1, vcc
	s_waitcnt vmcnt(8)
	v_cmp_neq_f64_e32 vcc, 0, v[70:71]
	v_mov_b32_e32 v69, s3
	v_lshl_add_u64 v[4:5], v[4:5], 0, v[66:67]
	v_cndmask_b32_e64 v68, 0, 1, vcc
	s_waitcnt vmcnt(7)
	v_cmp_neq_f64_e32 vcc, 0, v[72:73]
	v_mov_b32_e32 v71, s3
	v_lshl_add_u64 v[4:5], v[4:5], 0, v[68:69]
	v_cndmask_b32_e64 v70, 0, 1, vcc
	s_waitcnt vmcnt(6)
	v_cmp_neq_f64_e32 vcc, 0, v[74:75]
	v_mov_b32_e32 v73, s3
	v_lshl_add_u64 v[4:5], v[4:5], 0, v[70:71]
	v_cndmask_b32_e64 v72, 0, 1, vcc
	s_waitcnt vmcnt(5)
	v_cmp_neq_f64_e32 vcc, 0, v[76:77]
	v_mov_b32_e32 v75, s3
	v_lshl_add_u64 v[4:5], v[4:5], 0, v[72:73]
	v_cndmask_b32_e64 v74, 0, 1, vcc
	s_waitcnt vmcnt(4)
	v_cmp_neq_f64_e32 vcc, 0, v[78:79]
	v_mov_b32_e32 v77, s3
	v_lshl_add_u64 v[4:5], v[4:5], 0, v[74:75]
	v_cndmask_b32_e64 v76, 0, 1, vcc
	s_waitcnt vmcnt(3)
	v_cmp_neq_f64_e32 vcc, 0, v[80:81]
	v_mov_b32_e32 v79, s3
	v_lshl_add_u64 v[4:5], v[4:5], 0, v[76:77]
	v_cndmask_b32_e64 v78, 0, 1, vcc
	s_waitcnt vmcnt(2)
	v_cmp_neq_f64_e32 vcc, 0, v[82:83]
	v_mov_b32_e32 v81, s3
	v_lshl_add_u64 v[4:5], v[4:5], 0, v[78:79]
	v_cndmask_b32_e64 v80, 0, 1, vcc
	s_waitcnt vmcnt(1)
	v_cmp_neq_f64_e32 vcc, 0, v[84:85]
	v_mov_b32_e32 v83, s3
	v_lshl_add_u64 v[4:5], v[4:5], 0, v[80:81]
	v_cndmask_b32_e64 v82, 0, 1, vcc
	s_waitcnt vmcnt(0)
	v_cmp_neq_f64_e32 vcc, 0, v[88:89]
	v_mov_b32_e32 v85, s3
	v_lshl_add_u64 v[4:5], v[4:5], 0, v[82:83]
	v_cndmask_b32_e64 v84, 0, 1, vcc
	v_add_co_u32_e32 v92, vcc, 0x16000, v86
	v_lshl_add_u64 v[4:5], v[4:5], 0, v[84:85]
	s_nop 0
	v_addc_co_u32_e32 v93, vcc, 0, v87, vcc
	v_add_co_u32_e32 v96, vcc, 0x17000, v86
	global_load_dwordx2 v[88:89], v[92:93], off
	global_load_dwordx2 v[90:91], v[92:93], off offset:2048
	v_addc_co_u32_e32 v97, vcc, 0, v87, vcc
	v_add_co_u32_e32 v100, vcc, 0x18000, v86
	global_load_dwordx2 v[92:93], v[96:97], off
	global_load_dwordx2 v[94:95], v[96:97], off offset:2048
	;; [unrolled: 4-line block ×5, first 2 shown]
	v_addc_co_u32_e32 v113, vcc, 0, v87, vcc
	global_load_dwordx2 v[108:109], v[112:113], off
	global_load_dwordx2 v[110:111], v[112:113], off offset:2048
	v_add_co_u32_e32 v112, vcc, 0x1c000, v86
	s_nop 1
	v_addc_co_u32_e32 v113, vcc, 0, v87, vcc
	global_load_dwordx2 v[114:115], v[112:113], off
	global_load_dwordx2 v[116:117], v[112:113], off offset:2048
	v_add_co_u32_e32 v112, vcc, 0x1d000, v86
	s_nop 1
	;; [unrolled: 5-line block ×7, first 2 shown]
	v_addc_co_u32_e32 v113, vcc, 0, v87, vcc
	v_add_co_u32_e32 v142, vcc, 0x23000, v86
	global_load_dwordx2 v[138:139], v[112:113], off
	global_load_dwordx2 v[140:141], v[112:113], off offset:2048
	v_addc_co_u32_e32 v143, vcc, 0, v87, vcc
	global_load_dwordx2 v[144:145], v[142:143], off
	v_mov_b32_e32 v113, s3
	global_load_dwordx2 v[142:143], v[142:143], off offset:2048
	s_waitcnt vmcnt(27)
	v_cmp_neq_f64_e32 vcc, 0, v[88:89]
	s_nop 1
	v_cndmask_b32_e64 v88, 0, 1, vcc
	s_waitcnt vmcnt(26)
	v_cmp_neq_f64_e32 vcc, 0, v[90:91]
	v_mov_b32_e32 v89, s3
	v_mov_b32_e32 v91, s3
	v_cndmask_b32_e64 v90, 0, 1, vcc
	s_waitcnt vmcnt(25)
	v_cmp_neq_f64_e32 vcc, 0, v[92:93]
	v_lshl_add_u64 v[4:5], v[4:5], 0, v[88:89]
	v_mov_b32_e32 v93, s3
	v_cndmask_b32_e64 v92, 0, 1, vcc
	s_waitcnt vmcnt(24)
	v_cmp_neq_f64_e32 vcc, 0, v[94:95]
	v_lshl_add_u64 v[4:5], v[4:5], 0, v[90:91]
	;; [unrolled: 5-line block ×11, first 2 shown]
	v_lshl_add_u64 v[4:5], v[4:5], 0, v[110:111]
	v_cndmask_b32_e64 v112, 0, 1, vcc
	s_waitcnt vmcnt(14)
	v_cmp_neq_f64_e32 vcc, 0, v[116:117]
	v_mov_b32_e32 v115, s3
	v_lshl_add_u64 v[4:5], v[4:5], 0, v[112:113]
	v_cndmask_b32_e64 v114, 0, 1, vcc
	s_waitcnt vmcnt(13)
	v_cmp_neq_f64_e32 vcc, 0, v[118:119]
	v_mov_b32_e32 v117, s3
	;; [unrolled: 5-line block ×14, first 2 shown]
	v_lshl_add_u64 v[4:5], v[4:5], 0, v[138:139]
	v_cndmask_b32_e64 v140, 0, 1, vcc
	v_add_co_u32_e32 v146, vcc, 0x24000, v86
	v_lshl_add_u64 v[4:5], v[4:5], 0, v[140:141]
	s_nop 0
	v_addc_co_u32_e32 v147, vcc, 0, v87, vcc
	global_load_dwordx2 v[144:145], v[146:147], off
	s_nop 0
	global_load_dwordx2 v[146:147], v[146:147], off offset:2048
	v_add_co_u32_e32 v150, vcc, 0x25000, v86
	s_nop 1
	v_addc_co_u32_e32 v151, vcc, 0, v87, vcc
	global_load_dwordx2 v[148:149], v[150:151], off
	s_nop 0
	global_load_dwordx2 v[150:151], v[150:151], off offset:2048
	v_add_co_u32_e32 v154, vcc, 0x26000, v86
	;; [unrolled: 6-line block ×6, first 2 shown]
	s_nop 1
	v_addc_co_u32_e32 v169, vcc, 0, v87, vcc
	global_load_dwordx2 v[170:171], v[168:169], off
	global_load_dwordx2 v[172:173], v[168:169], off offset:2048
	v_add_co_u32_e32 v168, vcc, 0x2b000, v86
	s_nop 1
	v_addc_co_u32_e32 v169, vcc, 0, v87, vcc
	global_load_dwordx2 v[174:175], v[168:169], off
	global_load_dwordx2 v[176:177], v[168:169], off offset:2048
	v_add_co_u32_e32 v168, vcc, 0x2c000, v86
	;; [unrolled: 5-line block ×7, first 2 shown]
	s_waitcnt vmcnt(1)
	v_cmp_neq_f64_e64 s[16:17], 0, v[194:195]
	v_addc_co_u32_e32 v169, vcc, 0, v87, vcc
	global_load_dwordx2 v[198:199], v[168:169], off
	global_load_dwordx2 v[200:201], v[168:169], off offset:2048
	v_cmp_neq_f64_e32 vcc, 0, v[142:143]
	s_waitcnt vmcnt(2)
	v_cmp_neq_f64_e64 s[14:15], 0, v[196:197]
	v_mov_b32_e32 v143, s3
	v_cndmask_b32_e64 v142, 0, 1, vcc
	v_cmp_neq_f64_e32 vcc, 0, v[144:145]
	v_mov_b32_e32 v145, s3
	v_lshl_add_u64 v[4:5], v[4:5], 0, v[142:143]
	v_cndmask_b32_e64 v144, 0, 1, vcc
	v_cmp_neq_f64_e32 vcc, 0, v[146:147]
	v_mov_b32_e32 v147, s3
	v_lshl_add_u64 v[4:5], v[4:5], 0, v[144:145]
	;; [unrolled: 4-line block ×18, first 2 shown]
	v_cndmask_b32_e64 v178, 0, 1, vcc
	v_cmp_neq_f64_e32 vcc, 0, v[182:183]
	v_mov_b32_e32 v181, s3
	s_waitcnt vmcnt(1)
	v_cmp_neq_f64_e64 s[12:13], 0, v[198:199]
	v_cndmask_b32_e64 v180, 0, 1, vcc
	v_cmp_neq_f64_e32 vcc, 0, v[184:185]
	s_waitcnt vmcnt(0)
	v_cmp_neq_f64_e64 s[10:11], 0, v[200:201]
	v_lshl_add_u64 v[4:5], v[4:5], 0, v[178:179]
	v_cndmask_b32_e64 v182, 0, 1, vcc
	v_cmp_neq_f64_e32 vcc, 0, v[186:187]
	v_mov_b32_e32 v183, s3
	v_lshl_add_u64 v[4:5], v[4:5], 0, v[180:181]
	v_cndmask_b32_e64 v184, 0, 1, vcc
	v_cmp_neq_f64_e32 vcc, 0, v[188:189]
	v_mov_b32_e32 v185, s3
	;; [unrolled: 4-line block ×4, first 2 shown]
	v_lshl_add_u64 v[4:5], v[4:5], 0, v[186:187]
	v_cndmask_b32_e64 v190, 0, 1, vcc
	v_add_co_u32_e32 v192, vcc, 0x32000, v86
	v_mov_b32_e32 v191, s3
	s_nop 0
	v_addc_co_u32_e32 v193, vcc, 0, v87, vcc
	global_load_dwordx2 v[194:195], v[192:193], off
	s_nop 0
	global_load_dwordx2 v[192:193], v[192:193], off offset:2048
	v_add_co_u32_e32 v196, vcc, 0x33000, v86
	v_lshl_add_u64 v[4:5], v[4:5], 0, v[188:189]
	s_nop 0
	v_addc_co_u32_e32 v197, vcc, 0, v87, vcc
	global_load_dwordx2 v[198:199], v[196:197], off
	s_nop 0
	global_load_dwordx2 v[196:197], v[196:197], off offset:2048
	v_add_co_u32_e32 v200, vcc, 0x34000, v86
	v_lshl_add_u64 v[4:5], v[4:5], 0, v[190:191]
	s_nop 0
	v_addc_co_u32_e32 v201, vcc, 0, v87, vcc
	global_load_dwordx2 v[202:203], v[200:201], off
	s_nop 0
	global_load_dwordx2 v[200:201], v[200:201], off offset:2048
	v_add_co_u32_e32 v204, vcc, 0x35000, v86
	s_nop 1
	v_addc_co_u32_e32 v205, vcc, 0, v87, vcc
	global_load_dwordx2 v[206:207], v[204:205], off
	s_nop 0
	global_load_dwordx2 v[204:205], v[204:205], off offset:2048
	v_add_co_u32_e32 v208, vcc, 0x36000, v86
	;; [unrolled: 6-line block ×9, first 2 shown]
	s_waitcnt vmcnt(0)
	v_cmp_neq_f64_e64 s[18:19], 0, v[232:233]
	v_addc_co_u32_e32 v237, vcc, 0, v87, vcc
	global_load_dwordx2 v[238:239], v[236:237], off
	s_nop 0
	global_load_dwordx2 v[236:237], v[236:237], off offset:2048
	v_add_co_u32_e32 v240, vcc, 0x3e000, v86
	v_mov_b32_e32 v233, s3
	s_nop 0
	v_addc_co_u32_e32 v241, vcc, 0, v87, vcc
	global_load_dwordx2 v[242:243], v[240:241], off
	s_nop 0
	global_load_dwordx2 v[240:241], v[240:241], off offset:2048
	v_add_co_u32_e32 v244, vcc, 0x3f000, v86
	v_cndmask_b32_e64 v86, 0, 1, s[16:17]
	s_nop 0
	v_addc_co_u32_e32 v245, vcc, 0, v87, vcc
	global_load_dwordx2 v[246:247], v[244:245], off
	v_mov_b32_e32 v87, s3
	global_load_dwordx2 v[244:245], v[244:245], off offset:2048
	v_cmp_neq_f64_e64 s[16:17], 0, v[192:193]
	v_cndmask_b32_e64 v192, 0, 1, s[14:15]
	v_mov_b32_e32 v193, s3
	v_lshl_add_u64 v[4:5], v[4:5], 0, v[86:87]
	v_cmp_neq_f64_e32 vcc, 0, v[194:195]
	v_cndmask_b32_e64 v194, 0, 1, s[12:13]
	v_mov_b32_e32 v195, s3
	v_lshl_add_u64 v[4:5], v[4:5], 0, v[192:193]
	v_cmp_neq_f64_e64 s[12:13], 0, v[196:197]
	v_cndmask_b32_e64 v196, 0, 1, s[10:11]
	v_mov_b32_e32 v197, s3
	v_lshl_add_u64 v[4:5], v[4:5], 0, v[194:195]
	v_cmp_neq_f64_e64 s[14:15], 0, v[198:199]
	v_cndmask_b32_e64 v198, 0, 1, vcc
	v_mov_b32_e32 v199, s3
	v_lshl_add_u64 v[4:5], v[4:5], 0, v[196:197]
	v_cmp_neq_f64_e32 vcc, 0, v[200:201]
	v_cndmask_b32_e64 v200, 0, 1, s[16:17]
	v_mov_b32_e32 v201, s3
	v_lshl_add_u64 v[4:5], v[4:5], 0, v[198:199]
	v_cmp_neq_f64_e64 s[10:11], 0, v[202:203]
	v_cndmask_b32_e64 v202, 0, 1, s[14:15]
	v_mov_b32_e32 v203, s3
	v_lshl_add_u64 v[4:5], v[4:5], 0, v[200:201]
	v_cmp_neq_f64_e64 s[14:15], 0, v[204:205]
	;; [unrolled: 4-line block ×4, first 2 shown]
	v_cndmask_b32_e64 v208, 0, 1, vcc
	v_mov_b32_e32 v209, s3
	v_lshl_add_u64 v[4:5], v[4:5], 0, v[206:207]
	v_cmp_neq_f64_e64 s[12:13], 0, v[210:211]
	v_cndmask_b32_e64 v210, 0, 1, s[16:17]
	v_mov_b32_e32 v211, s3
	v_lshl_add_u64 v[4:5], v[4:5], 0, v[208:209]
	v_cmp_neq_f64_e64 s[16:17], 0, v[212:213]
	v_cndmask_b32_e64 v212, 0, 1, s[14:15]
	v_mov_b32_e32 v213, s3
	v_lshl_add_u64 v[4:5], v[4:5], 0, v[210:211]
	v_cmp_neq_f64_e32 vcc, 0, v[214:215]
	v_cndmask_b32_e64 v214, 0, 1, s[12:13]
	v_mov_b32_e32 v215, s3
	v_lshl_add_u64 v[4:5], v[4:5], 0, v[212:213]
	v_cmp_neq_f64_e64 s[12:13], 0, v[216:217]
	v_cndmask_b32_e64 v216, 0, 1, s[10:11]
	v_mov_b32_e32 v217, s3
	v_lshl_add_u64 v[4:5], v[4:5], 0, v[214:215]
	v_cmp_neq_f64_e64 s[14:15], 0, v[218:219]
	v_cndmask_b32_e64 v218, 0, 1, vcc
	v_mov_b32_e32 v219, s3
	v_lshl_add_u64 v[4:5], v[4:5], 0, v[216:217]
	v_cmp_neq_f64_e32 vcc, 0, v[220:221]
	v_cndmask_b32_e64 v220, 0, 1, s[16:17]
	v_mov_b32_e32 v221, s3
	v_lshl_add_u64 v[4:5], v[4:5], 0, v[218:219]
	v_cmp_neq_f64_e64 s[10:11], 0, v[222:223]
	v_cndmask_b32_e64 v222, 0, 1, s[14:15]
	v_mov_b32_e32 v223, s3
	v_lshl_add_u64 v[4:5], v[4:5], 0, v[220:221]
	v_cmp_neq_f64_e64 s[14:15], 0, v[224:225]
	v_cndmask_b32_e64 v224, 0, 1, s[12:13]
	v_mov_b32_e32 v225, s3
	v_lshl_add_u64 v[4:5], v[4:5], 0, v[222:223]
	v_cmp_neq_f64_e64 s[16:17], 0, v[226:227]
	v_cndmask_b32_e64 v226, 0, 1, s[10:11]
	v_mov_b32_e32 v227, s3
	v_lshl_add_u64 v[4:5], v[4:5], 0, v[224:225]
	v_cmp_neq_f64_e64 s[10:11], 0, v[228:229]
	v_cndmask_b32_e64 v228, 0, 1, vcc
	v_mov_b32_e32 v229, s3
	v_lshl_add_u64 v[4:5], v[4:5], 0, v[226:227]
	v_cmp_neq_f64_e64 s[12:13], 0, v[230:231]
	v_cndmask_b32_e64 v230, 0, 1, s[16:17]
	v_mov_b32_e32 v231, s3
	v_lshl_add_u64 v[4:5], v[4:5], 0, v[228:229]
	v_cndmask_b32_e64 v232, 0, 1, s[14:15]
	v_lshl_add_u64 v[4:5], v[4:5], 0, v[230:231]
	v_cmp_neq_f64_e32 vcc, 0, v[234:235]
	v_cndmask_b32_e64 v234, 0, 1, s[12:13]
	v_mov_b32_e32 v235, s3
	v_lshl_add_u64 v[4:5], v[4:5], 0, v[232:233]
	s_waitcnt vmcnt(4)
	v_cmp_neq_f64_e64 s[16:17], 0, v[236:237]
	v_cndmask_b32_e64 v236, 0, 1, s[10:11]
	v_mov_b32_e32 v237, s3
	v_lshl_add_u64 v[4:5], v[4:5], 0, v[234:235]
	v_cmp_neq_f64_e64 s[20:21], 0, v[238:239]
	v_cndmask_b32_e64 v238, 0, 1, vcc
	v_mov_b32_e32 v239, s3
	v_lshl_add_u64 v[4:5], v[4:5], 0, v[236:237]
	s_waitcnt vmcnt(2)
	v_cmp_neq_f64_e64 s[12:13], 0, v[240:241]
	v_cndmask_b32_e64 v240, 0, 1, s[18:19]
	v_mov_b32_e32 v241, s3
	v_lshl_add_u64 v[4:5], v[4:5], 0, v[238:239]
	v_cmp_neq_f64_e64 s[14:15], 0, v[242:243]
	v_cndmask_b32_e64 v242, 0, 1, s[20:21]
	v_mov_b32_e32 v243, s3
	v_lshl_add_u64 v[4:5], v[4:5], 0, v[240:241]
	s_waitcnt vmcnt(0)
	v_cmp_neq_f64_e32 vcc, 0, v[244:245]
	v_cndmask_b32_e64 v244, 0, 1, s[16:17]
	v_mov_b32_e32 v245, s3
	v_lshl_add_u64 v[4:5], v[4:5], 0, v[242:243]
	v_cndmask_b32_e64 v28, 0, 1, s[14:15]
	v_lshl_add_u64 v[4:5], v[4:5], 0, v[244:245]
	v_cmp_neq_f64_e64 s[10:11], 0, v[246:247]
	v_cndmask_b32_e64 v26, 0, 1, s[12:13]
	v_lshl_add_u64 v[4:5], v[4:5], 0, v[28:29]
	v_cndmask_b32_e64 v22, 0, 1, s[10:11]
	v_lshl_add_u64 v[4:5], v[4:5], 0, v[26:27]
	v_cndmask_b32_e64 v20, 0, 1, vcc
	v_lshl_add_u64 v[4:5], v[4:5], 0, v[22:23]
	v_lshl_add_u64 v[4:5], v[4:5], 0, v[20:21]
	v_cmp_eq_u32_e32 vcc, 0, v1
	s_nop 0
	v_mov_b32_dpp v2, v4 quad_perm:[1,0,3,2] row_mask:0xf bank_mask:0xf bound_ctrl:1
	v_lshl_add_u64 v[4:5], v[4:5], 0, v[2:3]
	v_lshl_add_u64 v[6:7], v[6:7], 0, v[4:5]
	s_nop 0
	v_mov_b32_dpp v2, v4 quad_perm:[2,3,0,1] row_mask:0xf bank_mask:0xf bound_ctrl:1
	v_mov_b32_dpp v5, v7 quad_perm:[2,3,0,1] row_mask:0xf bank_mask:0xf bound_ctrl:1
	v_mov_b32_e32 v4, v3
	v_lshl_add_u64 v[6:7], v[6:7], 0, v[2:3]
	v_lshl_add_u64 v[4:5], v[6:7], 0, v[4:5]
	s_nop 0
	v_mov_b32_dpp v2, v6 row_ror:4 row_mask:0xf bank_mask:0xf bound_ctrl:1
	v_mov_b32_dpp v7, v5 row_ror:4 row_mask:0xf bank_mask:0xf bound_ctrl:1
	v_mov_b32_e32 v6, v3
	v_lshl_add_u64 v[4:5], v[4:5], 0, v[2:3]
	v_lshl_add_u64 v[6:7], v[4:5], 0, v[6:7]
	s_nop 0
	v_mov_b32_dpp v2, v4 row_ror:8 row_mask:0xf bank_mask:0xf bound_ctrl:1
	v_mov_b32_dpp v5, v7 row_ror:8 row_mask:0xf bank_mask:0xf bound_ctrl:1
	v_mov_b32_e32 v4, v3
	v_lshl_add_u64 v[6:7], v[6:7], 0, v[2:3]
	v_lshl_add_u64 v[4:5], v[6:7], 0, v[4:5]
	s_nop 0
	v_mov_b32_dpp v2, v6 row_bcast:15 row_mask:0xf bank_mask:0xf bound_ctrl:1
	v_mov_b32_dpp v7, v5 row_bcast:15 row_mask:0xf bank_mask:0xf bound_ctrl:1
	v_mov_b32_e32 v6, v3
	v_lshl_add_u64 v[4:5], v[4:5], 0, v[2:3]
	v_lshl_add_u64 v[6:7], v[4:5], 0, v[6:7]
	s_nop 0
	v_mov_b32_dpp v2, v4 row_bcast:31 row_mask:0xf bank_mask:0xf bound_ctrl:1
	v_lshl_add_u64 v[2:3], v[6:7], 0, v[2:3]
	v_lshlrev_b32_e32 v4, 2, v1
	v_or_b32_e32 v5, 0xfc, v4
	v_add_u32_dpp v3, v7, v3 row_bcast:31 row_mask:0xf bank_mask:0xf bound_ctrl:1
	ds_bpermute_b32 v2, v5, v2
	ds_bpermute_b32 v3, v5, v3
	s_and_saveexec_b64 s[4:5], vcc
	s_cbranch_execz .LBB312_7
; %bb.6:
	v_lshrrev_b32_e32 v5, 3, v0
	v_and_b32_e32 v5, 24, v5
	s_waitcnt lgkmcnt(0)
	ds_write_b64 v5, v[2:3]
.LBB312_7:
	s_or_b64 exec, exec, s[4:5]
	v_cmp_gt_u32_e32 vcc, 64, v0
	s_waitcnt lgkmcnt(0)
	s_barrier
	s_and_saveexec_b64 s[4:5], vcc
	s_cbranch_execz .LBB312_9
; %bb.8:
	v_and_b32_e32 v5, 3, v1
	v_lshlrev_b32_e32 v2, 3, v5
	ds_read_b64 v[2:3], v2
	v_cmp_ne_u32_e32 vcc, 3, v5
	v_mov_b32_e32 v8, 0
	v_mov_b32_e32 v7, v8
	v_addc_co_u32_e32 v1, vcc, 0, v1, vcc
	v_lshlrev_b32_e32 v1, 2, v1
	s_waitcnt lgkmcnt(0)
	ds_bpermute_b32 v6, v1, v2
	ds_bpermute_b32 v9, v1, v3
	v_or_b32_e32 v1, 8, v4
	s_waitcnt lgkmcnt(1)
	v_lshl_add_u64 v[2:3], v[2:3], 0, v[6:7]
	s_waitcnt lgkmcnt(0)
	v_lshl_add_u64 v[4:5], v[8:9], 0, v[2:3]
	ds_bpermute_b32 v2, v1, v2
	ds_bpermute_b32 v9, v1, v5
	v_mov_b32_e32 v3, v8
	s_waitcnt lgkmcnt(1)
	v_lshl_add_u64 v[2:3], v[4:5], 0, v[2:3]
	s_waitcnt lgkmcnt(0)
	v_lshl_add_u64 v[2:3], v[2:3], 0, v[8:9]
.LBB312_9:
	s_or_b64 exec, exec, s[4:5]
	s_mov_b64 s[4:5], 0
	s_branch .LBB312_22
.LBB312_10:
	s_mov_b64 s[4:5], 0
                                        ; implicit-def: $vgpr2_vgpr3
                                        ; implicit-def: $vgpr4_vgpr5
	s_cbranch_execnz .LBB312_568
	s_branch .LBB312_683
.LBB312_11:
	s_mov_b64 s[4:5], 0
                                        ; implicit-def: $vgpr2_vgpr3
                                        ; implicit-def: $vgpr4_vgpr5
	s_cbranch_execnz .LBB312_430
	s_branch .LBB312_567
.LBB312_12:
	s_mov_b64 s[22:23], -1
	s_mov_b64 s[4:5], 0
                                        ; implicit-def: $vgpr2_vgpr3
                                        ; implicit-def: $vgpr4_vgpr5
.LBB312_13:
	s_and_b64 vcc, exec, s[22:23]
	s_cbranch_vccz .LBB312_429
.LBB312_14:
	s_cmp_eq_u32 s33, 64
                                        ; implicit-def: $vgpr2_vgpr3
                                        ; implicit-def: $vgpr4_vgpr5
	s_cbranch_scc0 .LBB312_429
; %bb.15:
	s_mov_b32 s3, 0
	s_lshl_b32 s8, s2, 14
	s_mov_b32 s9, s3
	s_lshr_b64 s[4:5], s[36:37], 14
	s_lshl_b64 s[6:7], s[8:9], 3
	s_add_u32 s6, s40, s6
	s_addc_u32 s7, s41, s7
	s_cmp_lg_u64 s[4:5], s[2:3]
	s_cbranch_scc0 .LBB312_289
; %bb.16:
	v_lshlrev_b32_e32 v2, 3, v0
	v_mov_b32_e32 v3, 0
	v_lshl_add_u64 v[20:21], s[6:7], 0, v[2:3]
	v_add_co_u32_e32 v4, vcc, 0x1000, v20
	v_mov_b32_e32 v9, s3
	s_nop 0
	v_addc_co_u32_e32 v5, vcc, 0, v21, vcc
	v_add_co_u32_e32 v6, vcc, 0x2000, v20
	v_mov_b32_e32 v11, s3
	s_waitcnt lgkmcnt(0)
	v_addc_co_u32_e32 v7, vcc, 0, v21, vcc
	global_load_dwordx2 v[22:23], v[4:5], off offset:2048
	global_load_dwordx2 v[24:25], v[6:7], off
	global_load_dwordx2 v[26:27], v[6:7], off offset:2048
	v_add_co_u32_e32 v6, vcc, 0x3000, v20
	v_mov_b32_e32 v13, s3
	s_nop 0
	v_addc_co_u32_e32 v7, vcc, 0, v21, vcc
	global_load_dwordx2 v[28:29], v[6:7], off
	global_load_dwordx2 v[30:31], v[6:7], off offset:2048
	v_add_co_u32_e32 v6, vcc, 0x4000, v20
	v_mov_b32_e32 v15, s3
	s_nop 0
	v_addc_co_u32_e32 v7, vcc, 0, v21, vcc
	v_add_co_u32_e32 v36, vcc, 0x5000, v20
	global_load_dwordx2 v[32:33], v[6:7], off
	global_load_dwordx2 v[34:35], v[6:7], off offset:2048
	global_load_dwordx2 v[16:17], v[4:5], off
	v_addc_co_u32_e32 v37, vcc, 0, v21, vcc
	v_add_co_u32_e32 v38, vcc, 0x6000, v20
	v_mov_b32_e32 v5, s3
	s_nop 0
	v_addc_co_u32_e32 v39, vcc, 0, v21, vcc
	v_add_co_u32_e32 v40, vcc, 0x7000, v20
	global_load_dwordx2 v[42:43], v[36:37], off
	global_load_dwordx2 v[44:45], v[36:37], off offset:2048
	global_load_dwordx2 v[46:47], v[38:39], off
	global_load_dwordx2 v[48:49], v[38:39], off offset:2048
	v_addc_co_u32_e32 v41, vcc, 0, v21, vcc
	v_add_co_u32_e32 v36, vcc, 0x8000, v20
	v_mov_b32_e32 v7, s3
	s_nop 0
	v_addc_co_u32_e32 v37, vcc, 0, v21, vcc
	v_add_co_u32_e32 v38, vcc, 0x9000, v20
	global_load_dwordx2 v[50:51], v[40:41], off
	global_load_dwordx2 v[52:53], v[40:41], off offset:2048
	global_load_dwordx2 v[54:55], v[36:37], off
	global_load_dwordx2 v[56:57], v[36:37], off offset:2048
	v_addc_co_u32_e32 v39, vcc, 0, v21, vcc
	v_add_co_u32_e32 v36, vcc, 0xa000, v20
	v_mov_b32_e32 v19, s3
	s_nop 0
	v_addc_co_u32_e32 v37, vcc, 0, v21, vcc
	global_load_dwordx2 v[40:41], v[38:39], off
	global_load_dwordx2 v[58:59], v[38:39], off offset:2048
	global_load_dwordx2 v[60:61], v[36:37], off
	global_load_dwordx2 v[62:63], v[36:37], off offset:2048
	v_mov_b32_e32 v37, s3
	v_mov_b32_e32 v39, s3
	s_waitcnt vmcnt(19)
	v_cmp_neq_f64_e64 s[4:5], 0, v[22:23]
	v_add_co_u32_e32 v22, vcc, 0xb000, v20
	s_nop 0
	v_cndmask_b32_e64 v4, 0, 1, s[4:5]
	v_addc_co_u32_e32 v23, vcc, 0, v21, vcc
	s_waitcnt vmcnt(18)
	v_cmp_neq_f64_e64 s[4:5], 0, v[24:25]
	v_add_co_u32_e32 v24, vcc, 0xc000, v20
	s_nop 0
	v_cndmask_b32_e64 v6, 0, 1, s[4:5]
	v_addc_co_u32_e32 v25, vcc, 0, v21, vcc
	global_load_dwordx2 v[64:65], v[22:23], off
	global_load_dwordx2 v[66:67], v[22:23], off offset:2048
	global_load_dwordx2 v[68:69], v[24:25], off
	global_load_dwordx2 v[70:71], v[24:25], off offset:2048
	v_add_co_u32_e32 v22, vcc, 0xd000, v20
	s_waitcnt vmcnt(21)
	v_cmp_neq_f64_e64 s[4:5], 0, v[26:27]
	v_addc_co_u32_e32 v23, vcc, 0, v21, vcc
	global_load_dwordx2 v[72:73], v[22:23], off
	v_add_co_u32_e32 v24, vcc, 0xe000, v20
	v_cndmask_b32_e64 v8, 0, 1, s[4:5]
	s_nop 0
	v_addc_co_u32_e32 v25, vcc, 0, v21, vcc
	global_load_dwordx2 v[74:75], v[22:23], off offset:2048
	global_load_dwordx2 v[76:77], v[24:25], off
	global_load_dwordx2 v[78:79], v[24:25], off offset:2048
	v_add_co_u32_e32 v22, vcc, 0xf000, v20
	s_waitcnt vmcnt(24)
	v_cmp_neq_f64_e64 s[4:5], 0, v[28:29]
	v_addc_co_u32_e32 v23, vcc, 0, v21, vcc
	global_load_dwordx2 v[80:81], v[22:23], off
	global_load_dwordx2 v[82:83], v[22:23], off offset:2048
	v_add_co_u32_e32 v22, vcc, 0x10000, v20
	v_cndmask_b32_e64 v10, 0, 1, s[4:5]
	s_nop 0
	v_addc_co_u32_e32 v23, vcc, 0, v21, vcc
	global_load_dwordx2 v[84:85], v[22:23], off
	global_load_dwordx2 v[86:87], v[22:23], off offset:2048
	v_add_co_u32_e32 v22, vcc, 0x11000, v20
	s_waitcnt vmcnt(27)
	v_cmp_neq_f64_e64 s[4:5], 0, v[30:31]
	v_addc_co_u32_e32 v23, vcc, 0, v21, vcc
	v_add_co_u32_e32 v92, vcc, 0x12000, v20
	global_load_dwordx2 v[88:89], v[22:23], off
	global_load_dwordx2 v[90:91], v[22:23], off offset:2048
	v_addc_co_u32_e32 v93, vcc, 0, v21, vcc
	global_load_dwordx2 v[94:95], v[92:93], off
	s_waitcnt vmcnt(26)
	v_cmp_neq_f64_e32 vcc, 0, v[42:43]
	v_cndmask_b32_e64 v12, 0, 1, s[4:5]
	v_cmp_neq_f64_e64 s[4:5], 0, v[32:33]
	v_cndmask_b32_e64 v22, 0, 1, vcc
	s_waitcnt vmcnt(25)
	v_cmp_neq_f64_e32 vcc, 0, v[44:45]
	v_cndmask_b32_e64 v14, 0, 1, s[4:5]
	v_cmp_neq_f64_e64 s[4:5], 0, v[34:35]
	v_cndmask_b32_e64 v24, 0, 1, vcc
	s_waitcnt vmcnt(24)
	v_cmp_neq_f64_e32 vcc, 0, v[46:47]
	v_cndmask_b32_e64 v18, 0, 1, s[4:5]
	v_mov_b32_e32 v23, s3
	v_cndmask_b32_e64 v26, 0, 1, vcc
	s_waitcnt vmcnt(23)
	v_cmp_neq_f64_e32 vcc, 0, v[48:49]
	v_mov_b32_e32 v25, s3
	v_mov_b32_e32 v27, s3
	v_cndmask_b32_e64 v28, 0, 1, vcc
	s_waitcnt vmcnt(22)
	v_cmp_neq_f64_e32 vcc, 0, v[50:51]
	v_mov_b32_e32 v29, s3
	;; [unrolled: 5-line block ×10, first 2 shown]
	s_nop 0
	v_cndmask_b32_e64 v46, 0, 1, vcc
	s_waitcnt vmcnt(13)
	v_cmp_neq_f64_e32 vcc, 0, v[66:67]
	v_mov_b32_e32 v67, s3
	s_nop 0
	v_cndmask_b32_e64 v48, 0, 1, vcc
	s_waitcnt vmcnt(12)
	v_cmp_neq_f64_e32 vcc, 0, v[68:69]
	v_mov_b32_e32 v69, s3
	;; [unrolled: 5-line block ×5, first 2 shown]
	s_nop 0
	v_cndmask_b32_e64 v56, 0, 1, vcc
	s_waitcnt vmcnt(8)
	v_cmp_neq_f64_e32 vcc, 0, v[76:77]
	global_load_dwordx2 v[76:77], v[92:93], off offset:2048
	s_nop 0
	v_cndmask_b32_e64 v58, 0, 1, vcc
	s_waitcnt vmcnt(8)
	v_cmp_neq_f64_e32 vcc, 0, v[78:79]
	s_nop 1
	v_cndmask_b32_e64 v60, 0, 1, vcc
	s_waitcnt vmcnt(7)
	v_cmp_neq_f64_e32 vcc, 0, v[80:81]
	;; [unrolled: 4-line block ×8, first 2 shown]
	s_nop 1
	v_cndmask_b32_e64 v74, 0, 1, vcc
	v_add_co_u32_e32 v78, vcc, 0x13000, v20
	s_nop 1
	v_addc_co_u32_e32 v79, vcc, 0, v21, vcc
	v_add_co_u32_e32 v80, vcc, 0x14000, v20
	s_nop 1
	v_addc_co_u32_e32 v81, vcc, 0, v21, vcc
	global_load_dwordx2 v[82:83], v[78:79], off
	global_load_dwordx2 v[84:85], v[78:79], off offset:2048
	global_load_dwordx2 v[86:87], v[80:81], off
	global_load_dwordx2 v[88:89], v[80:81], off offset:2048
	v_add_co_u32_e32 v78, vcc, 0x15000, v20
	s_nop 1
	v_addc_co_u32_e32 v79, vcc, 0, v21, vcc
	v_add_co_u32_e32 v80, vcc, 0x16000, v20
	s_nop 1
	v_addc_co_u32_e32 v81, vcc, 0, v21, vcc
	global_load_dwordx2 v[90:91], v[78:79], off
	global_load_dwordx2 v[92:93], v[78:79], off offset:2048
	global_load_dwordx2 v[94:95], v[80:81], off
	global_load_dwordx2 v[96:97], v[80:81], off offset:2048
	;; [unrolled: 10-line block ×4, first 2 shown]
	v_add_co_u32_e32 v78, vcc, 0x1b000, v20
	s_nop 1
	v_addc_co_u32_e32 v79, vcc, 0, v21, vcc
	global_load_dwordx2 v[80:81], v[78:79], off
	v_add_co_u32_e32 v114, vcc, 0x1c000, v20
	s_nop 1
	v_addc_co_u32_e32 v115, vcc, 0, v21, vcc
	global_load_dwordx2 v[116:117], v[78:79], off offset:2048
	global_load_dwordx2 v[118:119], v[114:115], off
	global_load_dwordx2 v[120:121], v[114:115], off offset:2048
	v_add_co_u32_e32 v78, vcc, 0x1d000, v20
	s_nop 1
	v_addc_co_u32_e32 v79, vcc, 0, v21, vcc
	global_load_dwordx2 v[114:115], v[78:79], off
	global_load_dwordx2 v[122:123], v[78:79], off offset:2048
	v_add_co_u32_e32 v78, vcc, 0x1e000, v20
	s_nop 1
	v_addc_co_u32_e32 v79, vcc, 0, v21, vcc
	;; [unrolled: 5-line block ×3, first 2 shown]
	global_load_dwordx2 v[78:79], v[20:21], off
	global_load_dwordx2 v[128:129], v2, s[6:7]
	global_load_dwordx2 v[130:131], v2, s[6:7] offset:2048
	s_nop 0
	global_load_dwordx2 v[20:21], v[20:21], off offset:2048
	s_waitcnt vmcnt(28)
	v_cmp_neq_f64_e32 vcc, 0, v[76:77]
	v_mov_b32_e32 v77, s3
	s_nop 0
	v_cndmask_b32_e64 v76, 0, 1, vcc
	s_waitcnt vmcnt(27)
	v_cmp_neq_f64_e32 vcc, 0, v[82:83]
	s_nop 1
	v_cndmask_b32_e64 v82, 0, 1, vcc
	s_waitcnt vmcnt(26)
	v_cmp_neq_f64_e32 vcc, 0, v[84:85]
	v_mov_b32_e32 v83, s3
	v_mov_b32_e32 v85, s3
	v_cndmask_b32_e64 v84, 0, 1, vcc
	s_waitcnt vmcnt(25)
	v_cmp_neq_f64_e32 vcc, 0, v[86:87]
	v_mov_b32_e32 v87, s3
	s_nop 0
	v_cndmask_b32_e64 v86, 0, 1, vcc
	s_waitcnt vmcnt(24)
	v_cmp_neq_f64_e32 vcc, 0, v[88:89]
	v_mov_b32_e32 v89, s3
	s_nop 0
	;; [unrolled: 5-line block ×24, first 2 shown]
	v_cndmask_b32_e64 v20, 0, 1, vcc
	v_cmp_neq_f64_e32 vcc, 0, v[130:131]
	s_nop 1
	v_cndmask_b32_e64 v1, 0, 1, vcc
	v_cmp_neq_f64_e32 vcc, 0, v[128:129]
	s_nop 1
	;; [unrolled: 3-line block ×3, first 2 shown]
	v_addc_co_u32_e32 v2, vcc, v1, v2, vcc
	v_lshl_add_u64 v[4:5], v[2:3], 0, v[4:5]
	v_lshl_add_u64 v[4:5], v[4:5], 0, v[6:7]
	;; [unrolled: 1-line block ×61, first 2 shown]
	v_mov_b32_dpp v7, v3 quad_perm:[1,0,3,2] row_mask:0xf bank_mask:0xf bound_ctrl:1
	v_mov_b32_e32 v6, v3
	v_mov_b32_dpp v2, v4 quad_perm:[1,0,3,2] row_mask:0xf bank_mask:0xf bound_ctrl:1
	v_lshl_add_u64 v[4:5], v[4:5], 0, v[2:3]
	v_lshl_add_u64 v[6:7], v[6:7], 0, v[4:5]
	v_mbcnt_lo_u32_b32 v1, -1, 0
	v_mov_b32_dpp v2, v4 quad_perm:[2,3,0,1] row_mask:0xf bank_mask:0xf bound_ctrl:1
	v_mov_b32_dpp v5, v7 quad_perm:[2,3,0,1] row_mask:0xf bank_mask:0xf bound_ctrl:1
	v_mov_b32_e32 v4, v3
	v_lshl_add_u64 v[6:7], v[6:7], 0, v[2:3]
	v_lshl_add_u64 v[4:5], v[6:7], 0, v[4:5]
	v_mbcnt_hi_u32_b32 v1, -1, v1
	v_mov_b32_dpp v2, v6 row_ror:4 row_mask:0xf bank_mask:0xf bound_ctrl:1
	v_mov_b32_dpp v7, v5 row_ror:4 row_mask:0xf bank_mask:0xf bound_ctrl:1
	v_mov_b32_e32 v6, v3
	v_lshl_add_u64 v[4:5], v[4:5], 0, v[2:3]
	v_lshl_add_u64 v[6:7], v[4:5], 0, v[6:7]
	v_cmp_eq_u32_e32 vcc, 0, v1
	v_mov_b32_dpp v2, v4 row_ror:8 row_mask:0xf bank_mask:0xf bound_ctrl:1
	v_mov_b32_dpp v5, v7 row_ror:8 row_mask:0xf bank_mask:0xf bound_ctrl:1
	v_mov_b32_e32 v4, v3
	v_lshl_add_u64 v[6:7], v[6:7], 0, v[2:3]
	v_lshl_add_u64 v[4:5], v[6:7], 0, v[4:5]
	s_nop 0
	v_mov_b32_dpp v2, v6 row_bcast:15 row_mask:0xf bank_mask:0xf bound_ctrl:1
	v_mov_b32_dpp v7, v5 row_bcast:15 row_mask:0xf bank_mask:0xf bound_ctrl:1
	v_mov_b32_e32 v6, v3
	v_lshl_add_u64 v[4:5], v[4:5], 0, v[2:3]
	v_lshl_add_u64 v[6:7], v[4:5], 0, v[6:7]
	s_nop 0
	v_mov_b32_dpp v2, v4 row_bcast:31 row_mask:0xf bank_mask:0xf bound_ctrl:1
	v_lshl_add_u64 v[2:3], v[6:7], 0, v[2:3]
	v_lshlrev_b32_e32 v4, 2, v1
	v_or_b32_e32 v5, 0xfc, v4
	v_add_u32_dpp v3, v7, v3 row_bcast:31 row_mask:0xf bank_mask:0xf bound_ctrl:1
	ds_bpermute_b32 v2, v5, v2
	ds_bpermute_b32 v3, v5, v3
	s_and_saveexec_b64 s[4:5], vcc
	s_cbranch_execz .LBB312_18
; %bb.17:
	v_lshrrev_b32_e32 v5, 3, v0
	v_and_b32_e32 v5, 24, v5
	s_waitcnt lgkmcnt(0)
	ds_write_b64 v5, v[2:3] offset:192
.LBB312_18:
	s_or_b64 exec, exec, s[4:5]
	v_cmp_gt_u32_e32 vcc, 64, v0
	s_waitcnt lgkmcnt(0)
	s_barrier
	s_and_saveexec_b64 s[4:5], vcc
	s_cbranch_execz .LBB312_20
; %bb.19:
	v_and_b32_e32 v5, 3, v1
	v_lshlrev_b32_e32 v2, 3, v5
	ds_read_b64 v[2:3], v2 offset:192
	v_cmp_ne_u32_e32 vcc, 3, v5
	v_mov_b32_e32 v8, 0
	v_mov_b32_e32 v7, v8
	v_addc_co_u32_e32 v1, vcc, 0, v1, vcc
	v_lshlrev_b32_e32 v1, 2, v1
	s_waitcnt lgkmcnt(0)
	ds_bpermute_b32 v6, v1, v2
	ds_bpermute_b32 v9, v1, v3
	v_or_b32_e32 v1, 8, v4
	s_waitcnt lgkmcnt(1)
	v_lshl_add_u64 v[2:3], v[2:3], 0, v[6:7]
	s_waitcnt lgkmcnt(0)
	v_lshl_add_u64 v[4:5], v[8:9], 0, v[2:3]
	ds_bpermute_b32 v2, v1, v2
	ds_bpermute_b32 v9, v1, v5
	v_mov_b32_e32 v3, v8
	s_waitcnt lgkmcnt(1)
	v_lshl_add_u64 v[2:3], v[4:5], 0, v[2:3]
	s_waitcnt lgkmcnt(0)
	v_lshl_add_u64 v[2:3], v[2:3], 0, v[8:9]
.LBB312_20:
	s_or_b64 exec, exec, s[4:5]
	s_mov_b64 s[4:5], 0
	s_branch .LBB312_290
.LBB312_21:
	s_mov_b64 s[4:5], -1
                                        ; implicit-def: $vgpr2_vgpr3
.LBB312_22:
	s_and_b64 vcc, exec, s[4:5]
	s_cbranch_vccz .LBB312_288
; %bb.23:
	s_sub_i32 s6, s36, s26
	v_cmp_gt_u32_e32 vcc, s6, v0
                                        ; implicit-def: $agpr0_agpr1
	s_and_saveexec_b64 s[4:5], vcc
	s_cbranch_execz .LBB312_25
; %bb.24:
	v_lshlrev_b32_e32 v1, 3, v0
	global_load_dwordx2 v[2:3], v1, s[24:25]
	s_mov_b32 s7, 0
	s_waitcnt vmcnt(0)
	v_cmp_neq_f64_e32 vcc, 0, v[2:3]
	s_nop 1
	v_cndmask_b32_e64 v2, 0, 1, vcc
	v_mov_b32_e32 v3, s7
	v_accvgpr_write_b32 a0, v2
	v_accvgpr_write_b32 a1, v3
.LBB312_25:
	s_or_b64 exec, exec, s[4:5]
	v_or_b32_e32 v1, 0x100, v0
	v_cmp_gt_u32_e32 vcc, s6, v1
	v_mov_b64_e32 v[4:5], 0
	v_mov_b64_e32 v[6:7], 0
	s_and_saveexec_b64 s[4:5], vcc
	s_cbranch_execz .LBB312_27
; %bb.26:
	v_lshlrev_b32_e32 v1, 3, v0
	global_load_dwordx2 v[2:3], v1, s[24:25] offset:2048
	s_mov_b32 s7, 0
	v_mov_b32_e32 v7, s7
	s_waitcnt vmcnt(0)
	v_cmp_neq_f64_e32 vcc, 0, v[2:3]
	s_nop 1
	v_cndmask_b32_e64 v6, 0, 1, vcc
.LBB312_27:
	s_or_b64 exec, exec, s[4:5]
	v_or_b32_e32 v1, 0x200, v0
	v_cmp_gt_u32_e32 vcc, s6, v1
	s_and_saveexec_b64 s[4:5], vcc
	s_cbranch_execz .LBB312_29
; %bb.28:
	v_lshlrev_b32_e32 v1, 3, v1
	global_load_dwordx2 v[2:3], v1, s[24:25]
	s_mov_b32 s7, 0
	v_mov_b32_e32 v5, s7
	s_waitcnt vmcnt(0)
	v_cmp_neq_f64_e32 vcc, 0, v[2:3]
	s_nop 1
	v_cndmask_b32_e64 v4, 0, 1, vcc
.LBB312_29:
	s_or_b64 exec, exec, s[4:5]
	v_or_b32_e32 v1, 0x300, v0
	v_cmp_gt_u32_e32 vcc, s6, v1
	v_mov_b64_e32 v[8:9], 0
	v_mov_b64_e32 v[10:11], 0
	s_and_saveexec_b64 s[4:5], vcc
	s_cbranch_execz .LBB312_31
; %bb.30:
	v_lshlrev_b32_e32 v1, 3, v1
	global_load_dwordx2 v[2:3], v1, s[24:25]
	s_mov_b32 s7, 0
	v_mov_b32_e32 v11, s7
	s_waitcnt vmcnt(0)
	v_cmp_neq_f64_e32 vcc, 0, v[2:3]
	s_nop 1
	v_cndmask_b32_e64 v10, 0, 1, vcc
.LBB312_31:
	s_or_b64 exec, exec, s[4:5]
	v_or_b32_e32 v1, 0x400, v0
	v_cmp_gt_u32_e32 vcc, s6, v1
	s_and_saveexec_b64 s[4:5], vcc
	s_cbranch_execz .LBB312_33
; %bb.32:
	v_lshlrev_b32_e32 v1, 3, v1
	global_load_dwordx2 v[2:3], v1, s[24:25]
	s_mov_b32 s7, 0
	v_mov_b32_e32 v9, s7
	s_waitcnt vmcnt(0)
	v_cmp_neq_f64_e32 vcc, 0, v[2:3]
	s_nop 1
	v_cndmask_b32_e64 v8, 0, 1, vcc
.LBB312_33:
	s_or_b64 exec, exec, s[4:5]
	v_or_b32_e32 v1, 0x500, v0
	v_cmp_gt_u32_e32 vcc, s6, v1
	v_mov_b64_e32 v[12:13], 0
	v_mov_b64_e32 v[14:15], 0
	s_and_saveexec_b64 s[4:5], vcc
	s_cbranch_execz .LBB312_35
; %bb.34:
	v_lshlrev_b32_e32 v1, 3, v1
	global_load_dwordx2 v[2:3], v1, s[24:25]
	s_mov_b32 s7, 0
	v_mov_b32_e32 v15, s7
	s_waitcnt vmcnt(0)
	v_cmp_neq_f64_e32 vcc, 0, v[2:3]
	s_nop 1
	v_cndmask_b32_e64 v14, 0, 1, vcc
.LBB312_35:
	;; [unrolled: 32-line block ×62, first 2 shown]
	s_or_b64 exec, exec, s[4:5]
	v_or_b32_e32 v1, 0x7e00, v0
	v_cmp_gt_u32_e32 vcc, s6, v1
	s_and_saveexec_b64 s[4:5], vcc
	s_cbranch_execz .LBB312_277
; %bb.276:
	v_lshlrev_b32_e32 v1, 3, v1
	global_load_dwordx2 v[2:3], v1, s[24:25]
	s_mov_b32 s7, 0
	v_mov_b32_e32 v253, s7
	s_waitcnt vmcnt(0)
	v_cmp_neq_f64_e32 vcc, 0, v[2:3]
	s_nop 1
	v_cndmask_b32_e64 v252, 0, 1, vcc
.LBB312_277:
	s_or_b64 exec, exec, s[4:5]
	v_accvgpr_write_b32 a2, v4
	v_or_b32_e32 v1, 0x7f00, v0
	v_accvgpr_write_b32 a3, v5
	v_cmp_gt_u32_e32 vcc, s6, v1
	v_mov_b64_e32 v[2:3], 0
	s_and_saveexec_b64 s[4:5], vcc
	s_cbranch_execz .LBB312_279
; %bb.278:
	v_lshlrev_b32_e32 v1, 3, v1
	global_load_dwordx2 v[2:3], v1, s[24:25]
	s_mov_b32 s7, 0
	s_waitcnt vmcnt(0)
	v_cmp_neq_f64_e32 vcc, 0, v[2:3]
	s_nop 1
	v_cndmask_b32_e64 v2, 0, 1, vcc
	v_mov_b32_e32 v3, s7
.LBB312_279:
	s_or_b64 exec, exec, s[4:5]
	v_accvgpr_read_b32 v5, a1
	v_accvgpr_read_b32 v4, a0
	v_lshl_add_u64 v[6:7], v[6:7], 0, v[4:5]
	v_accvgpr_read_b32 v5, a3
	v_accvgpr_read_b32 v4, a2
	v_lshl_add_u64 v[4:5], v[6:7], 0, v[4:5]
	v_lshl_add_u64 v[4:5], v[4:5], 0, v[10:11]
	;; [unrolled: 1-line block ×123, first 2 shown]
	v_mbcnt_lo_u32_b32 v1, -1, 0
	v_lshl_add_u64 v[4:5], v[4:5], 0, v[254:255]
	v_mbcnt_hi_u32_b32 v1, -1, v1
	v_lshl_add_u64 v[4:5], v[4:5], 0, v[252:253]
	v_and_b32_e32 v9, 63, v1
	v_lshl_add_u64 v[2:3], v[4:5], 0, v[2:3]
	s_min_u32 s8, s6, 0x100
	v_and_b32_e32 v4, 0xc0, v0
	v_cmp_ne_u32_e32 vcc, 63, v9
	v_sub_u32_e64 v8, s8, v4 clamp
	v_add_u32_e32 v5, 1, v9
	v_addc_co_u32_e32 v4, vcc, 0, v1, vcc
	v_lshlrev_b32_e32 v6, 2, v4
	ds_bpermute_b32 v4, v6, v2
	ds_bpermute_b32 v7, v6, v3
	v_mov_b32_e32 v6, 0
	v_cmp_lt_u32_e32 vcc, v5, v8
	v_mov_b32_e32 v5, v6
	s_waitcnt lgkmcnt(1)
	v_lshl_add_u64 v[4:5], v[2:3], 0, v[4:5]
	s_waitcnt lgkmcnt(0)
	v_lshl_add_u64 v[6:7], v[6:7], 0, v[4:5]
	v_cmp_gt_u32_e64 s[4:5], 62, v9
	v_cndmask_b32_e32 v10, v2, v4, vcc
	v_cndmask_b32_e32 v4, v2, v6, vcc
	v_cndmask_b32_e64 v6, 0, 2, s[4:5]
	v_cndmask_b32_e32 v5, v3, v7, vcc
	v_add_lshl_u32 v7, v6, v1, 2
	ds_bpermute_b32 v6, v7, v10
	ds_bpermute_b32 v7, v7, v5
	v_add_u32_e32 v11, 2, v9
	v_cmp_lt_u32_e64 s[4:5], v11, v8
	v_add_u32_e32 v11, 4, v9
	s_waitcnt lgkmcnt(0)
	v_lshl_add_u64 v[6:7], v[6:7], 0, v[4:5]
	v_cndmask_b32_e64 v10, v10, v6, s[4:5]
	v_cndmask_b32_e64 v5, v5, v7, s[4:5]
	v_cndmask_b32_e64 v4, v4, v6, s[4:5]
	v_cmp_gt_u32_e64 s[4:5], 60, v9
	s_nop 1
	v_cndmask_b32_e64 v6, 0, 4, s[4:5]
	v_add_lshl_u32 v7, v6, v1, 2
	ds_bpermute_b32 v6, v7, v10
	ds_bpermute_b32 v7, v7, v5
	v_cmp_lt_u32_e64 s[4:5], v11, v8
	v_add_u32_e32 v11, 8, v9
	s_waitcnt lgkmcnt(0)
	v_lshl_add_u64 v[6:7], v[6:7], 0, v[4:5]
	v_cndmask_b32_e64 v10, v10, v6, s[4:5]
	v_cndmask_b32_e64 v5, v5, v7, s[4:5]
	v_cndmask_b32_e64 v4, v4, v6, s[4:5]
	v_cmp_gt_u32_e64 s[4:5], 56, v9
	s_nop 1
	v_cndmask_b32_e64 v6, 0, 8, s[4:5]
	v_add_lshl_u32 v7, v6, v1, 2
	ds_bpermute_b32 v6, v7, v10
	ds_bpermute_b32 v7, v7, v5
	;; [unrolled: 13-line block ×3, first 2 shown]
	v_cmp_lt_u32_e64 s[4:5], v11, v8
	s_waitcnt lgkmcnt(0)
	v_lshl_add_u64 v[6:7], v[6:7], 0, v[4:5]
	v_cndmask_b32_e64 v11, v10, v6, s[4:5]
	v_lshlrev_b32_e32 v10, 2, v1
	v_cndmask_b32_e64 v12, v5, v7, s[4:5]
	v_or_b32_e32 v13, 0x80, v10
	ds_bpermute_b32 v11, v13, v11
	ds_bpermute_b32 v12, v13, v12
	s_and_saveexec_b64 s[6:7], vcc
	s_cbranch_execz .LBB312_281
; %bb.280:
	v_add_u32_e32 v9, 32, v9
	v_cmp_lt_u32_e32 vcc, v9, v8
	v_cndmask_b32_e64 v3, v5, v7, s[4:5]
	v_cndmask_b32_e64 v2, v4, v6, s[4:5]
	s_waitcnt lgkmcnt(0)
	v_cndmask_b32_e32 v5, 0, v12, vcc
	v_cndmask_b32_e32 v4, 0, v11, vcc
	v_lshl_add_u64 v[2:3], v[4:5], 0, v[2:3]
.LBB312_281:
	s_or_b64 exec, exec, s[6:7]
	v_cmp_eq_u32_e32 vcc, 0, v1
	s_and_saveexec_b64 s[4:5], vcc
; %bb.282:
	v_lshrrev_b32_e32 v4, 3, v0
	v_and_b32_e32 v4, 24, v4
	ds_write_b64 v4, v[2:3] offset:256
; %bb.283:
	s_or_b64 exec, exec, s[4:5]
	v_cmp_gt_u32_e32 vcc, 4, v0
	s_waitcnt lgkmcnt(0)
	s_barrier
	s_and_saveexec_b64 s[4:5], vcc
	s_cbranch_execz .LBB312_287
; %bb.284:
	v_lshlrev_b32_e32 v2, 3, v1
	ds_read_b64 v[2:3], v2 offset:256
	v_and_b32_e32 v6, 3, v1
	v_cmp_ne_u32_e32 vcc, 3, v6
	v_mov_b32_e32 v8, 0
	s_add_i32 s8, s8, 63
	v_addc_co_u32_e32 v1, vcc, 0, v1, vcc
	v_lshlrev_b32_e32 v1, 2, v1
	s_waitcnt lgkmcnt(0)
	ds_bpermute_b32 v4, v1, v2
	ds_bpermute_b32 v9, v1, v3
	v_mov_b32_e32 v5, v8
	s_lshr_b32 s8, s8, 6
	v_add_u32_e32 v1, 1, v6
	s_waitcnt lgkmcnt(1)
	v_lshl_add_u64 v[12:13], v[2:3], 0, v[4:5]
	s_waitcnt lgkmcnt(0)
	v_lshl_add_u64 v[4:5], v[8:9], 0, v[12:13]
	v_cmp_gt_u32_e32 vcc, s8, v1
	v_or_b32_e32 v8, 8, v10
	s_nop 0
	v_cndmask_b32_e32 v7, v3, v5, vcc
	v_cndmask_b32_e32 v1, v2, v12, vcc
	ds_bpermute_b32 v1, v8, v1
	ds_bpermute_b32 v7, v8, v7
	s_and_saveexec_b64 s[6:7], vcc
	s_cbranch_execz .LBB312_286
; %bb.285:
	v_add_u32_e32 v2, 2, v6
	v_cmp_gt_u32_e32 vcc, s8, v2
	s_waitcnt lgkmcnt(0)
	s_nop 0
	v_cndmask_b32_e32 v3, 0, v7, vcc
	v_cndmask_b32_e32 v2, 0, v1, vcc
	v_lshl_add_u64 v[2:3], v[2:3], 0, v[4:5]
.LBB312_286:
	s_or_b64 exec, exec, s[6:7]
.LBB312_287:
	s_or_b64 exec, exec, s[4:5]
.LBB312_288:
	v_cmp_eq_u32_e64 s[4:5], 0, v0
	v_mov_b64_e32 v[4:5], s[2:3]
	s_and_b64 vcc, exec, s[22:23]
	s_cbranch_vccnz .LBB312_14
	s_branch .LBB312_429
.LBB312_289:
	s_mov_b64 s[4:5], -1
                                        ; implicit-def: $vgpr2_vgpr3
.LBB312_290:
	s_and_b64 vcc, exec, s[4:5]
	s_cbranch_vccz .LBB312_428
; %bb.291:
	s_sub_i32 s8, s36, s8
	v_cmp_gt_u32_e32 vcc, s8, v0
                                        ; implicit-def: $vgpr2_vgpr3
	s_and_saveexec_b64 s[4:5], vcc
	s_cbranch_execz .LBB312_293
; %bb.292:
	s_waitcnt lgkmcnt(1)
	v_lshlrev_b32_e32 v1, 3, v0
	global_load_dwordx2 v[2:3], v1, s[6:7]
	s_mov_b32 s9, 0
	s_waitcnt vmcnt(0)
	v_cmp_neq_f64_e32 vcc, 0, v[2:3]
	s_nop 1
	v_cndmask_b32_e64 v2, 0, 1, vcc
	v_mov_b32_e32 v3, s9
.LBB312_293:
	s_or_b64 exec, exec, s[4:5]
	s_waitcnt lgkmcnt(1)
	v_or_b32_e32 v1, 0x100, v0
	v_cmp_gt_u32_e32 vcc, s8, v1
	v_mov_b64_e32 v[4:5], 0
	s_waitcnt lgkmcnt(0)
	v_mov_b64_e32 v[6:7], 0
	s_and_saveexec_b64 s[4:5], vcc
	s_cbranch_execz .LBB312_295
; %bb.294:
	v_lshlrev_b32_e32 v1, 3, v0
	global_load_dwordx2 v[6:7], v1, s[6:7] offset:2048
	s_mov_b32 s9, 0
	s_waitcnt vmcnt(0)
	v_cmp_neq_f64_e32 vcc, 0, v[6:7]
	s_nop 1
	v_cndmask_b32_e64 v6, 0, 1, vcc
	v_mov_b32_e32 v7, s9
.LBB312_295:
	s_or_b64 exec, exec, s[4:5]
	v_or_b32_e32 v1, 0x200, v0
	v_cmp_gt_u32_e32 vcc, s8, v1
	s_and_saveexec_b64 s[4:5], vcc
	s_cbranch_execz .LBB312_297
; %bb.296:
	v_lshlrev_b32_e32 v1, 3, v1
	global_load_dwordx2 v[4:5], v1, s[6:7]
	s_mov_b32 s9, 0
	s_waitcnt vmcnt(0)
	v_cmp_neq_f64_e32 vcc, 0, v[4:5]
	s_nop 1
	v_cndmask_b32_e64 v4, 0, 1, vcc
	v_mov_b32_e32 v5, s9
.LBB312_297:
	s_or_b64 exec, exec, s[4:5]
	v_or_b32_e32 v1, 0x300, v0
	v_cmp_gt_u32_e32 vcc, s8, v1
	v_mov_b64_e32 v[8:9], 0
	v_mov_b64_e32 v[10:11], 0
	s_and_saveexec_b64 s[4:5], vcc
	s_cbranch_execz .LBB312_299
; %bb.298:
	v_lshlrev_b32_e32 v1, 3, v1
	global_load_dwordx2 v[10:11], v1, s[6:7]
	s_mov_b32 s9, 0
	s_waitcnt vmcnt(0)
	v_cmp_neq_f64_e32 vcc, 0, v[10:11]
	s_nop 1
	v_cndmask_b32_e64 v10, 0, 1, vcc
	v_mov_b32_e32 v11, s9
.LBB312_299:
	s_or_b64 exec, exec, s[4:5]
	v_or_b32_e32 v1, 0x400, v0
	v_cmp_gt_u32_e32 vcc, s8, v1
	s_and_saveexec_b64 s[4:5], vcc
	s_cbranch_execz .LBB312_301
; %bb.300:
	v_lshlrev_b32_e32 v1, 3, v1
	global_load_dwordx2 v[8:9], v1, s[6:7]
	s_mov_b32 s9, 0
	s_waitcnt vmcnt(0)
	v_cmp_neq_f64_e32 vcc, 0, v[8:9]
	s_nop 1
	v_cndmask_b32_e64 v8, 0, 1, vcc
	v_mov_b32_e32 v9, s9
.LBB312_301:
	s_or_b64 exec, exec, s[4:5]
	v_or_b32_e32 v1, 0x500, v0
	v_cmp_gt_u32_e32 vcc, s8, v1
	v_mov_b64_e32 v[12:13], 0
	v_mov_b64_e32 v[14:15], 0
	s_and_saveexec_b64 s[4:5], vcc
	s_cbranch_execz .LBB312_303
; %bb.302:
	v_lshlrev_b32_e32 v1, 3, v1
	global_load_dwordx2 v[14:15], v1, s[6:7]
	s_mov_b32 s9, 0
	s_waitcnt vmcnt(0)
	v_cmp_neq_f64_e32 vcc, 0, v[14:15]
	s_nop 1
	v_cndmask_b32_e64 v14, 0, 1, vcc
	v_mov_b32_e32 v15, s9
.LBB312_303:
	;; [unrolled: 32-line block ×30, first 2 shown]
	s_or_b64 exec, exec, s[4:5]
	v_or_b32_e32 v1, 0x3e00, v0
	v_cmp_gt_u32_e32 vcc, s8, v1
	s_and_saveexec_b64 s[4:5], vcc
	s_cbranch_execz .LBB312_417
; %bb.416:
	v_lshlrev_b32_e32 v1, 3, v1
	global_load_dwordx2 v[124:125], v1, s[6:7]
	s_mov_b32 s9, 0
	s_waitcnt vmcnt(0)
	v_cmp_neq_f64_e32 vcc, 0, v[124:125]
	s_nop 1
	v_cndmask_b32_e64 v124, 0, 1, vcc
	v_mov_b32_e32 v125, s9
.LBB312_417:
	s_or_b64 exec, exec, s[4:5]
	v_or_b32_e32 v1, 0x3f00, v0
	v_cmp_gt_u32_e32 vcc, s8, v1
	v_mov_b64_e32 v[128:129], 0
	s_and_saveexec_b64 s[4:5], vcc
	s_cbranch_execz .LBB312_419
; %bb.418:
	v_lshlrev_b32_e32 v1, 3, v1
	global_load_dwordx2 v[128:129], v1, s[6:7]
	s_mov_b32 s6, 0
	s_waitcnt vmcnt(0)
	v_cmp_neq_f64_e32 vcc, 0, v[128:129]
	s_nop 1
	v_cndmask_b32_e64 v128, 0, 1, vcc
	v_mov_b32_e32 v129, s6
.LBB312_419:
	s_or_b64 exec, exec, s[4:5]
	v_lshl_add_u64 v[2:3], v[6:7], 0, v[2:3]
	v_lshl_add_u64 v[2:3], v[2:3], 0, v[4:5]
	;; [unrolled: 1-line block ×58, first 2 shown]
	v_mbcnt_lo_u32_b32 v1, -1, 0
	v_lshl_add_u64 v[2:3], v[2:3], 0, v[122:123]
	v_mbcnt_hi_u32_b32 v1, -1, v1
	v_lshl_add_u64 v[2:3], v[2:3], 0, v[120:121]
	v_and_b32_e32 v9, 63, v1
	v_lshl_add_u64 v[2:3], v[2:3], 0, v[126:127]
	s_min_u32 s8, s8, 0x100
	v_and_b32_e32 v4, 0xc0, v0
	v_cmp_ne_u32_e32 vcc, 63, v9
	v_lshl_add_u64 v[2:3], v[2:3], 0, v[124:125]
	v_sub_u32_e64 v8, s8, v4 clamp
	v_addc_co_u32_e32 v4, vcc, 0, v1, vcc
	v_lshl_add_u64 v[2:3], v[2:3], 0, v[128:129]
	v_lshlrev_b32_e32 v5, 2, v4
	ds_bpermute_b32 v4, v5, v2
	ds_bpermute_b32 v7, v5, v3
	v_mov_b32_e32 v6, 0
	v_add_u32_e32 v10, 1, v9
	v_mov_b32_e32 v5, v6
	s_waitcnt lgkmcnt(1)
	v_lshl_add_u64 v[4:5], v[2:3], 0, v[4:5]
	v_cmp_lt_u32_e64 s[4:5], v10, v8
	v_cmp_gt_u32_e32 vcc, 62, v9
	s_waitcnt lgkmcnt(0)
	v_lshl_add_u64 v[6:7], v[6:7], 0, v[4:5]
	v_cndmask_b32_e64 v12, v2, v4, s[4:5]
	v_cndmask_b32_e64 v4, 0, 2, vcc
	v_cndmask_b32_e64 v5, v3, v7, s[4:5]
	v_add_lshl_u32 v4, v4, v1, 2
	ds_bpermute_b32 v10, v4, v12
	ds_bpermute_b32 v11, v4, v5
	v_cndmask_b32_e64 v4, v2, v6, s[4:5]
	v_add_u32_e32 v13, 2, v9
	v_cmp_lt_u32_e32 vcc, v13, v8
	v_cmp_gt_u32_e64 s[6:7], 60, v9
	s_waitcnt lgkmcnt(0)
	v_lshl_add_u64 v[6:7], v[10:11], 0, v[4:5]
	v_cndmask_b32_e32 v5, v5, v7, vcc
	v_cndmask_b32_e64 v7, 0, 4, s[6:7]
	v_cndmask_b32_e32 v12, v12, v6, vcc
	v_add_lshl_u32 v7, v7, v1, 2
	ds_bpermute_b32 v10, v7, v12
	ds_bpermute_b32 v11, v7, v5
	v_cndmask_b32_e32 v4, v4, v6, vcc
	v_add_u32_e32 v13, 4, v9
	v_cmp_lt_u32_e32 vcc, v13, v8
	v_cmp_gt_u32_e64 s[6:7], 56, v9
	s_waitcnt lgkmcnt(0)
	v_lshl_add_u64 v[6:7], v[10:11], 0, v[4:5]
	v_cndmask_b32_e32 v5, v5, v7, vcc
	v_cndmask_b32_e64 v7, 0, 8, s[6:7]
	v_cndmask_b32_e32 v12, v12, v6, vcc
	v_add_lshl_u32 v7, v7, v1, 2
	ds_bpermute_b32 v10, v7, v12
	ds_bpermute_b32 v11, v7, v5
	v_cndmask_b32_e32 v4, v4, v6, vcc
	;; [unrolled: 12-line block ×3, first 2 shown]
	v_add_u32_e32 v13, 16, v9
	v_cmp_lt_u32_e32 vcc, v13, v8
	s_waitcnt lgkmcnt(0)
	v_lshl_add_u64 v[6:7], v[10:11], 0, v[4:5]
	v_lshlrev_b32_e32 v10, 2, v1
	v_cndmask_b32_e32 v13, v5, v7, vcc
	v_cndmask_b32_e32 v11, v12, v6, vcc
	v_or_b32_e32 v12, 0x80, v10
	ds_bpermute_b32 v11, v12, v11
	ds_bpermute_b32 v12, v12, v13
	s_and_saveexec_b64 s[6:7], s[4:5]
	s_cbranch_execz .LBB312_421
; %bb.420:
	v_add_u32_e32 v9, 32, v9
	v_cndmask_b32_e32 v3, v5, v7, vcc
	v_cndmask_b32_e32 v2, v4, v6, vcc
	v_cmp_lt_u32_e32 vcc, v9, v8
	s_waitcnt lgkmcnt(0)
	s_nop 0
	v_cndmask_b32_e32 v5, 0, v12, vcc
	v_cndmask_b32_e32 v4, 0, v11, vcc
	v_lshl_add_u64 v[2:3], v[4:5], 0, v[2:3]
.LBB312_421:
	s_or_b64 exec, exec, s[6:7]
	v_cmp_eq_u32_e32 vcc, 0, v1
	s_and_saveexec_b64 s[4:5], vcc
; %bb.422:
	v_lshrrev_b32_e32 v4, 3, v0
	v_and_b32_e32 v4, 24, v4
	ds_write_b64 v4, v[2:3] offset:256
; %bb.423:
	s_or_b64 exec, exec, s[4:5]
	v_cmp_gt_u32_e32 vcc, 4, v0
	s_waitcnt lgkmcnt(0)
	s_barrier
	s_and_saveexec_b64 s[4:5], vcc
	s_cbranch_execz .LBB312_427
; %bb.424:
	v_lshlrev_b32_e32 v2, 3, v1
	ds_read_b64 v[2:3], v2 offset:256
	v_and_b32_e32 v6, 3, v1
	v_cmp_ne_u32_e32 vcc, 3, v6
	v_mov_b32_e32 v8, 0
	s_add_i32 s8, s8, 63
	v_addc_co_u32_e32 v1, vcc, 0, v1, vcc
	v_lshlrev_b32_e32 v1, 2, v1
	s_waitcnt lgkmcnt(0)
	ds_bpermute_b32 v4, v1, v2
	ds_bpermute_b32 v9, v1, v3
	v_mov_b32_e32 v5, v8
	s_lshr_b32 s8, s8, 6
	v_add_u32_e32 v1, 1, v6
	s_waitcnt lgkmcnt(1)
	v_lshl_add_u64 v[12:13], v[2:3], 0, v[4:5]
	s_waitcnt lgkmcnt(0)
	v_lshl_add_u64 v[4:5], v[8:9], 0, v[12:13]
	v_cmp_gt_u32_e32 vcc, s8, v1
	v_or_b32_e32 v8, 8, v10
	s_nop 0
	v_cndmask_b32_e32 v7, v3, v5, vcc
	v_cndmask_b32_e32 v1, v2, v12, vcc
	ds_bpermute_b32 v1, v8, v1
	ds_bpermute_b32 v7, v8, v7
	s_and_saveexec_b64 s[6:7], vcc
	s_cbranch_execz .LBB312_426
; %bb.425:
	v_add_u32_e32 v2, 2, v6
	v_cmp_gt_u32_e32 vcc, s8, v2
	s_waitcnt lgkmcnt(0)
	s_nop 0
	v_cndmask_b32_e32 v3, 0, v7, vcc
	v_cndmask_b32_e32 v2, 0, v1, vcc
	v_lshl_add_u64 v[2:3], v[2:3], 0, v[4:5]
.LBB312_426:
	s_or_b64 exec, exec, s[6:7]
.LBB312_427:
	s_or_b64 exec, exec, s[4:5]
.LBB312_428:
	v_cmp_eq_u32_e64 s[4:5], 0, v0
	v_mov_b64_e32 v[4:5], s[2:3]
.LBB312_429:
	s_branch .LBB312_567
.LBB312_430:
	s_cmp_gt_i32 s33, 31
	s_cbranch_scc0 .LBB312_438
; %bb.431:
	s_cmp_eq_u32 s33, 32
                                        ; implicit-def: $vgpr2_vgpr3
                                        ; implicit-def: $vgpr4_vgpr5
	s_cbranch_scc0 .LBB312_439
; %bb.432:
	s_mov_b32 s3, 0
	s_lshl_b32 s8, s2, 13
	s_mov_b32 s9, s3
	s_lshr_b64 s[4:5], s[36:37], 13
	s_lshl_b64 s[6:7], s[8:9], 3
	s_add_u32 s6, s40, s6
	s_addc_u32 s7, s41, s7
	s_cmp_lg_u64 s[4:5], s[2:3]
	s_cbranch_scc0 .LBB312_440
; %bb.433:
	v_lshlrev_b32_e32 v2, 3, v0
	v_mov_b32_e32 v3, 0
	v_lshl_add_u64 v[8:9], s[6:7], 0, v[2:3]
	v_add_co_u32_e32 v10, vcc, 0x1000, v8
	v_mov_b32_e32 v5, s3
	s_nop 0
	v_addc_co_u32_e32 v11, vcc, 0, v9, vcc
	v_add_co_u32_e32 v14, vcc, 0x2000, v8
	global_load_dwordx2 v[12:13], v[10:11], off offset:2048
	s_nop 0
	v_addc_co_u32_e32 v15, vcc, 0, v9, vcc
	global_load_dwordx2 v[16:17], v[14:15], off
	v_add_co_u32_e32 v18, vcc, 0x3000, v8
	s_waitcnt lgkmcnt(0)
	global_load_dwordx2 v[6:7], v[10:11], off
	global_load_dwordx2 v[20:21], v[14:15], off offset:2048
	v_addc_co_u32_e32 v19, vcc, 0, v9, vcc
	v_add_co_u32_e32 v10, vcc, 0x4000, v8
	s_waitcnt vmcnt(3)
	v_cmp_neq_f64_e64 s[4:5], 0, v[12:13]
	v_addc_co_u32_e32 v11, vcc, 0, v9, vcc
	v_add_co_u32_e32 v14, vcc, 0x5000, v8
	global_load_dwordx2 v[22:23], v[18:19], off
	global_load_dwordx2 v[24:25], v[18:19], off offset:2048
	global_load_dwordx2 v[26:27], v[10:11], off
	global_load_dwordx2 v[28:29], v[10:11], off offset:2048
	v_addc_co_u32_e32 v15, vcc, 0, v9, vcc
	v_add_co_u32_e32 v10, vcc, 0x6000, v8
	v_cndmask_b32_e64 v4, 0, 1, s[4:5]
	s_nop 0
	v_addc_co_u32_e32 v11, vcc, 0, v9, vcc
	v_add_co_u32_e32 v18, vcc, 0x7000, v8
	global_load_dwordx2 v[30:31], v[14:15], off
	global_load_dwordx2 v[32:33], v[14:15], off offset:2048
	global_load_dwordx2 v[34:35], v[10:11], off
	global_load_dwordx2 v[36:37], v[10:11], off offset:2048
	v_addc_co_u32_e32 v19, vcc, 0, v9, vcc
	v_add_co_u32_e32 v10, vcc, 0x8000, v8
	s_waitcnt vmcnt(10)
	v_cmp_neq_f64_e64 s[4:5], 0, v[16:17]
	v_addc_co_u32_e32 v11, vcc, 0, v9, vcc
	v_add_co_u32_e32 v14, vcc, 0x9000, v8
	global_load_dwordx2 v[38:39], v[18:19], off
	global_load_dwordx2 v[40:41], v[18:19], off offset:2048
	global_load_dwordx2 v[42:43], v[10:11], off
	global_load_dwordx2 v[44:45], v[10:11], off offset:2048
	v_addc_co_u32_e32 v15, vcc, 0, v9, vcc
	v_add_co_u32_e32 v10, vcc, 0xa000, v8
	v_cndmask_b32_e64 v12, 0, 1, s[4:5]
	s_nop 0
	v_addc_co_u32_e32 v11, vcc, 0, v9, vcc
	v_add_co_u32_e32 v18, vcc, 0xb000, v8
	global_load_dwordx2 v[46:47], v[14:15], off
	global_load_dwordx2 v[48:49], v[14:15], off offset:2048
	global_load_dwordx2 v[50:51], v[10:11], off
	global_load_dwordx2 v[52:53], v[10:11], off offset:2048
	v_addc_co_u32_e32 v19, vcc, 0, v9, vcc
	global_load_dwordx2 v[14:15], v[18:19], off
	v_add_co_u32_e32 v10, vcc, 0xc000, v8
	v_mov_b32_e32 v13, s3
	s_nop 0
	v_addc_co_u32_e32 v11, vcc, 0, v9, vcc
	global_load_dwordx2 v[16:17], v[18:19], off offset:2048
	global_load_dwordx2 v[54:55], v[10:11], off
	global_load_dwordx2 v[56:57], v[10:11], off offset:2048
	v_add_co_u32_e32 v10, vcc, 0xd000, v8
	s_nop 1
	v_addc_co_u32_e32 v11, vcc, 0, v9, vcc
	global_load_dwordx2 v[18:19], v[10:11], off
	global_load_dwordx2 v[58:59], v[10:11], off offset:2048
	v_add_co_u32_e32 v10, vcc, 0xe000, v8
	s_nop 1
	v_addc_co_u32_e32 v11, vcc, 0, v9, vcc
	;; [unrolled: 5-line block ×3, first 2 shown]
	global_load_dwordx2 v[10:11], v[8:9], off
	global_load_dwordx2 v[64:65], v2, s[6:7]
	global_load_dwordx2 v[66:67], v2, s[6:7] offset:2048
	global_load_dwordx2 v[68:69], v[8:9], off offset:2048
	s_waitcnt vmcnt(28)
	v_cmp_neq_f64_e32 vcc, 0, v[20:21]
	v_mov_b32_e32 v9, s3
	v_mov_b32_e32 v21, s3
	v_cndmask_b32_e64 v8, 0, 1, vcc
	s_waitcnt vmcnt(27)
	v_cmp_neq_f64_e32 vcc, 0, v[22:23]
	s_nop 1
	v_cndmask_b32_e64 v20, 0, 1, vcc
	s_waitcnt vmcnt(26)
	v_cmp_neq_f64_e32 vcc, 0, v[24:25]
	v_mov_b32_e32 v23, s3
	v_mov_b32_e32 v25, s3
	v_cndmask_b32_e64 v22, 0, 1, vcc
	s_waitcnt vmcnt(25)
	v_cmp_neq_f64_e32 vcc, 0, v[26:27]
	v_mov_b32_e32 v27, s3
	s_nop 0
	v_cndmask_b32_e64 v24, 0, 1, vcc
	s_waitcnt vmcnt(24)
	v_cmp_neq_f64_e32 vcc, 0, v[28:29]
	v_mov_b32_e32 v29, s3
	s_nop 0
	;; [unrolled: 5-line block ×23, first 2 shown]
	v_cndmask_b32_e64 v10, 0, 1, vcc
	s_waitcnt vmcnt(0)
	v_cmp_neq_f64_e32 vcc, 0, v[68:69]
	s_nop 1
	v_cndmask_b32_e64 v62, 0, 1, vcc
	v_cmp_neq_f64_e32 vcc, 0, v[66:67]
	s_nop 1
	v_cndmask_b32_e64 v1, 0, 1, vcc
	v_cmp_neq_f64_e32 vcc, 0, v[64:65]
	s_nop 1
	v_cndmask_b32_e64 v2, 0, 1, vcc
	v_cmp_neq_f64_e32 vcc, 0, v[6:7]
	v_mov_b32_dpp v7, v3 quad_perm:[1,0,3,2] row_mask:0xf bank_mask:0xf bound_ctrl:1
	v_mov_b32_e32 v6, v3
	v_addc_co_u32_e32 v2, vcc, v1, v2, vcc
	v_lshl_add_u64 v[4:5], v[2:3], 0, v[4:5]
	v_lshl_add_u64 v[4:5], v[4:5], 0, v[12:13]
	;; [unrolled: 1-line block ×29, first 2 shown]
	v_mbcnt_lo_u32_b32 v1, -1, 0
	v_mbcnt_hi_u32_b32 v1, -1, v1
	v_mov_b32_dpp v2, v4 quad_perm:[1,0,3,2] row_mask:0xf bank_mask:0xf bound_ctrl:1
	v_lshl_add_u64 v[4:5], v[4:5], 0, v[2:3]
	v_lshl_add_u64 v[6:7], v[6:7], 0, v[4:5]
	v_cmp_eq_u32_e32 vcc, 0, v1
	v_mov_b32_dpp v2, v4 quad_perm:[2,3,0,1] row_mask:0xf bank_mask:0xf bound_ctrl:1
	v_mov_b32_dpp v5, v7 quad_perm:[2,3,0,1] row_mask:0xf bank_mask:0xf bound_ctrl:1
	v_mov_b32_e32 v4, v3
	v_lshl_add_u64 v[6:7], v[6:7], 0, v[2:3]
	v_lshl_add_u64 v[4:5], v[6:7], 0, v[4:5]
	s_nop 0
	v_mov_b32_dpp v2, v6 row_ror:4 row_mask:0xf bank_mask:0xf bound_ctrl:1
	v_mov_b32_dpp v7, v5 row_ror:4 row_mask:0xf bank_mask:0xf bound_ctrl:1
	v_mov_b32_e32 v6, v3
	v_lshl_add_u64 v[4:5], v[4:5], 0, v[2:3]
	v_lshl_add_u64 v[6:7], v[4:5], 0, v[6:7]
	s_nop 0
	v_mov_b32_dpp v2, v4 row_ror:8 row_mask:0xf bank_mask:0xf bound_ctrl:1
	v_mov_b32_dpp v5, v7 row_ror:8 row_mask:0xf bank_mask:0xf bound_ctrl:1
	v_mov_b32_e32 v4, v3
	v_lshl_add_u64 v[6:7], v[6:7], 0, v[2:3]
	v_lshl_add_u64 v[4:5], v[6:7], 0, v[4:5]
	s_nop 0
	v_mov_b32_dpp v2, v6 row_bcast:15 row_mask:0xf bank_mask:0xf bound_ctrl:1
	v_mov_b32_dpp v7, v5 row_bcast:15 row_mask:0xf bank_mask:0xf bound_ctrl:1
	v_mov_b32_e32 v6, v3
	v_lshl_add_u64 v[4:5], v[4:5], 0, v[2:3]
	v_lshl_add_u64 v[6:7], v[4:5], 0, v[6:7]
	s_nop 0
	v_mov_b32_dpp v2, v4 row_bcast:31 row_mask:0xf bank_mask:0xf bound_ctrl:1
	v_lshl_add_u64 v[2:3], v[6:7], 0, v[2:3]
	v_lshlrev_b32_e32 v4, 2, v1
	v_or_b32_e32 v5, 0xfc, v4
	v_add_u32_dpp v3, v7, v3 row_bcast:31 row_mask:0xf bank_mask:0xf bound_ctrl:1
	ds_bpermute_b32 v2, v5, v2
	ds_bpermute_b32 v3, v5, v3
	s_and_saveexec_b64 s[4:5], vcc
	s_cbranch_execz .LBB312_435
; %bb.434:
	v_lshrrev_b32_e32 v5, 3, v0
	v_and_b32_e32 v5, 24, v5
	s_waitcnt lgkmcnt(0)
	ds_write_b64 v5, v[2:3] offset:128
.LBB312_435:
	s_or_b64 exec, exec, s[4:5]
	v_cmp_gt_u32_e32 vcc, 64, v0
	s_waitcnt lgkmcnt(0)
	s_barrier
	s_and_saveexec_b64 s[4:5], vcc
	s_cbranch_execz .LBB312_437
; %bb.436:
	v_and_b32_e32 v5, 3, v1
	v_lshlrev_b32_e32 v2, 3, v5
	ds_read_b64 v[2:3], v2 offset:128
	v_cmp_ne_u32_e32 vcc, 3, v5
	v_mov_b32_e32 v8, 0
	v_mov_b32_e32 v7, v8
	v_addc_co_u32_e32 v1, vcc, 0, v1, vcc
	v_lshlrev_b32_e32 v1, 2, v1
	s_waitcnt lgkmcnt(0)
	ds_bpermute_b32 v6, v1, v2
	ds_bpermute_b32 v9, v1, v3
	v_or_b32_e32 v1, 8, v4
	s_waitcnt lgkmcnt(1)
	v_lshl_add_u64 v[2:3], v[2:3], 0, v[6:7]
	s_waitcnt lgkmcnt(0)
	v_lshl_add_u64 v[4:5], v[8:9], 0, v[2:3]
	ds_bpermute_b32 v2, v1, v2
	ds_bpermute_b32 v9, v1, v5
	v_mov_b32_e32 v3, v8
	s_waitcnt lgkmcnt(1)
	v_lshl_add_u64 v[2:3], v[4:5], 0, v[2:3]
	s_waitcnt lgkmcnt(0)
	v_lshl_add_u64 v[2:3], v[2:3], 0, v[8:9]
.LBB312_437:
	s_or_b64 exec, exec, s[4:5]
	s_mov_b64 s[4:5], 0
	s_branch .LBB312_441
.LBB312_438:
                                        ; implicit-def: $vgpr2_vgpr3
                                        ; implicit-def: $vgpr4_vgpr5
	s_cbranch_execnz .LBB312_516
	s_branch .LBB312_567
.LBB312_439:
	s_branch .LBB312_567
.LBB312_440:
	s_mov_b64 s[4:5], -1
                                        ; implicit-def: $vgpr2_vgpr3
.LBB312_441:
	s_and_b64 vcc, exec, s[4:5]
	s_cbranch_vccz .LBB312_515
; %bb.442:
	s_sub_i32 s8, s36, s8
	v_cmp_gt_u32_e32 vcc, s8, v0
                                        ; implicit-def: $vgpr2_vgpr3
	s_and_saveexec_b64 s[4:5], vcc
	s_cbranch_execz .LBB312_444
; %bb.443:
	s_waitcnt lgkmcnt(1)
	v_lshlrev_b32_e32 v1, 3, v0
	global_load_dwordx2 v[2:3], v1, s[6:7]
	s_mov_b32 s9, 0
	s_waitcnt vmcnt(0)
	v_cmp_neq_f64_e32 vcc, 0, v[2:3]
	s_nop 1
	v_cndmask_b32_e64 v2, 0, 1, vcc
	v_mov_b32_e32 v3, s9
.LBB312_444:
	s_or_b64 exec, exec, s[4:5]
	s_waitcnt lgkmcnt(1)
	v_or_b32_e32 v1, 0x100, v0
	v_cmp_gt_u32_e32 vcc, s8, v1
	v_mov_b64_e32 v[4:5], 0
	s_waitcnt lgkmcnt(0)
	v_mov_b64_e32 v[6:7], 0
	s_and_saveexec_b64 s[4:5], vcc
	s_cbranch_execz .LBB312_446
; %bb.445:
	v_lshlrev_b32_e32 v1, 3, v0
	global_load_dwordx2 v[6:7], v1, s[6:7] offset:2048
	s_mov_b32 s9, 0
	s_waitcnt vmcnt(0)
	v_cmp_neq_f64_e32 vcc, 0, v[6:7]
	s_nop 1
	v_cndmask_b32_e64 v6, 0, 1, vcc
	v_mov_b32_e32 v7, s9
.LBB312_446:
	s_or_b64 exec, exec, s[4:5]
	v_or_b32_e32 v1, 0x200, v0
	v_cmp_gt_u32_e32 vcc, s8, v1
	s_and_saveexec_b64 s[4:5], vcc
	s_cbranch_execz .LBB312_448
; %bb.447:
	v_lshlrev_b32_e32 v1, 3, v1
	global_load_dwordx2 v[4:5], v1, s[6:7]
	s_mov_b32 s9, 0
	s_waitcnt vmcnt(0)
	v_cmp_neq_f64_e32 vcc, 0, v[4:5]
	s_nop 1
	v_cndmask_b32_e64 v4, 0, 1, vcc
	v_mov_b32_e32 v5, s9
.LBB312_448:
	s_or_b64 exec, exec, s[4:5]
	v_or_b32_e32 v1, 0x300, v0
	v_cmp_gt_u32_e32 vcc, s8, v1
	v_mov_b64_e32 v[8:9], 0
	v_mov_b64_e32 v[10:11], 0
	s_and_saveexec_b64 s[4:5], vcc
	s_cbranch_execz .LBB312_450
; %bb.449:
	v_lshlrev_b32_e32 v1, 3, v1
	global_load_dwordx2 v[10:11], v1, s[6:7]
	s_mov_b32 s9, 0
	s_waitcnt vmcnt(0)
	v_cmp_neq_f64_e32 vcc, 0, v[10:11]
	s_nop 1
	v_cndmask_b32_e64 v10, 0, 1, vcc
	v_mov_b32_e32 v11, s9
.LBB312_450:
	s_or_b64 exec, exec, s[4:5]
	v_or_b32_e32 v1, 0x400, v0
	v_cmp_gt_u32_e32 vcc, s8, v1
	s_and_saveexec_b64 s[4:5], vcc
	s_cbranch_execz .LBB312_452
; %bb.451:
	v_lshlrev_b32_e32 v1, 3, v1
	global_load_dwordx2 v[8:9], v1, s[6:7]
	s_mov_b32 s9, 0
	s_waitcnt vmcnt(0)
	v_cmp_neq_f64_e32 vcc, 0, v[8:9]
	s_nop 1
	v_cndmask_b32_e64 v8, 0, 1, vcc
	v_mov_b32_e32 v9, s9
.LBB312_452:
	s_or_b64 exec, exec, s[4:5]
	v_or_b32_e32 v1, 0x500, v0
	v_cmp_gt_u32_e32 vcc, s8, v1
	v_mov_b64_e32 v[12:13], 0
	v_mov_b64_e32 v[14:15], 0
	s_and_saveexec_b64 s[4:5], vcc
	s_cbranch_execz .LBB312_454
; %bb.453:
	v_lshlrev_b32_e32 v1, 3, v1
	global_load_dwordx2 v[14:15], v1, s[6:7]
	s_mov_b32 s9, 0
	s_waitcnt vmcnt(0)
	v_cmp_neq_f64_e32 vcc, 0, v[14:15]
	s_nop 1
	v_cndmask_b32_e64 v14, 0, 1, vcc
	v_mov_b32_e32 v15, s9
.LBB312_454:
	;; [unrolled: 32-line block ×14, first 2 shown]
	s_or_b64 exec, exec, s[4:5]
	v_or_b32_e32 v1, 0x1e00, v0
	v_cmp_gt_u32_e32 vcc, s8, v1
	s_and_saveexec_b64 s[4:5], vcc
	s_cbranch_execz .LBB312_504
; %bb.503:
	v_lshlrev_b32_e32 v1, 3, v1
	global_load_dwordx2 v[60:61], v1, s[6:7]
	s_mov_b32 s9, 0
	s_waitcnt vmcnt(0)
	v_cmp_neq_f64_e32 vcc, 0, v[60:61]
	s_nop 1
	v_cndmask_b32_e64 v60, 0, 1, vcc
	v_mov_b32_e32 v61, s9
.LBB312_504:
	s_or_b64 exec, exec, s[4:5]
	v_or_b32_e32 v1, 0x1f00, v0
	v_cmp_gt_u32_e32 vcc, s8, v1
	v_mov_b64_e32 v[64:65], 0
	s_and_saveexec_b64 s[4:5], vcc
	s_cbranch_execz .LBB312_506
; %bb.505:
	v_lshlrev_b32_e32 v1, 3, v1
	global_load_dwordx2 v[64:65], v1, s[6:7]
	s_mov_b32 s6, 0
	s_waitcnt vmcnt(0)
	v_cmp_neq_f64_e32 vcc, 0, v[64:65]
	s_nop 1
	v_cndmask_b32_e64 v64, 0, 1, vcc
	v_mov_b32_e32 v65, s6
.LBB312_506:
	s_or_b64 exec, exec, s[4:5]
	v_lshl_add_u64 v[2:3], v[6:7], 0, v[2:3]
	v_lshl_add_u64 v[2:3], v[2:3], 0, v[4:5]
	;; [unrolled: 1-line block ×26, first 2 shown]
	v_mbcnt_lo_u32_b32 v1, -1, 0
	v_lshl_add_u64 v[2:3], v[2:3], 0, v[58:59]
	v_mbcnt_hi_u32_b32 v1, -1, v1
	v_lshl_add_u64 v[2:3], v[2:3], 0, v[56:57]
	v_and_b32_e32 v9, 63, v1
	v_lshl_add_u64 v[2:3], v[2:3], 0, v[62:63]
	s_min_u32 s8, s8, 0x100
	v_and_b32_e32 v4, 0xc0, v0
	v_cmp_ne_u32_e32 vcc, 63, v9
	v_lshl_add_u64 v[2:3], v[2:3], 0, v[60:61]
	v_sub_u32_e64 v8, s8, v4 clamp
	v_addc_co_u32_e32 v4, vcc, 0, v1, vcc
	v_lshl_add_u64 v[2:3], v[2:3], 0, v[64:65]
	v_lshlrev_b32_e32 v5, 2, v4
	ds_bpermute_b32 v4, v5, v2
	ds_bpermute_b32 v7, v5, v3
	v_mov_b32_e32 v6, 0
	v_add_u32_e32 v10, 1, v9
	v_mov_b32_e32 v5, v6
	s_waitcnt lgkmcnt(1)
	v_lshl_add_u64 v[4:5], v[2:3], 0, v[4:5]
	v_cmp_lt_u32_e64 s[4:5], v10, v8
	v_cmp_gt_u32_e32 vcc, 62, v9
	s_waitcnt lgkmcnt(0)
	v_lshl_add_u64 v[6:7], v[6:7], 0, v[4:5]
	v_cndmask_b32_e64 v12, v2, v4, s[4:5]
	v_cndmask_b32_e64 v4, 0, 2, vcc
	v_cndmask_b32_e64 v5, v3, v7, s[4:5]
	v_add_lshl_u32 v4, v4, v1, 2
	ds_bpermute_b32 v10, v4, v12
	ds_bpermute_b32 v11, v4, v5
	v_cndmask_b32_e64 v4, v2, v6, s[4:5]
	v_add_u32_e32 v13, 2, v9
	v_cmp_lt_u32_e32 vcc, v13, v8
	v_cmp_gt_u32_e64 s[6:7], 60, v9
	s_waitcnt lgkmcnt(0)
	v_lshl_add_u64 v[6:7], v[10:11], 0, v[4:5]
	v_cndmask_b32_e32 v5, v5, v7, vcc
	v_cndmask_b32_e64 v7, 0, 4, s[6:7]
	v_cndmask_b32_e32 v12, v12, v6, vcc
	v_add_lshl_u32 v7, v7, v1, 2
	ds_bpermute_b32 v10, v7, v12
	ds_bpermute_b32 v11, v7, v5
	v_cndmask_b32_e32 v4, v4, v6, vcc
	v_add_u32_e32 v13, 4, v9
	v_cmp_lt_u32_e32 vcc, v13, v8
	v_cmp_gt_u32_e64 s[6:7], 56, v9
	s_waitcnt lgkmcnt(0)
	v_lshl_add_u64 v[6:7], v[10:11], 0, v[4:5]
	v_cndmask_b32_e32 v5, v5, v7, vcc
	v_cndmask_b32_e64 v7, 0, 8, s[6:7]
	v_cndmask_b32_e32 v12, v12, v6, vcc
	v_add_lshl_u32 v7, v7, v1, 2
	ds_bpermute_b32 v10, v7, v12
	ds_bpermute_b32 v11, v7, v5
	v_cndmask_b32_e32 v4, v4, v6, vcc
	;; [unrolled: 12-line block ×3, first 2 shown]
	v_add_u32_e32 v13, 16, v9
	v_cmp_lt_u32_e32 vcc, v13, v8
	s_waitcnt lgkmcnt(0)
	v_lshl_add_u64 v[6:7], v[10:11], 0, v[4:5]
	v_lshlrev_b32_e32 v10, 2, v1
	v_cndmask_b32_e32 v13, v5, v7, vcc
	v_cndmask_b32_e32 v11, v12, v6, vcc
	v_or_b32_e32 v12, 0x80, v10
	ds_bpermute_b32 v11, v12, v11
	ds_bpermute_b32 v12, v12, v13
	s_and_saveexec_b64 s[6:7], s[4:5]
	s_cbranch_execz .LBB312_508
; %bb.507:
	v_add_u32_e32 v9, 32, v9
	v_cndmask_b32_e32 v3, v5, v7, vcc
	v_cndmask_b32_e32 v2, v4, v6, vcc
	v_cmp_lt_u32_e32 vcc, v9, v8
	s_waitcnt lgkmcnt(0)
	s_nop 0
	v_cndmask_b32_e32 v5, 0, v12, vcc
	v_cndmask_b32_e32 v4, 0, v11, vcc
	v_lshl_add_u64 v[2:3], v[4:5], 0, v[2:3]
.LBB312_508:
	s_or_b64 exec, exec, s[6:7]
	v_cmp_eq_u32_e32 vcc, 0, v1
	s_and_saveexec_b64 s[4:5], vcc
; %bb.509:
	v_lshrrev_b32_e32 v4, 3, v0
	v_and_b32_e32 v4, 24, v4
	ds_write_b64 v4, v[2:3] offset:256
; %bb.510:
	s_or_b64 exec, exec, s[4:5]
	v_cmp_gt_u32_e32 vcc, 4, v0
	s_waitcnt lgkmcnt(0)
	s_barrier
	s_and_saveexec_b64 s[4:5], vcc
	s_cbranch_execz .LBB312_514
; %bb.511:
	v_lshlrev_b32_e32 v2, 3, v1
	ds_read_b64 v[2:3], v2 offset:256
	v_and_b32_e32 v6, 3, v1
	v_cmp_ne_u32_e32 vcc, 3, v6
	v_mov_b32_e32 v8, 0
	s_add_i32 s8, s8, 63
	v_addc_co_u32_e32 v1, vcc, 0, v1, vcc
	v_lshlrev_b32_e32 v1, 2, v1
	s_waitcnt lgkmcnt(0)
	ds_bpermute_b32 v4, v1, v2
	ds_bpermute_b32 v9, v1, v3
	v_mov_b32_e32 v5, v8
	s_lshr_b32 s8, s8, 6
	v_add_u32_e32 v1, 1, v6
	s_waitcnt lgkmcnt(1)
	v_lshl_add_u64 v[12:13], v[2:3], 0, v[4:5]
	s_waitcnt lgkmcnt(0)
	v_lshl_add_u64 v[4:5], v[8:9], 0, v[12:13]
	v_cmp_gt_u32_e32 vcc, s8, v1
	v_or_b32_e32 v8, 8, v10
	s_nop 0
	v_cndmask_b32_e32 v7, v3, v5, vcc
	v_cndmask_b32_e32 v1, v2, v12, vcc
	ds_bpermute_b32 v1, v8, v1
	ds_bpermute_b32 v7, v8, v7
	s_and_saveexec_b64 s[6:7], vcc
	s_cbranch_execz .LBB312_513
; %bb.512:
	v_add_u32_e32 v2, 2, v6
	v_cmp_gt_u32_e32 vcc, s8, v2
	s_waitcnt lgkmcnt(0)
	s_nop 0
	v_cndmask_b32_e32 v3, 0, v7, vcc
	v_cndmask_b32_e32 v2, 0, v1, vcc
	v_lshl_add_u64 v[2:3], v[2:3], 0, v[4:5]
.LBB312_513:
	s_or_b64 exec, exec, s[6:7]
.LBB312_514:
	s_or_b64 exec, exec, s[4:5]
.LBB312_515:
	v_cmp_eq_u32_e64 s[4:5], 0, v0
	v_mov_b64_e32 v[4:5], s[2:3]
	s_branch .LBB312_567
.LBB312_516:
	s_cmp_eq_u32 s33, 16
                                        ; implicit-def: $vgpr2_vgpr3
                                        ; implicit-def: $vgpr4_vgpr5
	s_cbranch_scc0 .LBB312_567
; %bb.517:
	s_mov_b32 s3, 0
	s_lshl_b32 s4, s2, 12
	s_mov_b32 s5, s3
	s_lshr_b64 s[6:7], s[36:37], 12
	s_lshl_b64 s[8:9], s[4:5], 3
	s_add_u32 s34, s40, s8
	s_addc_u32 s35, s41, s9
	s_cmp_lg_u64 s[6:7], s[2:3]
	s_cbranch_scc0 .LBB312_523
; %bb.518:
	v_lshlrev_b32_e32 v2, 3, v0
	v_mov_b32_e32 v3, 0
	v_lshl_add_u64 v[4:5], s[34:35], 0, v[2:3]
	v_add_co_u32_e32 v6, vcc, 0x1000, v4
	v_mov_b32_e32 v41, s3
	s_waitcnt lgkmcnt(0)
	v_addc_co_u32_e32 v7, vcc, 0, v5, vcc
	v_add_co_u32_e32 v8, vcc, 0x2000, v4
	v_mov_b32_e32 v43, s3
	s_nop 0
	v_addc_co_u32_e32 v9, vcc, 0, v5, vcc
	global_load_dwordx2 v[10:11], v[6:7], off offset:2048
	global_load_dwordx2 v[12:13], v[8:9], off
	global_load_dwordx2 v[14:15], v[8:9], off offset:2048
	v_add_co_u32_e32 v8, vcc, 0x3000, v4
	v_mov_b32_e32 v45, s3
	s_nop 0
	v_addc_co_u32_e32 v9, vcc, 0, v5, vcc
	v_add_co_u32_e32 v16, vcc, 0x4000, v4
	v_mov_b32_e32 v47, s3
	s_nop 0
	v_addc_co_u32_e32 v17, vcc, 0, v5, vcc
	global_load_dwordx2 v[18:19], v[8:9], off
	global_load_dwordx2 v[20:21], v[8:9], off offset:2048
	global_load_dwordx2 v[22:23], v[16:17], off
	global_load_dwordx2 v[24:25], v[16:17], off offset:2048
	v_add_co_u32_e32 v8, vcc, 0x5000, v4
	v_mov_b32_e32 v49, s3
	s_nop 0
	v_addc_co_u32_e32 v9, vcc, 0, v5, vcc
	v_add_co_u32_e32 v16, vcc, 0x6000, v4
	v_mov_b32_e32 v51, s3
	s_nop 0
	v_addc_co_u32_e32 v17, vcc, 0, v5, vcc
	global_load_dwordx2 v[26:27], v[8:9], off
	global_load_dwordx2 v[28:29], v[8:9], off offset:2048
	global_load_dwordx2 v[30:31], v[16:17], off
	global_load_dwordx2 v[32:33], v[16:17], off offset:2048
	v_add_co_u32_e32 v4, vcc, 0x7000, v4
	v_mov_b32_e32 v53, s3
	s_nop 0
	v_addc_co_u32_e32 v5, vcc, 0, v5, vcc
	global_load_dwordx2 v[8:9], v[4:5], off
	global_load_dwordx2 v[16:17], v2, s[34:35] offset:2048
	global_load_dwordx2 v[34:35], v[4:5], off offset:2048
	global_load_dwordx2 v[36:37], v2, s[34:35]
	global_load_dwordx2 v[38:39], v[6:7], off
	v_mov_b32_e32 v5, s3
	v_mov_b32_e32 v7, s3
	;; [unrolled: 1-line block ×5, first 2 shown]
	s_waitcnt vmcnt(15)
	v_cmp_neq_f64_e32 vcc, 0, v[10:11]
	s_nop 1
	v_cndmask_b32_e64 v4, 0, 1, vcc
	s_waitcnt vmcnt(14)
	v_cmp_neq_f64_e32 vcc, 0, v[12:13]
	s_nop 1
	v_cndmask_b32_e64 v6, 0, 1, vcc
	s_waitcnt vmcnt(13)
	v_cmp_neq_f64_e32 vcc, 0, v[14:15]
	s_nop 1
	v_cndmask_b32_e64 v40, 0, 1, vcc
	s_waitcnt vmcnt(12)
	v_cmp_neq_f64_e32 vcc, 0, v[18:19]
	s_nop 1
	v_cndmask_b32_e64 v42, 0, 1, vcc
	s_waitcnt vmcnt(11)
	v_cmp_neq_f64_e32 vcc, 0, v[20:21]
	s_nop 1
	v_cndmask_b32_e64 v44, 0, 1, vcc
	s_waitcnt vmcnt(10)
	v_cmp_neq_f64_e32 vcc, 0, v[22:23]
	s_nop 1
	v_cndmask_b32_e64 v46, 0, 1, vcc
	s_waitcnt vmcnt(9)
	v_cmp_neq_f64_e32 vcc, 0, v[24:25]
	s_nop 1
	v_cndmask_b32_e64 v48, 0, 1, vcc
	s_waitcnt vmcnt(8)
	v_cmp_neq_f64_e32 vcc, 0, v[26:27]
	s_nop 1
	v_cndmask_b32_e64 v50, 0, 1, vcc
	s_waitcnt vmcnt(7)
	v_cmp_neq_f64_e32 vcc, 0, v[28:29]
	s_nop 1
	v_cndmask_b32_e64 v52, 0, 1, vcc
	s_waitcnt vmcnt(6)
	v_cmp_neq_f64_e32 vcc, 0, v[30:31]
	s_nop 1
	v_cndmask_b32_e64 v54, 0, 1, vcc
	s_waitcnt vmcnt(5)
	v_cmp_neq_f64_e32 vcc, 0, v[32:33]
	s_nop 1
	v_cndmask_b32_e64 v56, 0, 1, vcc
	s_waitcnt vmcnt(4)
	v_cmp_neq_f64_e32 vcc, 0, v[8:9]
	v_mov_b32_e32 v9, s3
	s_nop 0
	v_cndmask_b32_e64 v58, 0, 1, vcc
	s_waitcnt vmcnt(2)
	v_cmp_neq_f64_e32 vcc, 0, v[34:35]
	s_nop 1
	v_cndmask_b32_e64 v8, 0, 1, vcc
	v_cmp_neq_f64_e32 vcc, 0, v[16:17]
	s_nop 1
	v_cndmask_b32_e64 v1, 0, 1, vcc
	s_waitcnt vmcnt(1)
	v_cmp_neq_f64_e32 vcc, 0, v[36:37]
	s_nop 1
	v_cndmask_b32_e64 v2, 0, 1, vcc
	s_waitcnt vmcnt(0)
	v_cmp_neq_f64_e32 vcc, 0, v[38:39]
	s_nop 1
	v_addc_co_u32_e32 v2, vcc, v1, v2, vcc
	v_lshl_add_u64 v[4:5], v[2:3], 0, v[4:5]
	v_lshl_add_u64 v[4:5], v[4:5], 0, v[6:7]
	;; [unrolled: 1-line block ×13, first 2 shown]
	v_mov_b32_dpp v7, v3 quad_perm:[1,0,3,2] row_mask:0xf bank_mask:0xf bound_ctrl:1
	v_mov_b32_e32 v6, v3
	v_mov_b32_dpp v2, v4 quad_perm:[1,0,3,2] row_mask:0xf bank_mask:0xf bound_ctrl:1
	v_lshl_add_u64 v[4:5], v[4:5], 0, v[2:3]
	v_lshl_add_u64 v[6:7], v[6:7], 0, v[4:5]
	v_mbcnt_lo_u32_b32 v1, -1, 0
	v_mov_b32_dpp v2, v4 quad_perm:[2,3,0,1] row_mask:0xf bank_mask:0xf bound_ctrl:1
	v_mov_b32_dpp v5, v7 quad_perm:[2,3,0,1] row_mask:0xf bank_mask:0xf bound_ctrl:1
	v_mov_b32_e32 v4, v3
	v_lshl_add_u64 v[6:7], v[6:7], 0, v[2:3]
	v_lshl_add_u64 v[4:5], v[6:7], 0, v[4:5]
	v_mbcnt_hi_u32_b32 v1, -1, v1
	v_mov_b32_dpp v2, v6 row_ror:4 row_mask:0xf bank_mask:0xf bound_ctrl:1
	v_mov_b32_dpp v7, v5 row_ror:4 row_mask:0xf bank_mask:0xf bound_ctrl:1
	v_mov_b32_e32 v6, v3
	v_lshl_add_u64 v[4:5], v[4:5], 0, v[2:3]
	v_lshl_add_u64 v[6:7], v[4:5], 0, v[6:7]
	v_cmp_eq_u32_e32 vcc, 0, v1
	v_mov_b32_dpp v2, v4 row_ror:8 row_mask:0xf bank_mask:0xf bound_ctrl:1
	v_mov_b32_dpp v5, v7 row_ror:8 row_mask:0xf bank_mask:0xf bound_ctrl:1
	v_mov_b32_e32 v4, v3
	v_lshl_add_u64 v[6:7], v[6:7], 0, v[2:3]
	v_lshl_add_u64 v[4:5], v[6:7], 0, v[4:5]
	s_nop 0
	v_mov_b32_dpp v2, v6 row_bcast:15 row_mask:0xf bank_mask:0xf bound_ctrl:1
	v_mov_b32_dpp v7, v5 row_bcast:15 row_mask:0xf bank_mask:0xf bound_ctrl:1
	v_mov_b32_e32 v6, v3
	v_lshl_add_u64 v[4:5], v[4:5], 0, v[2:3]
	v_lshl_add_u64 v[6:7], v[4:5], 0, v[6:7]
	s_nop 0
	v_mov_b32_dpp v2, v4 row_bcast:31 row_mask:0xf bank_mask:0xf bound_ctrl:1
	v_lshl_add_u64 v[2:3], v[6:7], 0, v[2:3]
	v_lshlrev_b32_e32 v4, 2, v1
	v_or_b32_e32 v5, 0xfc, v4
	v_add_u32_dpp v3, v7, v3 row_bcast:31 row_mask:0xf bank_mask:0xf bound_ctrl:1
	ds_bpermute_b32 v2, v5, v2
	ds_bpermute_b32 v3, v5, v3
	s_and_saveexec_b64 s[6:7], vcc
	s_cbranch_execz .LBB312_520
; %bb.519:
	v_lshrrev_b32_e32 v5, 3, v0
	v_and_b32_e32 v5, 24, v5
	s_waitcnt lgkmcnt(0)
	ds_write_b64 v5, v[2:3] offset:32
.LBB312_520:
	s_or_b64 exec, exec, s[6:7]
	v_cmp_gt_u32_e32 vcc, 64, v0
	s_waitcnt lgkmcnt(0)
	s_barrier
	s_and_saveexec_b64 s[6:7], vcc
	s_cbranch_execz .LBB312_522
; %bb.521:
	v_and_b32_e32 v5, 3, v1
	v_lshlrev_b32_e32 v2, 3, v5
	ds_read_b64 v[2:3], v2 offset:32
	v_cmp_ne_u32_e32 vcc, 3, v5
	v_mov_b32_e32 v8, 0
	v_mov_b32_e32 v7, v8
	v_addc_co_u32_e32 v1, vcc, 0, v1, vcc
	v_lshlrev_b32_e32 v1, 2, v1
	s_waitcnt lgkmcnt(0)
	ds_bpermute_b32 v6, v1, v2
	ds_bpermute_b32 v9, v1, v3
	v_or_b32_e32 v1, 8, v4
	s_waitcnt lgkmcnt(1)
	v_lshl_add_u64 v[2:3], v[2:3], 0, v[6:7]
	s_waitcnt lgkmcnt(0)
	v_lshl_add_u64 v[4:5], v[8:9], 0, v[2:3]
	ds_bpermute_b32 v2, v1, v2
	ds_bpermute_b32 v9, v1, v5
	v_mov_b32_e32 v3, v8
	s_waitcnt lgkmcnt(1)
	v_lshl_add_u64 v[2:3], v[4:5], 0, v[2:3]
	s_waitcnt lgkmcnt(0)
	v_lshl_add_u64 v[2:3], v[2:3], 0, v[8:9]
.LBB312_522:
	s_or_b64 exec, exec, s[6:7]
	s_mov_b64 s[6:7], 0
	s_branch .LBB312_524
.LBB312_523:
	s_mov_b64 s[6:7], -1
                                        ; implicit-def: $vgpr2_vgpr3
.LBB312_524:
	s_and_b64 vcc, exec, s[6:7]
	s_cbranch_vccz .LBB312_566
; %bb.525:
	s_sub_i32 s44, s36, s4
	v_mov_b32_e32 v2, 0
	v_cmp_gt_u32_e32 vcc, s44, v0
	v_mov_b32_e32 v3, v2
	v_mov_b32_e32 v4, v2
	;; [unrolled: 1-line block ×4, first 2 shown]
	s_waitcnt lgkmcnt(0)
	v_mov_b32_e32 v7, v2
	v_mov_b32_e32 v8, v2
	;; [unrolled: 1-line block ×27, first 2 shown]
	s_and_saveexec_b64 s[4:5], vcc
	s_cbranch_execz .LBB312_527
; %bb.526:
	v_lshlrev_b32_e32 v1, 3, v0
	global_load_dwordx2 v[34:35], v1, s[34:35]
	v_mov_b32_e32 v3, v2
	v_mov_b32_e32 v4, v2
	;; [unrolled: 1-line block ×31, first 2 shown]
	s_waitcnt vmcnt(0)
	v_cmp_neq_f64_e32 vcc, 0, v[34:35]
	s_nop 1
	v_cndmask_b32_e64 v2, 0, 1, vcc
.LBB312_527:
	s_or_b64 exec, exec, s[4:5]
	v_or_b32_e32 v1, 0x100, v0
	v_cmp_gt_u32_e32 vcc, s44, v1
	s_and_saveexec_b64 s[6:7], vcc
	s_cbranch_execz .LBB312_529
; %bb.528:
	v_lshlrev_b32_e32 v1, 3, v0
	global_load_dwordx2 v[4:5], v1, s[34:35] offset:2048
	s_mov_b32 s8, 0
	s_waitcnt vmcnt(0)
	v_cmp_neq_f64_e64 s[4:5], 0, v[4:5]
	s_nop 1
	v_cndmask_b32_e64 v4, 0, 1, s[4:5]
	v_mov_b32_e32 v5, s8
.LBB312_529:
	s_or_b64 exec, exec, s[6:7]
	v_or_b32_e32 v1, 0x200, v0
	v_cmp_gt_u32_e64 s[4:5], s44, v1
	s_and_saveexec_b64 s[8:9], s[4:5]
	s_cbranch_execz .LBB312_531
; %bb.530:
	v_lshlrev_b32_e32 v1, 3, v1
	global_load_dwordx2 v[6:7], v1, s[34:35]
	s_mov_b32 s10, 0
	s_waitcnt vmcnt(0)
	v_cmp_neq_f64_e64 s[6:7], 0, v[6:7]
	s_nop 1
	v_cndmask_b32_e64 v6, 0, 1, s[6:7]
	v_mov_b32_e32 v7, s10
.LBB312_531:
	s_or_b64 exec, exec, s[8:9]
	v_or_b32_e32 v1, 0x300, v0
	v_cmp_gt_u32_e64 s[6:7], s44, v1
	s_and_saveexec_b64 s[10:11], s[6:7]
	s_cbranch_execz .LBB312_533
; %bb.532:
	v_lshlrev_b32_e32 v1, 3, v1
	global_load_dwordx2 v[8:9], v1, s[34:35]
	s_mov_b32 s12, 0
	s_waitcnt vmcnt(0)
	v_cmp_neq_f64_e64 s[8:9], 0, v[8:9]
	s_nop 1
	v_cndmask_b32_e64 v8, 0, 1, s[8:9]
	v_mov_b32_e32 v9, s12
.LBB312_533:
	;; [unrolled: 15-line block ×14, first 2 shown]
	s_or_b64 exec, exec, s[42:43]
	v_cndmask_b32_e32 v5, 0, v5, vcc
	v_cndmask_b32_e32 v4, 0, v4, vcc
	v_lshl_add_u64 v[2:3], v[4:5], 0, v[2:3]
	v_cndmask_b32_e64 v5, 0, v7, s[4:5]
	v_cndmask_b32_e64 v4, 0, v6, s[4:5]
	v_lshl_add_u64 v[2:3], v[2:3], 0, v[4:5]
	v_cndmask_b32_e64 v5, 0, v9, s[6:7]
	v_cndmask_b32_e64 v4, 0, v8, s[6:7]
	v_lshl_add_u64 v[2:3], v[2:3], 0, v[4:5]
	v_cndmask_b32_e64 v5, 0, v11, s[8:9]
	v_cndmask_b32_e64 v4, 0, v10, s[8:9]
	v_lshl_add_u64 v[2:3], v[2:3], 0, v[4:5]
	v_cndmask_b32_e64 v5, 0, v13, s[10:11]
	v_cndmask_b32_e64 v4, 0, v12, s[10:11]
	v_lshl_add_u64 v[2:3], v[2:3], 0, v[4:5]
	v_cndmask_b32_e64 v5, 0, v15, s[12:13]
	v_cndmask_b32_e64 v4, 0, v14, s[12:13]
	v_lshl_add_u64 v[2:3], v[2:3], 0, v[4:5]
	v_cndmask_b32_e64 v5, 0, v17, s[14:15]
	v_cndmask_b32_e64 v4, 0, v16, s[14:15]
	v_lshl_add_u64 v[2:3], v[2:3], 0, v[4:5]
	v_cndmask_b32_e64 v5, 0, v19, s[16:17]
	v_cndmask_b32_e64 v4, 0, v18, s[16:17]
	v_lshl_add_u64 v[2:3], v[2:3], 0, v[4:5]
	v_cndmask_b32_e64 v5, 0, v21, s[18:19]
	v_cndmask_b32_e64 v4, 0, v20, s[18:19]
	v_lshl_add_u64 v[2:3], v[2:3], 0, v[4:5]
	v_cndmask_b32_e64 v5, 0, v23, s[20:21]
	v_cndmask_b32_e64 v4, 0, v22, s[20:21]
	v_lshl_add_u64 v[2:3], v[2:3], 0, v[4:5]
	v_cndmask_b32_e64 v5, 0, v25, s[22:23]
	v_cndmask_b32_e64 v4, 0, v24, s[22:23]
	v_lshl_add_u64 v[2:3], v[2:3], 0, v[4:5]
	v_cndmask_b32_e64 v5, 0, v27, s[24:25]
	v_cndmask_b32_e64 v4, 0, v26, s[24:25]
	v_lshl_add_u64 v[2:3], v[2:3], 0, v[4:5]
	v_cndmask_b32_e64 v5, 0, v29, s[26:27]
	v_cndmask_b32_e64 v4, 0, v28, s[26:27]
	v_mbcnt_lo_u32_b32 v1, -1, 0
	v_lshl_add_u64 v[2:3], v[2:3], 0, v[4:5]
	v_cndmask_b32_e64 v5, 0, v31, s[28:29]
	v_cndmask_b32_e64 v4, 0, v30, s[28:29]
	v_mbcnt_hi_u32_b32 v1, -1, v1
	v_lshl_add_u64 v[2:3], v[2:3], 0, v[4:5]
	v_cndmask_b32_e64 v5, 0, v33, s[30:31]
	v_cndmask_b32_e64 v4, 0, v32, s[30:31]
	v_and_b32_e32 v9, 63, v1
	v_lshl_add_u64 v[2:3], v[2:3], 0, v[4:5]
	s_min_u32 s8, s44, 0x100
	v_and_b32_e32 v4, 0xc0, v0
	v_cmp_ne_u32_e32 vcc, 63, v9
	v_sub_u32_e64 v8, s8, v4 clamp
	v_mov_b32_e32 v6, 0
	v_addc_co_u32_e32 v4, vcc, 0, v1, vcc
	v_lshlrev_b32_e32 v5, 2, v4
	ds_bpermute_b32 v4, v5, v2
	ds_bpermute_b32 v7, v5, v3
	v_add_u32_e32 v10, 1, v9
	v_mov_b32_e32 v5, v6
	v_cmp_lt_u32_e64 s[4:5], v10, v8
	s_waitcnt lgkmcnt(1)
	v_lshl_add_u64 v[4:5], v[2:3], 0, v[4:5]
	v_cmp_gt_u32_e32 vcc, 62, v9
	s_waitcnt lgkmcnt(0)
	v_lshl_add_u64 v[6:7], v[4:5], 0, v[6:7]
	v_cndmask_b32_e64 v12, v2, v4, s[4:5]
	v_cndmask_b32_e64 v4, 0, 2, vcc
	v_cndmask_b32_e64 v5, v3, v7, s[4:5]
	v_add_lshl_u32 v4, v4, v1, 2
	ds_bpermute_b32 v10, v4, v12
	ds_bpermute_b32 v11, v4, v5
	v_cndmask_b32_e64 v4, v2, v6, s[4:5]
	v_add_u32_e32 v13, 2, v9
	v_cmp_lt_u32_e32 vcc, v13, v8
	v_cmp_gt_u32_e64 s[6:7], 60, v9
	s_waitcnt lgkmcnt(0)
	v_lshl_add_u64 v[6:7], v[10:11], 0, v[4:5]
	v_cndmask_b32_e32 v5, v5, v7, vcc
	v_cndmask_b32_e64 v7, 0, 4, s[6:7]
	v_cndmask_b32_e32 v12, v12, v6, vcc
	v_add_lshl_u32 v7, v7, v1, 2
	ds_bpermute_b32 v10, v7, v12
	ds_bpermute_b32 v11, v7, v5
	v_cndmask_b32_e32 v4, v4, v6, vcc
	v_add_u32_e32 v13, 4, v9
	v_cmp_lt_u32_e32 vcc, v13, v8
	v_cmp_gt_u32_e64 s[6:7], 56, v9
	s_waitcnt lgkmcnt(0)
	v_lshl_add_u64 v[6:7], v[10:11], 0, v[4:5]
	v_cndmask_b32_e32 v5, v5, v7, vcc
	v_cndmask_b32_e64 v7, 0, 8, s[6:7]
	v_cndmask_b32_e32 v12, v12, v6, vcc
	v_add_lshl_u32 v7, v7, v1, 2
	ds_bpermute_b32 v10, v7, v12
	ds_bpermute_b32 v11, v7, v5
	v_cndmask_b32_e32 v4, v4, v6, vcc
	;; [unrolled: 12-line block ×3, first 2 shown]
	v_add_u32_e32 v13, 16, v9
	v_cmp_lt_u32_e32 vcc, v13, v8
	s_waitcnt lgkmcnt(0)
	v_lshl_add_u64 v[6:7], v[10:11], 0, v[4:5]
	v_lshlrev_b32_e32 v10, 2, v1
	v_cndmask_b32_e32 v13, v5, v7, vcc
	v_cndmask_b32_e32 v11, v12, v6, vcc
	v_or_b32_e32 v12, 0x80, v10
	ds_bpermute_b32 v11, v12, v11
	ds_bpermute_b32 v12, v12, v13
	s_and_saveexec_b64 s[6:7], s[4:5]
	s_cbranch_execz .LBB312_559
; %bb.558:
	v_add_u32_e32 v9, 32, v9
	v_cndmask_b32_e32 v3, v5, v7, vcc
	v_cndmask_b32_e32 v2, v4, v6, vcc
	v_cmp_lt_u32_e32 vcc, v9, v8
	s_waitcnt lgkmcnt(0)
	s_nop 0
	v_cndmask_b32_e32 v5, 0, v12, vcc
	v_cndmask_b32_e32 v4, 0, v11, vcc
	v_lshl_add_u64 v[2:3], v[2:3], 0, v[4:5]
.LBB312_559:
	s_or_b64 exec, exec, s[6:7]
	v_cmp_eq_u32_e32 vcc, 0, v1
	s_and_saveexec_b64 s[4:5], vcc
; %bb.560:
	v_lshrrev_b32_e32 v4, 3, v0
	v_and_b32_e32 v4, 24, v4
	ds_write_b64 v4, v[2:3] offset:256
; %bb.561:
	s_or_b64 exec, exec, s[4:5]
	v_cmp_gt_u32_e32 vcc, 4, v0
	s_waitcnt lgkmcnt(0)
	s_barrier
	s_and_saveexec_b64 s[4:5], vcc
	s_cbranch_execz .LBB312_565
; %bb.562:
	v_lshlrev_b32_e32 v2, 3, v1
	ds_read_b64 v[2:3], v2 offset:256
	v_and_b32_e32 v6, 3, v1
	v_cmp_ne_u32_e32 vcc, 3, v6
	v_mov_b32_e32 v8, 0
	s_add_i32 s8, s8, 63
	v_addc_co_u32_e32 v1, vcc, 0, v1, vcc
	v_lshlrev_b32_e32 v1, 2, v1
	s_waitcnt lgkmcnt(0)
	ds_bpermute_b32 v4, v1, v2
	ds_bpermute_b32 v9, v1, v3
	v_mov_b32_e32 v5, v8
	s_lshr_b32 s8, s8, 6
	v_add_u32_e32 v1, 1, v6
	s_waitcnt lgkmcnt(1)
	v_lshl_add_u64 v[12:13], v[2:3], 0, v[4:5]
	s_waitcnt lgkmcnt(0)
	v_lshl_add_u64 v[4:5], v[8:9], 0, v[12:13]
	v_cmp_gt_u32_e32 vcc, s8, v1
	v_or_b32_e32 v8, 8, v10
	s_nop 0
	v_cndmask_b32_e32 v7, v3, v5, vcc
	v_cndmask_b32_e32 v1, v2, v12, vcc
	ds_bpermute_b32 v1, v8, v1
	ds_bpermute_b32 v7, v8, v7
	s_and_saveexec_b64 s[6:7], vcc
	s_cbranch_execz .LBB312_564
; %bb.563:
	v_add_u32_e32 v2, 2, v6
	v_cmp_gt_u32_e32 vcc, s8, v2
	s_waitcnt lgkmcnt(0)
	s_nop 0
	v_cndmask_b32_e32 v3, 0, v7, vcc
	v_cndmask_b32_e32 v2, 0, v1, vcc
	v_lshl_add_u64 v[2:3], v[2:3], 0, v[4:5]
.LBB312_564:
	s_or_b64 exec, exec, s[6:7]
.LBB312_565:
	s_or_b64 exec, exec, s[4:5]
.LBB312_566:
	v_cmp_eq_u32_e64 s[4:5], 0, v0
	v_mov_b64_e32 v[4:5], s[2:3]
.LBB312_567:
	s_branch .LBB312_683
.LBB312_568:
	s_cmp_gt_i32 s33, 3
	s_cbranch_scc0 .LBB312_577
; %bb.569:
	s_cmp_gt_i32 s33, 7
	s_cbranch_scc0 .LBB312_578
; %bb.570:
	s_cmp_eq_u32 s33, 8
                                        ; implicit-def: $vgpr2_vgpr3
                                        ; implicit-def: $vgpr4_vgpr5
	s_cbranch_scc0 .LBB312_579
; %bb.571:
	s_mov_b32 s3, 0
	s_lshl_b32 s4, s2, 11
	s_mov_b32 s5, s3
	s_lshr_b64 s[6:7], s[36:37], 11
	s_lshl_b64 s[8:9], s[4:5], 3
	s_add_u32 s16, s40, s8
	s_addc_u32 s17, s41, s9
	s_cmp_lg_u64 s[6:7], s[2:3]
	s_cbranch_scc0 .LBB312_580
; %bb.572:
	v_lshlrev_b32_e32 v2, 3, v0
	v_mov_b32_e32 v3, 0
	v_lshl_add_u64 v[4:5], s[16:17], 0, v[2:3]
	s_waitcnt lgkmcnt(0)
	global_load_dwordx2 v[6:7], v2, s[16:17]
	global_load_dwordx2 v[8:9], v2, s[16:17] offset:2048
	v_add_co_u32_e32 v10, vcc, 0x1000, v4
	v_mov_b32_e32 v23, s3
	s_nop 0
	v_addc_co_u32_e32 v11, vcc, 0, v5, vcc
	global_load_dwordx2 v[12:13], v[10:11], off offset:2048
	v_add_co_u32_e32 v14, vcc, 0x2000, v4
	v_mov_b32_e32 v25, s3
	s_nop 0
	v_addc_co_u32_e32 v15, vcc, 0, v5, vcc
	global_load_dwordx2 v[16:17], v[10:11], off
	global_load_dwordx2 v[18:19], v[14:15], off
	global_load_dwordx2 v[20:21], v[14:15], off offset:2048
	v_add_co_u32_e32 v4, vcc, 0x3000, v4
	v_mov_b32_e32 v27, s3
	s_nop 0
	v_addc_co_u32_e32 v5, vcc, 0, v5, vcc
	global_load_dwordx2 v[10:11], v[4:5], off
	global_load_dwordx2 v[14:15], v[4:5], off offset:2048
	v_mov_b32_e32 v29, s3
	v_mov_b32_e32 v31, s3
	v_mov_b32_dpp v33, v3 quad_perm:[1,0,3,2] row_mask:0xf bank_mask:0xf bound_ctrl:1
	v_mov_b32_e32 v32, v3
	v_mov_b32_e32 v34, v3
	;; [unrolled: 1-line block ×4, first 2 shown]
	v_mbcnt_lo_u32_b32 v1, -1, 0
	v_mov_b32_e32 v40, v3
	v_mbcnt_hi_u32_b32 v1, -1, v1
	v_lshlrev_b32_e32 v4, 2, v1
	v_or_b32_e32 v5, 0xfc, v4
	s_waitcnt vmcnt(6)
	v_cmp_neq_f64_e32 vcc, 0, v[8:9]
	s_nop 1
	v_cndmask_b32_e64 v2, 0, 1, vcc
	v_cmp_neq_f64_e32 vcc, 0, v[6:7]
	s_nop 1
	v_cndmask_b32_e64 v6, 0, 1, vcc
	s_waitcnt vmcnt(5)
	v_cmp_neq_f64_e32 vcc, 0, v[12:13]
	s_nop 1
	v_cndmask_b32_e64 v22, 0, 1, vcc
	s_waitcnt vmcnt(4)
	v_cmp_neq_f64_e32 vcc, 0, v[16:17]
	s_nop 1
	v_addc_co_u32_e32 v2, vcc, v2, v6, vcc
	s_waitcnt vmcnt(3)
	v_cmp_neq_f64_e32 vcc, 0, v[18:19]
	v_lshl_add_u64 v[6:7], v[2:3], 0, v[22:23]
	s_nop 0
	v_cndmask_b32_e64 v24, 0, 1, vcc
	s_waitcnt vmcnt(2)
	v_cmp_neq_f64_e32 vcc, 0, v[20:21]
	v_lshl_add_u64 v[6:7], v[6:7], 0, v[24:25]
	s_nop 0
	v_cndmask_b32_e64 v26, 0, 1, vcc
	;; [unrolled: 5-line block ×4, first 2 shown]
	v_lshl_add_u64 v[6:7], v[6:7], 0, v[30:31]
	v_cmp_eq_u32_e32 vcc, 0, v1
	s_nop 0
	v_mov_b32_dpp v2, v6 quad_perm:[1,0,3,2] row_mask:0xf bank_mask:0xf bound_ctrl:1
	v_lshl_add_u64 v[6:7], v[6:7], 0, v[2:3]
	v_lshl_add_u64 v[8:9], v[32:33], 0, v[6:7]
	s_nop 0
	v_mov_b32_dpp v2, v6 quad_perm:[2,3,0,1] row_mask:0xf bank_mask:0xf bound_ctrl:1
	v_mov_b32_dpp v35, v9 quad_perm:[2,3,0,1] row_mask:0xf bank_mask:0xf bound_ctrl:1
	v_lshl_add_u64 v[6:7], v[8:9], 0, v[2:3]
	v_lshl_add_u64 v[8:9], v[6:7], 0, v[34:35]
	s_nop 0
	v_mov_b32_dpp v2, v6 row_ror:4 row_mask:0xf bank_mask:0xf bound_ctrl:1
	v_mov_b32_dpp v37, v9 row_ror:4 row_mask:0xf bank_mask:0xf bound_ctrl:1
	v_lshl_add_u64 v[6:7], v[8:9], 0, v[2:3]
	v_lshl_add_u64 v[8:9], v[6:7], 0, v[36:37]
	s_nop 0
	v_mov_b32_dpp v2, v6 row_ror:8 row_mask:0xf bank_mask:0xf bound_ctrl:1
	v_mov_b32_dpp v39, v9 row_ror:8 row_mask:0xf bank_mask:0xf bound_ctrl:1
	v_lshl_add_u64 v[6:7], v[8:9], 0, v[2:3]
	v_lshl_add_u64 v[8:9], v[6:7], 0, v[38:39]
	s_nop 0
	v_mov_b32_dpp v2, v6 row_bcast:15 row_mask:0xf bank_mask:0xf bound_ctrl:1
	v_mov_b32_dpp v41, v9 row_bcast:15 row_mask:0xf bank_mask:0xf bound_ctrl:1
	v_lshl_add_u64 v[6:7], v[8:9], 0, v[2:3]
	v_lshl_add_u64 v[8:9], v[6:7], 0, v[40:41]
	s_nop 0
	v_mov_b32_dpp v2, v6 row_bcast:31 row_mask:0xf bank_mask:0xf bound_ctrl:1
	v_lshl_add_u64 v[2:3], v[8:9], 0, v[2:3]
	ds_bpermute_b32 v2, v5, v2
	s_nop 0
	v_add_u32_dpp v3, v9, v3 row_bcast:31 row_mask:0xf bank_mask:0xf bound_ctrl:1
	ds_bpermute_b32 v3, v5, v3
	s_and_saveexec_b64 s[6:7], vcc
	s_cbranch_execz .LBB312_574
; %bb.573:
	v_lshrrev_b32_e32 v5, 3, v0
	v_and_b32_e32 v5, 24, v5
	s_waitcnt lgkmcnt(0)
	ds_write_b64 v5, v[2:3] offset:224
.LBB312_574:
	s_or_b64 exec, exec, s[6:7]
	v_cmp_gt_u32_e32 vcc, 64, v0
	s_waitcnt lgkmcnt(0)
	s_barrier
	s_and_saveexec_b64 s[6:7], vcc
	s_cbranch_execz .LBB312_576
; %bb.575:
	v_and_b32_e32 v5, 3, v1
	v_lshlrev_b32_e32 v2, 3, v5
	ds_read_b64 v[2:3], v2 offset:224
	v_cmp_ne_u32_e32 vcc, 3, v5
	v_mov_b32_e32 v8, 0
	v_mov_b32_e32 v7, v8
	v_addc_co_u32_e32 v1, vcc, 0, v1, vcc
	v_lshlrev_b32_e32 v1, 2, v1
	s_waitcnt lgkmcnt(0)
	ds_bpermute_b32 v6, v1, v2
	ds_bpermute_b32 v9, v1, v3
	v_or_b32_e32 v1, 8, v4
	s_waitcnt lgkmcnt(1)
	v_lshl_add_u64 v[2:3], v[2:3], 0, v[6:7]
	s_waitcnt lgkmcnt(0)
	v_lshl_add_u64 v[4:5], v[8:9], 0, v[2:3]
	ds_bpermute_b32 v2, v1, v2
	ds_bpermute_b32 v9, v1, v5
	v_mov_b32_e32 v3, v8
	s_waitcnt lgkmcnt(1)
	v_lshl_add_u64 v[2:3], v[4:5], 0, v[2:3]
	s_waitcnt lgkmcnt(0)
	v_lshl_add_u64 v[2:3], v[2:3], 0, v[8:9]
.LBB312_576:
	s_or_b64 exec, exec, s[6:7]
	s_mov_b64 s[6:7], 0
	s_branch .LBB312_581
.LBB312_577:
                                        ; implicit-def: $vgpr2_vgpr3
                                        ; implicit-def: $vgpr4_vgpr5
	s_cbranch_execnz .LBB312_636
	s_branch .LBB312_683
.LBB312_578:
                                        ; implicit-def: $vgpr2_vgpr3
                                        ; implicit-def: $vgpr4_vgpr5
	s_cbranch_execnz .LBB312_608
	s_branch .LBB312_635
.LBB312_579:
	s_branch .LBB312_635
.LBB312_580:
	s_mov_b64 s[6:7], -1
                                        ; implicit-def: $vgpr2_vgpr3
.LBB312_581:
	s_and_b64 vcc, exec, s[6:7]
	s_cbranch_vccz .LBB312_607
; %bb.582:
	s_sub_i32 s20, s36, s4
	v_mov_b32_e32 v2, 0
	v_cmp_gt_u32_e32 vcc, s20, v0
	v_mov_b32_e32 v3, v2
	v_mov_b32_e32 v4, v2
	;; [unrolled: 1-line block ×4, first 2 shown]
	s_waitcnt lgkmcnt(0)
	v_mov_b32_e32 v7, v2
	v_mov_b32_e32 v8, v2
	;; [unrolled: 1-line block ×11, first 2 shown]
	s_and_saveexec_b64 s[4:5], vcc
	s_cbranch_execz .LBB312_584
; %bb.583:
	v_lshlrev_b32_e32 v1, 3, v0
	global_load_dwordx2 v[20:21], v1, s[16:17]
	v_mov_b32_e32 v5, v2
	v_mov_b32_e32 v6, v2
	;; [unrolled: 1-line block ×15, first 2 shown]
	s_waitcnt vmcnt(0)
	v_cmp_neq_f64_e32 vcc, 0, v[20:21]
	s_nop 1
	v_cndmask_b32_e64 v1, 0, 1, vcc
	v_and_b32_e32 v4, 0xffff, v1
	v_mov_b64_e32 v[2:3], v[4:5]
	v_mov_b64_e32 v[4:5], v[6:7]
	;; [unrolled: 1-line block ×8, first 2 shown]
.LBB312_584:
	s_or_b64 exec, exec, s[4:5]
	v_or_b32_e32 v1, 0x100, v0
	v_cmp_gt_u32_e32 vcc, s20, v1
	s_and_saveexec_b64 s[6:7], vcc
	s_cbranch_execz .LBB312_586
; %bb.585:
	v_lshlrev_b32_e32 v1, 3, v0
	global_load_dwordx2 v[4:5], v1, s[16:17] offset:2048
	s_mov_b32 s8, 0
	s_waitcnt vmcnt(0)
	v_cmp_neq_f64_e64 s[4:5], 0, v[4:5]
	s_nop 1
	v_cndmask_b32_e64 v4, 0, 1, s[4:5]
	v_mov_b32_e32 v5, s8
.LBB312_586:
	s_or_b64 exec, exec, s[6:7]
	v_or_b32_e32 v1, 0x200, v0
	v_cmp_gt_u32_e64 s[4:5], s20, v1
	s_and_saveexec_b64 s[8:9], s[4:5]
	s_cbranch_execz .LBB312_588
; %bb.587:
	v_lshlrev_b32_e32 v1, 3, v1
	global_load_dwordx2 v[6:7], v1, s[16:17]
	s_mov_b32 s10, 0
	s_waitcnt vmcnt(0)
	v_cmp_neq_f64_e64 s[6:7], 0, v[6:7]
	s_nop 1
	v_cndmask_b32_e64 v6, 0, 1, s[6:7]
	v_mov_b32_e32 v7, s10
.LBB312_588:
	s_or_b64 exec, exec, s[8:9]
	v_or_b32_e32 v1, 0x300, v0
	v_cmp_gt_u32_e64 s[6:7], s20, v1
	s_and_saveexec_b64 s[10:11], s[6:7]
	s_cbranch_execz .LBB312_590
; %bb.589:
	v_lshlrev_b32_e32 v1, 3, v1
	global_load_dwordx2 v[8:9], v1, s[16:17]
	s_mov_b32 s12, 0
	s_waitcnt vmcnt(0)
	v_cmp_neq_f64_e64 s[8:9], 0, v[8:9]
	s_nop 1
	v_cndmask_b32_e64 v8, 0, 1, s[8:9]
	v_mov_b32_e32 v9, s12
.LBB312_590:
	;; [unrolled: 15-line block ×6, first 2 shown]
	s_or_b64 exec, exec, s[18:19]
	v_cndmask_b32_e32 v5, 0, v5, vcc
	v_cndmask_b32_e32 v4, 0, v4, vcc
	v_lshl_add_u64 v[2:3], v[4:5], 0, v[2:3]
	v_cndmask_b32_e64 v5, 0, v7, s[4:5]
	v_cndmask_b32_e64 v4, 0, v6, s[4:5]
	v_lshl_add_u64 v[2:3], v[2:3], 0, v[4:5]
	v_cndmask_b32_e64 v5, 0, v9, s[6:7]
	v_cndmask_b32_e64 v4, 0, v8, s[6:7]
	v_lshl_add_u64 v[2:3], v[2:3], 0, v[4:5]
	v_cndmask_b32_e64 v5, 0, v11, s[8:9]
	v_cndmask_b32_e64 v4, 0, v10, s[8:9]
	v_lshl_add_u64 v[2:3], v[2:3], 0, v[4:5]
	v_cndmask_b32_e64 v5, 0, v13, s[10:11]
	v_cndmask_b32_e64 v4, 0, v12, s[10:11]
	v_mbcnt_lo_u32_b32 v1, -1, 0
	v_lshl_add_u64 v[2:3], v[2:3], 0, v[4:5]
	v_cndmask_b32_e64 v5, 0, v15, s[12:13]
	v_cndmask_b32_e64 v4, 0, v14, s[12:13]
	v_mbcnt_hi_u32_b32 v1, -1, v1
	v_lshl_add_u64 v[2:3], v[2:3], 0, v[4:5]
	v_cndmask_b32_e64 v5, 0, v17, s[14:15]
	v_cndmask_b32_e64 v4, 0, v16, s[14:15]
	v_and_b32_e32 v9, 63, v1
	v_lshl_add_u64 v[2:3], v[2:3], 0, v[4:5]
	s_min_u32 s8, s20, 0x100
	v_and_b32_e32 v4, 0xc0, v0
	v_cmp_ne_u32_e32 vcc, 63, v9
	v_sub_u32_e64 v8, s8, v4 clamp
	v_mov_b32_e32 v6, 0
	v_addc_co_u32_e32 v4, vcc, 0, v1, vcc
	v_lshlrev_b32_e32 v5, 2, v4
	ds_bpermute_b32 v4, v5, v2
	ds_bpermute_b32 v7, v5, v3
	v_add_u32_e32 v10, 1, v9
	v_mov_b32_e32 v5, v6
	v_cmp_lt_u32_e64 s[4:5], v10, v8
	s_waitcnt lgkmcnt(1)
	v_lshl_add_u64 v[4:5], v[2:3], 0, v[4:5]
	v_cmp_gt_u32_e32 vcc, 62, v9
	s_waitcnt lgkmcnt(0)
	v_lshl_add_u64 v[6:7], v[4:5], 0, v[6:7]
	v_cndmask_b32_e64 v12, v2, v4, s[4:5]
	v_cndmask_b32_e64 v4, 0, 2, vcc
	v_cndmask_b32_e64 v5, v3, v7, s[4:5]
	v_add_lshl_u32 v4, v4, v1, 2
	ds_bpermute_b32 v10, v4, v12
	ds_bpermute_b32 v11, v4, v5
	v_cndmask_b32_e64 v4, v2, v6, s[4:5]
	v_add_u32_e32 v13, 2, v9
	v_cmp_lt_u32_e32 vcc, v13, v8
	v_cmp_gt_u32_e64 s[6:7], 60, v9
	s_waitcnt lgkmcnt(0)
	v_lshl_add_u64 v[6:7], v[10:11], 0, v[4:5]
	v_cndmask_b32_e32 v5, v5, v7, vcc
	v_cndmask_b32_e64 v7, 0, 4, s[6:7]
	v_cndmask_b32_e32 v12, v12, v6, vcc
	v_add_lshl_u32 v7, v7, v1, 2
	ds_bpermute_b32 v10, v7, v12
	ds_bpermute_b32 v11, v7, v5
	v_cndmask_b32_e32 v4, v4, v6, vcc
	v_add_u32_e32 v13, 4, v9
	v_cmp_lt_u32_e32 vcc, v13, v8
	v_cmp_gt_u32_e64 s[6:7], 56, v9
	s_waitcnt lgkmcnt(0)
	v_lshl_add_u64 v[6:7], v[10:11], 0, v[4:5]
	v_cndmask_b32_e32 v5, v5, v7, vcc
	v_cndmask_b32_e64 v7, 0, 8, s[6:7]
	v_cndmask_b32_e32 v12, v12, v6, vcc
	v_add_lshl_u32 v7, v7, v1, 2
	ds_bpermute_b32 v10, v7, v12
	ds_bpermute_b32 v11, v7, v5
	v_cndmask_b32_e32 v4, v4, v6, vcc
	;; [unrolled: 12-line block ×3, first 2 shown]
	v_add_u32_e32 v13, 16, v9
	v_cmp_lt_u32_e32 vcc, v13, v8
	s_waitcnt lgkmcnt(0)
	v_lshl_add_u64 v[6:7], v[10:11], 0, v[4:5]
	v_lshlrev_b32_e32 v10, 2, v1
	v_cndmask_b32_e32 v13, v5, v7, vcc
	v_cndmask_b32_e32 v11, v12, v6, vcc
	v_or_b32_e32 v12, 0x80, v10
	ds_bpermute_b32 v11, v12, v11
	ds_bpermute_b32 v12, v12, v13
	s_and_saveexec_b64 s[6:7], s[4:5]
	s_cbranch_execz .LBB312_600
; %bb.599:
	v_add_u32_e32 v9, 32, v9
	v_cndmask_b32_e32 v3, v5, v7, vcc
	v_cndmask_b32_e32 v2, v4, v6, vcc
	v_cmp_lt_u32_e32 vcc, v9, v8
	s_waitcnt lgkmcnt(0)
	s_nop 0
	v_cndmask_b32_e32 v5, 0, v12, vcc
	v_cndmask_b32_e32 v4, 0, v11, vcc
	v_lshl_add_u64 v[2:3], v[2:3], 0, v[4:5]
.LBB312_600:
	s_or_b64 exec, exec, s[6:7]
	v_cmp_eq_u32_e32 vcc, 0, v1
	s_and_saveexec_b64 s[4:5], vcc
; %bb.601:
	v_lshrrev_b32_e32 v4, 3, v0
	v_and_b32_e32 v4, 24, v4
	ds_write_b64 v4, v[2:3] offset:256
; %bb.602:
	s_or_b64 exec, exec, s[4:5]
	v_cmp_gt_u32_e32 vcc, 4, v0
	s_waitcnt lgkmcnt(0)
	s_barrier
	s_and_saveexec_b64 s[4:5], vcc
	s_cbranch_execz .LBB312_606
; %bb.603:
	v_lshlrev_b32_e32 v2, 3, v1
	ds_read_b64 v[2:3], v2 offset:256
	v_and_b32_e32 v6, 3, v1
	v_cmp_ne_u32_e32 vcc, 3, v6
	v_mov_b32_e32 v8, 0
	s_add_i32 s8, s8, 63
	v_addc_co_u32_e32 v1, vcc, 0, v1, vcc
	v_lshlrev_b32_e32 v1, 2, v1
	s_waitcnt lgkmcnt(0)
	ds_bpermute_b32 v4, v1, v2
	ds_bpermute_b32 v9, v1, v3
	v_mov_b32_e32 v5, v8
	s_lshr_b32 s8, s8, 6
	v_add_u32_e32 v1, 1, v6
	s_waitcnt lgkmcnt(1)
	v_lshl_add_u64 v[12:13], v[2:3], 0, v[4:5]
	s_waitcnt lgkmcnt(0)
	v_lshl_add_u64 v[4:5], v[8:9], 0, v[12:13]
	v_cmp_gt_u32_e32 vcc, s8, v1
	v_or_b32_e32 v8, 8, v10
	s_nop 0
	v_cndmask_b32_e32 v7, v3, v5, vcc
	v_cndmask_b32_e32 v1, v2, v12, vcc
	ds_bpermute_b32 v1, v8, v1
	ds_bpermute_b32 v7, v8, v7
	s_and_saveexec_b64 s[6:7], vcc
	s_cbranch_execz .LBB312_605
; %bb.604:
	v_add_u32_e32 v2, 2, v6
	v_cmp_gt_u32_e32 vcc, s8, v2
	s_waitcnt lgkmcnt(0)
	s_nop 0
	v_cndmask_b32_e32 v3, 0, v7, vcc
	v_cndmask_b32_e32 v2, 0, v1, vcc
	v_lshl_add_u64 v[2:3], v[2:3], 0, v[4:5]
.LBB312_605:
	s_or_b64 exec, exec, s[6:7]
.LBB312_606:
	s_or_b64 exec, exec, s[4:5]
.LBB312_607:
	v_cmp_eq_u32_e64 s[4:5], 0, v0
	v_mov_b64_e32 v[4:5], s[2:3]
	s_branch .LBB312_635
.LBB312_608:
	s_cmp_eq_u32 s33, 4
                                        ; implicit-def: $vgpr2_vgpr3
                                        ; implicit-def: $vgpr4_vgpr5
	s_cbranch_scc0 .LBB312_635
; %bb.609:
	s_mov_b32 s3, 0
	s_lshl_b32 s4, s2, 10
	s_mov_b32 s5, s3
	s_lshr_b64 s[6:7], s[36:37], 10
	s_lshl_b64 s[8:9], s[4:5], 3
	s_add_u32 s8, s40, s8
	s_addc_u32 s9, s41, s9
	s_cmp_lg_u64 s[6:7], s[2:3]
	s_cbranch_scc0 .LBB312_615
; %bb.610:
	v_lshlrev_b32_e32 v2, 3, v0
	v_mov_b32_e32 v3, 0
	v_lshl_add_u64 v[4:5], s[8:9], 0, v[2:3]
	s_waitcnt lgkmcnt(0)
	global_load_dwordx2 v[6:7], v2, s[8:9]
	global_load_dwordx2 v[8:9], v2, s[8:9] offset:2048
	v_add_co_u32_e32 v4, vcc, 0x1000, v4
	v_mov_b32_e32 v15, s3
	s_nop 0
	v_addc_co_u32_e32 v5, vcc, 0, v5, vcc
	global_load_dwordx2 v[10:11], v[4:5], off offset:2048
	global_load_dwordx2 v[12:13], v[4:5], off
	v_mov_b32_dpp v17, v3 quad_perm:[1,0,3,2] row_mask:0xf bank_mask:0xf bound_ctrl:1
	v_mov_b32_e32 v16, v3
	v_mov_b32_e32 v18, v3
	;; [unrolled: 1-line block ×4, first 2 shown]
	v_mbcnt_lo_u32_b32 v1, -1, 0
	v_mov_b32_e32 v24, v3
	v_mbcnt_hi_u32_b32 v1, -1, v1
	v_lshlrev_b32_e32 v4, 2, v1
	v_or_b32_e32 v5, 0xfc, v4
	s_waitcnt vmcnt(2)
	v_cmp_neq_f64_e32 vcc, 0, v[8:9]
	s_nop 1
	v_cndmask_b32_e64 v2, 0, 1, vcc
	v_cmp_neq_f64_e32 vcc, 0, v[6:7]
	s_nop 1
	v_cndmask_b32_e64 v6, 0, 1, vcc
	s_waitcnt vmcnt(1)
	v_cmp_neq_f64_e32 vcc, 0, v[10:11]
	s_nop 1
	v_cndmask_b32_e64 v14, 0, 1, vcc
	s_waitcnt vmcnt(0)
	v_cmp_neq_f64_e32 vcc, 0, v[12:13]
	s_nop 1
	v_addc_co_u32_e32 v2, vcc, v2, v6, vcc
	v_lshl_add_u64 v[6:7], v[2:3], 0, v[14:15]
	v_cmp_eq_u32_e32 vcc, 0, v1
	s_nop 0
	v_mov_b32_dpp v2, v6 quad_perm:[1,0,3,2] row_mask:0xf bank_mask:0xf bound_ctrl:1
	v_lshl_add_u64 v[6:7], v[6:7], 0, v[2:3]
	v_lshl_add_u64 v[8:9], v[16:17], 0, v[6:7]
	s_nop 0
	v_mov_b32_dpp v2, v6 quad_perm:[2,3,0,1] row_mask:0xf bank_mask:0xf bound_ctrl:1
	v_mov_b32_dpp v19, v9 quad_perm:[2,3,0,1] row_mask:0xf bank_mask:0xf bound_ctrl:1
	v_lshl_add_u64 v[6:7], v[8:9], 0, v[2:3]
	v_lshl_add_u64 v[8:9], v[6:7], 0, v[18:19]
	s_nop 0
	v_mov_b32_dpp v2, v6 row_ror:4 row_mask:0xf bank_mask:0xf bound_ctrl:1
	v_mov_b32_dpp v21, v9 row_ror:4 row_mask:0xf bank_mask:0xf bound_ctrl:1
	v_lshl_add_u64 v[6:7], v[8:9], 0, v[2:3]
	v_lshl_add_u64 v[8:9], v[6:7], 0, v[20:21]
	s_nop 0
	v_mov_b32_dpp v2, v6 row_ror:8 row_mask:0xf bank_mask:0xf bound_ctrl:1
	v_mov_b32_dpp v23, v9 row_ror:8 row_mask:0xf bank_mask:0xf bound_ctrl:1
	v_lshl_add_u64 v[6:7], v[8:9], 0, v[2:3]
	v_lshl_add_u64 v[8:9], v[6:7], 0, v[22:23]
	s_nop 0
	v_mov_b32_dpp v2, v6 row_bcast:15 row_mask:0xf bank_mask:0xf bound_ctrl:1
	v_mov_b32_dpp v25, v9 row_bcast:15 row_mask:0xf bank_mask:0xf bound_ctrl:1
	v_lshl_add_u64 v[6:7], v[8:9], 0, v[2:3]
	v_lshl_add_u64 v[8:9], v[6:7], 0, v[24:25]
	s_nop 0
	v_mov_b32_dpp v2, v6 row_bcast:31 row_mask:0xf bank_mask:0xf bound_ctrl:1
	v_lshl_add_u64 v[2:3], v[8:9], 0, v[2:3]
	ds_bpermute_b32 v2, v5, v2
	s_nop 0
	v_add_u32_dpp v3, v9, v3 row_bcast:31 row_mask:0xf bank_mask:0xf bound_ctrl:1
	ds_bpermute_b32 v3, v5, v3
	s_and_saveexec_b64 s[6:7], vcc
	s_cbranch_execz .LBB312_612
; %bb.611:
	v_lshrrev_b32_e32 v5, 3, v0
	v_and_b32_e32 v5, 24, v5
	s_waitcnt lgkmcnt(0)
	ds_write_b64 v5, v[2:3] offset:160
.LBB312_612:
	s_or_b64 exec, exec, s[6:7]
	v_cmp_gt_u32_e32 vcc, 64, v0
	s_waitcnt lgkmcnt(0)
	s_barrier
	s_and_saveexec_b64 s[6:7], vcc
	s_cbranch_execz .LBB312_614
; %bb.613:
	v_and_b32_e32 v5, 3, v1
	v_lshlrev_b32_e32 v2, 3, v5
	ds_read_b64 v[2:3], v2 offset:160
	v_cmp_ne_u32_e32 vcc, 3, v5
	v_mov_b32_e32 v8, 0
	v_mov_b32_e32 v7, v8
	v_addc_co_u32_e32 v1, vcc, 0, v1, vcc
	v_lshlrev_b32_e32 v1, 2, v1
	s_waitcnt lgkmcnt(0)
	ds_bpermute_b32 v6, v1, v2
	ds_bpermute_b32 v9, v1, v3
	v_or_b32_e32 v1, 8, v4
	s_waitcnt lgkmcnt(1)
	v_lshl_add_u64 v[2:3], v[2:3], 0, v[6:7]
	s_waitcnt lgkmcnt(0)
	v_lshl_add_u64 v[4:5], v[8:9], 0, v[2:3]
	ds_bpermute_b32 v2, v1, v2
	ds_bpermute_b32 v9, v1, v5
	v_mov_b32_e32 v3, v8
	s_waitcnt lgkmcnt(1)
	v_lshl_add_u64 v[2:3], v[4:5], 0, v[2:3]
	s_waitcnt lgkmcnt(0)
	v_lshl_add_u64 v[2:3], v[2:3], 0, v[8:9]
.LBB312_614:
	s_or_b64 exec, exec, s[6:7]
	s_mov_b64 s[6:7], 0
	s_branch .LBB312_616
.LBB312_615:
	s_mov_b64 s[6:7], -1
                                        ; implicit-def: $vgpr2_vgpr3
.LBB312_616:
	s_and_b64 vcc, exec, s[6:7]
	s_cbranch_vccz .LBB312_634
; %bb.617:
	s_sub_i32 s12, s36, s4
	v_mov_b32_e32 v2, 0
	v_cmp_gt_u32_e32 vcc, s12, v0
	v_mov_b32_e32 v3, v2
	v_mov_b32_e32 v4, v2
	;; [unrolled: 1-line block ×4, first 2 shown]
	s_waitcnt lgkmcnt(0)
	v_mov_b32_e32 v7, v2
	v_mov_b32_e32 v8, v2
	;; [unrolled: 1-line block ×3, first 2 shown]
	s_and_saveexec_b64 s[4:5], vcc
	s_cbranch_execz .LBB312_619
; %bb.618:
	v_lshlrev_b32_e32 v1, 3, v0
	global_load_dwordx2 v[12:13], v1, s[8:9]
	v_mov_b32_e32 v5, v2
	v_mov_b32_e32 v6, v2
	;; [unrolled: 1-line block ×7, first 2 shown]
	s_waitcnt vmcnt(0)
	v_cmp_neq_f64_e32 vcc, 0, v[12:13]
	s_nop 1
	v_cndmask_b32_e64 v1, 0, 1, vcc
	v_and_b32_e32 v4, 0xffff, v1
	v_mov_b64_e32 v[2:3], v[4:5]
	v_mov_b64_e32 v[4:5], v[6:7]
	;; [unrolled: 1-line block ×4, first 2 shown]
.LBB312_619:
	s_or_b64 exec, exec, s[4:5]
	v_or_b32_e32 v1, 0x100, v0
	v_cmp_gt_u32_e32 vcc, s12, v1
	s_and_saveexec_b64 s[6:7], vcc
	s_cbranch_execz .LBB312_621
; %bb.620:
	v_lshlrev_b32_e32 v1, 3, v0
	global_load_dwordx2 v[4:5], v1, s[8:9] offset:2048
	s_mov_b32 s10, 0
	s_waitcnt vmcnt(0)
	v_cmp_neq_f64_e64 s[4:5], 0, v[4:5]
	s_nop 1
	v_cndmask_b32_e64 v4, 0, 1, s[4:5]
	v_mov_b32_e32 v5, s10
.LBB312_621:
	s_or_b64 exec, exec, s[6:7]
	v_or_b32_e32 v1, 0x200, v0
	v_cmp_gt_u32_e64 s[4:5], s12, v1
	s_and_saveexec_b64 s[10:11], s[4:5]
	s_cbranch_execz .LBB312_623
; %bb.622:
	v_lshlrev_b32_e32 v1, 3, v1
	global_load_dwordx2 v[6:7], v1, s[8:9]
	s_mov_b32 s13, 0
	s_waitcnt vmcnt(0)
	v_cmp_neq_f64_e64 s[6:7], 0, v[6:7]
	s_nop 1
	v_cndmask_b32_e64 v6, 0, 1, s[6:7]
	v_mov_b32_e32 v7, s13
.LBB312_623:
	s_or_b64 exec, exec, s[10:11]
	v_or_b32_e32 v1, 0x300, v0
	v_cmp_gt_u32_e64 s[6:7], s12, v1
	s_and_saveexec_b64 s[10:11], s[6:7]
	s_cbranch_execz .LBB312_625
; %bb.624:
	v_lshlrev_b32_e32 v1, 3, v1
	global_load_dwordx2 v[8:9], v1, s[8:9]
	s_mov_b32 s13, 0
	s_waitcnt vmcnt(0)
	v_cmp_neq_f64_e64 s[8:9], 0, v[8:9]
	s_nop 1
	v_cndmask_b32_e64 v8, 0, 1, s[8:9]
	v_mov_b32_e32 v9, s13
.LBB312_625:
	s_or_b64 exec, exec, s[10:11]
	v_cndmask_b32_e32 v5, 0, v5, vcc
	v_cndmask_b32_e32 v4, 0, v4, vcc
	v_mbcnt_lo_u32_b32 v1, -1, 0
	v_lshl_add_u64 v[2:3], v[4:5], 0, v[2:3]
	v_cndmask_b32_e64 v5, 0, v7, s[4:5]
	v_cndmask_b32_e64 v4, 0, v6, s[4:5]
	v_mbcnt_hi_u32_b32 v1, -1, v1
	v_lshl_add_u64 v[2:3], v[2:3], 0, v[4:5]
	v_cndmask_b32_e64 v5, 0, v9, s[6:7]
	v_cndmask_b32_e64 v4, 0, v8, s[6:7]
	v_and_b32_e32 v9, 63, v1
	v_lshl_add_u64 v[2:3], v[2:3], 0, v[4:5]
	s_min_u32 s8, s12, 0x100
	v_and_b32_e32 v4, 0xc0, v0
	v_cmp_ne_u32_e32 vcc, 63, v9
	v_sub_u32_e64 v8, s8, v4 clamp
	v_mov_b32_e32 v6, 0
	v_addc_co_u32_e32 v4, vcc, 0, v1, vcc
	v_lshlrev_b32_e32 v5, 2, v4
	ds_bpermute_b32 v4, v5, v2
	ds_bpermute_b32 v7, v5, v3
	v_add_u32_e32 v10, 1, v9
	v_mov_b32_e32 v5, v6
	v_cmp_lt_u32_e64 s[4:5], v10, v8
	s_waitcnt lgkmcnt(1)
	v_lshl_add_u64 v[4:5], v[2:3], 0, v[4:5]
	v_cmp_gt_u32_e32 vcc, 62, v9
	s_waitcnt lgkmcnt(0)
	v_lshl_add_u64 v[6:7], v[6:7], 0, v[4:5]
	v_cndmask_b32_e64 v12, v2, v4, s[4:5]
	v_cndmask_b32_e64 v4, 0, 2, vcc
	v_cndmask_b32_e64 v5, v3, v7, s[4:5]
	v_add_lshl_u32 v4, v4, v1, 2
	ds_bpermute_b32 v10, v4, v12
	ds_bpermute_b32 v11, v4, v5
	v_cndmask_b32_e64 v4, v2, v6, s[4:5]
	v_add_u32_e32 v13, 2, v9
	v_cmp_lt_u32_e32 vcc, v13, v8
	v_cmp_gt_u32_e64 s[6:7], 60, v9
	s_waitcnt lgkmcnt(0)
	v_lshl_add_u64 v[6:7], v[10:11], 0, v[4:5]
	v_cndmask_b32_e32 v5, v5, v7, vcc
	v_cndmask_b32_e64 v7, 0, 4, s[6:7]
	v_cndmask_b32_e32 v12, v12, v6, vcc
	v_add_lshl_u32 v7, v7, v1, 2
	ds_bpermute_b32 v10, v7, v12
	ds_bpermute_b32 v11, v7, v5
	v_cndmask_b32_e32 v4, v4, v6, vcc
	v_add_u32_e32 v13, 4, v9
	v_cmp_lt_u32_e32 vcc, v13, v8
	v_cmp_gt_u32_e64 s[6:7], 56, v9
	s_waitcnt lgkmcnt(0)
	v_lshl_add_u64 v[6:7], v[10:11], 0, v[4:5]
	v_cndmask_b32_e32 v5, v5, v7, vcc
	v_cndmask_b32_e64 v7, 0, 8, s[6:7]
	v_cndmask_b32_e32 v12, v12, v6, vcc
	v_add_lshl_u32 v7, v7, v1, 2
	ds_bpermute_b32 v10, v7, v12
	ds_bpermute_b32 v11, v7, v5
	v_cndmask_b32_e32 v4, v4, v6, vcc
	;; [unrolled: 12-line block ×3, first 2 shown]
	v_add_u32_e32 v13, 16, v9
	v_cmp_lt_u32_e32 vcc, v13, v8
	s_waitcnt lgkmcnt(0)
	v_lshl_add_u64 v[6:7], v[10:11], 0, v[4:5]
	v_lshlrev_b32_e32 v10, 2, v1
	v_cndmask_b32_e32 v13, v5, v7, vcc
	v_cndmask_b32_e32 v11, v12, v6, vcc
	v_or_b32_e32 v12, 0x80, v10
	ds_bpermute_b32 v11, v12, v11
	ds_bpermute_b32 v12, v12, v13
	s_and_saveexec_b64 s[6:7], s[4:5]
	s_cbranch_execz .LBB312_627
; %bb.626:
	v_add_u32_e32 v9, 32, v9
	v_cndmask_b32_e32 v3, v5, v7, vcc
	v_cndmask_b32_e32 v2, v4, v6, vcc
	v_cmp_lt_u32_e32 vcc, v9, v8
	s_waitcnt lgkmcnt(0)
	s_nop 0
	v_cndmask_b32_e32 v5, 0, v12, vcc
	v_cndmask_b32_e32 v4, 0, v11, vcc
	v_lshl_add_u64 v[2:3], v[4:5], 0, v[2:3]
.LBB312_627:
	s_or_b64 exec, exec, s[6:7]
	v_cmp_eq_u32_e32 vcc, 0, v1
	s_and_saveexec_b64 s[4:5], vcc
; %bb.628:
	v_lshrrev_b32_e32 v4, 3, v0
	v_and_b32_e32 v4, 24, v4
	ds_write_b64 v4, v[2:3] offset:256
; %bb.629:
	s_or_b64 exec, exec, s[4:5]
	v_cmp_gt_u32_e32 vcc, 4, v0
	s_waitcnt lgkmcnt(0)
	s_barrier
	s_and_saveexec_b64 s[4:5], vcc
	s_cbranch_execz .LBB312_633
; %bb.630:
	v_lshlrev_b32_e32 v2, 3, v1
	ds_read_b64 v[2:3], v2 offset:256
	v_and_b32_e32 v6, 3, v1
	v_cmp_ne_u32_e32 vcc, 3, v6
	v_mov_b32_e32 v8, 0
	s_add_i32 s8, s8, 63
	v_addc_co_u32_e32 v1, vcc, 0, v1, vcc
	v_lshlrev_b32_e32 v1, 2, v1
	s_waitcnt lgkmcnt(0)
	ds_bpermute_b32 v4, v1, v2
	ds_bpermute_b32 v9, v1, v3
	v_mov_b32_e32 v5, v8
	s_lshr_b32 s8, s8, 6
	v_add_u32_e32 v1, 1, v6
	s_waitcnt lgkmcnt(1)
	v_lshl_add_u64 v[12:13], v[2:3], 0, v[4:5]
	s_waitcnt lgkmcnt(0)
	v_lshl_add_u64 v[4:5], v[8:9], 0, v[12:13]
	v_cmp_gt_u32_e32 vcc, s8, v1
	v_or_b32_e32 v8, 8, v10
	s_nop 0
	v_cndmask_b32_e32 v7, v3, v5, vcc
	v_cndmask_b32_e32 v1, v2, v12, vcc
	ds_bpermute_b32 v1, v8, v1
	ds_bpermute_b32 v7, v8, v7
	s_and_saveexec_b64 s[6:7], vcc
	s_cbranch_execz .LBB312_632
; %bb.631:
	v_add_u32_e32 v2, 2, v6
	v_cmp_gt_u32_e32 vcc, s8, v2
	s_waitcnt lgkmcnt(0)
	s_nop 0
	v_cndmask_b32_e32 v3, 0, v7, vcc
	v_cndmask_b32_e32 v2, 0, v1, vcc
	v_lshl_add_u64 v[2:3], v[2:3], 0, v[4:5]
.LBB312_632:
	s_or_b64 exec, exec, s[6:7]
.LBB312_633:
	s_or_b64 exec, exec, s[4:5]
.LBB312_634:
	v_cmp_eq_u32_e64 s[4:5], 0, v0
	v_mov_b64_e32 v[4:5], s[2:3]
.LBB312_635:
	s_branch .LBB312_683
.LBB312_636:
	s_cmp_gt_i32 s33, 1
	s_cbranch_scc0 .LBB312_644
; %bb.637:
	s_cmp_eq_u32 s33, 2
                                        ; implicit-def: $vgpr2_vgpr3
                                        ; implicit-def: $vgpr4_vgpr5
	s_cbranch_scc0 .LBB312_645
; %bb.638:
	s_mov_b32 s3, 0
	s_lshl_b32 s6, s2, 9
	s_mov_b32 s7, s3
	s_lshr_b64 s[8:9], s[36:37], 9
	s_lshl_b64 s[4:5], s[6:7], 3
	s_add_u32 s4, s40, s4
	s_addc_u32 s5, s41, s5
	s_cmp_lg_u64 s[8:9], s[2:3]
	s_cbranch_scc0 .LBB312_646
; %bb.639:
	s_waitcnt lgkmcnt(1)
	v_lshlrev_b32_e32 v1, 3, v0
	global_load_dwordx2 v[2:3], v1, s[4:5]
	s_waitcnt lgkmcnt(0)
	global_load_dwordx2 v[6:7], v1, s[4:5] offset:2048
	v_mov_b32_e32 v9, 0
	v_mov_b32_e32 v13, v9
	;; [unrolled: 1-line block ×3, first 2 shown]
	v_mov_b32_dpp v11, v9 quad_perm:[1,0,3,2] row_mask:0xf bank_mask:0xf bound_ctrl:1
	v_mov_b32_e32 v14, v9
	v_mov_b32_e32 v16, v9
	;; [unrolled: 1-line block ×3, first 2 shown]
	v_mbcnt_lo_u32_b32 v1, -1, 0
	v_mov_b32_e32 v20, v9
	v_mbcnt_hi_u32_b32 v1, -1, v1
	v_lshlrev_b32_e32 v4, 2, v1
	v_or_b32_e32 v5, 0xfc, v4
	s_waitcnt vmcnt(1)
	v_cmp_neq_f64_e32 vcc, 0, v[2:3]
	s_nop 1
	v_cndmask_b32_e64 v2, 0, 1, vcc
	s_waitcnt vmcnt(0)
	v_cmp_neq_f64_e32 vcc, 0, v[6:7]
	s_nop 1
	v_addc_co_u32_e32 v8, vcc, 0, v2, vcc
	v_cmp_eq_u32_e32 vcc, 0, v1
	s_nop 0
	v_mov_b32_dpp v12, v8 quad_perm:[1,0,3,2] row_mask:0xf bank_mask:0xf bound_ctrl:1
	v_lshl_add_u64 v[2:3], v[8:9], 0, v[12:13]
	v_lshl_add_u64 v[6:7], v[10:11], 0, v[2:3]
	s_nop 0
	v_mov_b32_dpp v8, v2 quad_perm:[2,3,0,1] row_mask:0xf bank_mask:0xf bound_ctrl:1
	v_mov_b32_dpp v15, v7 quad_perm:[2,3,0,1] row_mask:0xf bank_mask:0xf bound_ctrl:1
	v_lshl_add_u64 v[2:3], v[6:7], 0, v[8:9]
	v_lshl_add_u64 v[6:7], v[2:3], 0, v[14:15]
	s_nop 0
	v_mov_b32_dpp v8, v2 row_ror:4 row_mask:0xf bank_mask:0xf bound_ctrl:1
	v_mov_b32_dpp v17, v7 row_ror:4 row_mask:0xf bank_mask:0xf bound_ctrl:1
	v_lshl_add_u64 v[2:3], v[6:7], 0, v[8:9]
	v_lshl_add_u64 v[6:7], v[2:3], 0, v[16:17]
	s_nop 0
	v_mov_b32_dpp v8, v2 row_ror:8 row_mask:0xf bank_mask:0xf bound_ctrl:1
	v_mov_b32_dpp v19, v7 row_ror:8 row_mask:0xf bank_mask:0xf bound_ctrl:1
	v_lshl_add_u64 v[2:3], v[6:7], 0, v[8:9]
	v_lshl_add_u64 v[6:7], v[2:3], 0, v[18:19]
	s_nop 0
	v_mov_b32_dpp v8, v2 row_bcast:15 row_mask:0xf bank_mask:0xf bound_ctrl:1
	v_mov_b32_dpp v21, v7 row_bcast:15 row_mask:0xf bank_mask:0xf bound_ctrl:1
	v_lshl_add_u64 v[2:3], v[6:7], 0, v[8:9]
	v_lshl_add_u64 v[6:7], v[2:3], 0, v[20:21]
	s_nop 0
	v_mov_b32_dpp v8, v2 row_bcast:31 row_mask:0xf bank_mask:0xf bound_ctrl:1
	v_lshl_add_u64 v[2:3], v[6:7], 0, v[8:9]
	ds_bpermute_b32 v2, v5, v2
	s_nop 0
	v_add_u32_dpp v3, v7, v3 row_bcast:31 row_mask:0xf bank_mask:0xf bound_ctrl:1
	ds_bpermute_b32 v3, v5, v3
	s_and_saveexec_b64 s[8:9], vcc
	s_cbranch_execz .LBB312_641
; %bb.640:
	v_lshrrev_b32_e32 v5, 3, v0
	v_and_b32_e32 v5, 24, v5
	s_waitcnt lgkmcnt(0)
	ds_write_b64 v5, v[2:3] offset:96
.LBB312_641:
	s_or_b64 exec, exec, s[8:9]
	v_cmp_gt_u32_e32 vcc, 64, v0
	s_waitcnt lgkmcnt(0)
	s_barrier
	s_and_saveexec_b64 s[8:9], vcc
	s_cbranch_execz .LBB312_643
; %bb.642:
	v_and_b32_e32 v5, 3, v1
	v_lshlrev_b32_e32 v2, 3, v5
	ds_read_b64 v[2:3], v2 offset:96
	v_cmp_ne_u32_e32 vcc, 3, v5
	v_mov_b32_e32 v8, 0
	v_mov_b32_e32 v7, v8
	v_addc_co_u32_e32 v1, vcc, 0, v1, vcc
	v_lshlrev_b32_e32 v1, 2, v1
	s_waitcnt lgkmcnt(0)
	ds_bpermute_b32 v6, v1, v2
	ds_bpermute_b32 v9, v1, v3
	v_or_b32_e32 v1, 8, v4
	s_waitcnt lgkmcnt(1)
	v_lshl_add_u64 v[2:3], v[2:3], 0, v[6:7]
	s_waitcnt lgkmcnt(0)
	v_lshl_add_u64 v[4:5], v[8:9], 0, v[2:3]
	ds_bpermute_b32 v2, v1, v2
	ds_bpermute_b32 v9, v1, v5
	v_mov_b32_e32 v3, v8
	s_waitcnt lgkmcnt(1)
	v_lshl_add_u64 v[2:3], v[4:5], 0, v[2:3]
	s_waitcnt lgkmcnt(0)
	v_lshl_add_u64 v[2:3], v[2:3], 0, v[8:9]
.LBB312_643:
	s_or_b64 exec, exec, s[8:9]
	s_mov_b64 s[8:9], 0
	s_branch .LBB312_647
.LBB312_644:
                                        ; implicit-def: $vgpr2_vgpr3
                                        ; implicit-def: $vgpr4_vgpr5
	s_cbranch_execnz .LBB312_662
	s_branch .LBB312_683
.LBB312_645:
	s_branch .LBB312_683
.LBB312_646:
	s_mov_b64 s[8:9], -1
                                        ; implicit-def: $vgpr2_vgpr3
.LBB312_647:
	s_and_b64 vcc, exec, s[8:9]
	s_cbranch_vccz .LBB312_661
; %bb.648:
	s_sub_i32 s8, s36, s6
	v_mov_b32_e32 v2, 0
	v_cmp_gt_u32_e32 vcc, s8, v0
	v_mov_b32_e32 v3, v2
	v_mov_b32_e32 v4, v2
	;; [unrolled: 1-line block ×3, first 2 shown]
	s_and_saveexec_b64 s[6:7], vcc
	s_cbranch_execz .LBB312_650
; %bb.649:
	s_waitcnt lgkmcnt(1)
	v_lshlrev_b32_e32 v1, 3, v0
	global_load_dwordx2 v[8:9], v1, s[4:5]
	v_mov_b32_e32 v5, v2
	v_mov_b32_e32 v6, v2
	s_waitcnt lgkmcnt(0)
	v_mov_b32_e32 v7, v2
	s_waitcnt vmcnt(0)
	v_cmp_neq_f64_e32 vcc, 0, v[8:9]
	s_nop 1
	v_cndmask_b32_e64 v1, 0, 1, vcc
	v_and_b32_e32 v4, 0xffff, v1
	v_mov_b64_e32 v[2:3], v[4:5]
	v_mov_b64_e32 v[4:5], v[6:7]
.LBB312_650:
	s_or_b64 exec, exec, s[6:7]
	s_waitcnt lgkmcnt(1)
	v_or_b32_e32 v1, 0x100, v0
	v_cmp_gt_u32_e32 vcc, s8, v1
	s_and_saveexec_b64 s[6:7], vcc
	s_cbranch_execz .LBB312_652
; %bb.651:
	v_lshlrev_b32_e32 v1, 3, v0
	global_load_dwordx2 v[4:5], v1, s[4:5] offset:2048
	s_mov_b32 s9, 0
	s_waitcnt vmcnt(0)
	v_cmp_neq_f64_e64 s[4:5], 0, v[4:5]
	s_nop 1
	v_cndmask_b32_e64 v4, 0, 1, s[4:5]
	v_mov_b32_e32 v5, s9
.LBB312_652:
	s_or_b64 exec, exec, s[6:7]
	v_mbcnt_lo_u32_b32 v1, -1, 0
	v_mbcnt_hi_u32_b32 v1, -1, v1
	v_cndmask_b32_e32 v5, 0, v5, vcc
	v_cndmask_b32_e32 v4, 0, v4, vcc
	v_and_b32_e32 v9, 63, v1
	v_lshl_add_u64 v[2:3], v[4:5], 0, v[2:3]
	s_min_u32 s8, s8, 0x100
	v_and_b32_e32 v4, 0xc0, v0
	v_cmp_ne_u32_e32 vcc, 63, v9
	v_sub_u32_e64 v8, s8, v4 clamp
	v_mov_b32_e32 v6, 0
	v_addc_co_u32_e32 v4, vcc, 0, v1, vcc
	v_lshlrev_b32_e32 v5, 2, v4
	ds_bpermute_b32 v4, v5, v2
	s_waitcnt lgkmcnt(1)
	ds_bpermute_b32 v7, v5, v3
	v_add_u32_e32 v10, 1, v9
	v_mov_b32_e32 v5, v6
	v_cmp_lt_u32_e64 s[4:5], v10, v8
	s_waitcnt lgkmcnt(1)
	v_lshl_add_u64 v[4:5], v[2:3], 0, v[4:5]
	v_cmp_gt_u32_e32 vcc, 62, v9
	s_waitcnt lgkmcnt(0)
	v_lshl_add_u64 v[6:7], v[6:7], 0, v[4:5]
	v_cndmask_b32_e64 v12, v2, v4, s[4:5]
	v_cndmask_b32_e64 v4, 0, 2, vcc
	v_cndmask_b32_e64 v5, v3, v7, s[4:5]
	v_add_lshl_u32 v4, v4, v1, 2
	ds_bpermute_b32 v10, v4, v12
	ds_bpermute_b32 v11, v4, v5
	v_cndmask_b32_e64 v4, v2, v6, s[4:5]
	v_add_u32_e32 v13, 2, v9
	v_cmp_lt_u32_e32 vcc, v13, v8
	v_cmp_gt_u32_e64 s[6:7], 60, v9
	s_waitcnt lgkmcnt(0)
	v_lshl_add_u64 v[6:7], v[10:11], 0, v[4:5]
	v_cndmask_b32_e32 v5, v5, v7, vcc
	v_cndmask_b32_e64 v7, 0, 4, s[6:7]
	v_cndmask_b32_e32 v12, v12, v6, vcc
	v_add_lshl_u32 v7, v7, v1, 2
	ds_bpermute_b32 v10, v7, v12
	ds_bpermute_b32 v11, v7, v5
	v_cndmask_b32_e32 v4, v4, v6, vcc
	v_add_u32_e32 v13, 4, v9
	v_cmp_lt_u32_e32 vcc, v13, v8
	v_cmp_gt_u32_e64 s[6:7], 56, v9
	s_waitcnt lgkmcnt(0)
	v_lshl_add_u64 v[6:7], v[10:11], 0, v[4:5]
	v_cndmask_b32_e32 v5, v5, v7, vcc
	v_cndmask_b32_e64 v7, 0, 8, s[6:7]
	v_cndmask_b32_e32 v12, v12, v6, vcc
	v_add_lshl_u32 v7, v7, v1, 2
	ds_bpermute_b32 v10, v7, v12
	ds_bpermute_b32 v11, v7, v5
	v_cndmask_b32_e32 v4, v4, v6, vcc
	;; [unrolled: 12-line block ×3, first 2 shown]
	v_add_u32_e32 v13, 16, v9
	v_cmp_lt_u32_e32 vcc, v13, v8
	s_waitcnt lgkmcnt(0)
	v_lshl_add_u64 v[6:7], v[10:11], 0, v[4:5]
	v_lshlrev_b32_e32 v10, 2, v1
	v_cndmask_b32_e32 v13, v5, v7, vcc
	v_cndmask_b32_e32 v11, v12, v6, vcc
	v_or_b32_e32 v12, 0x80, v10
	ds_bpermute_b32 v11, v12, v11
	ds_bpermute_b32 v12, v12, v13
	s_and_saveexec_b64 s[6:7], s[4:5]
	s_cbranch_execz .LBB312_654
; %bb.653:
	v_add_u32_e32 v9, 32, v9
	v_cndmask_b32_e32 v3, v5, v7, vcc
	v_cndmask_b32_e32 v2, v4, v6, vcc
	v_cmp_lt_u32_e32 vcc, v9, v8
	s_waitcnt lgkmcnt(0)
	s_nop 0
	v_cndmask_b32_e32 v5, 0, v12, vcc
	v_cndmask_b32_e32 v4, 0, v11, vcc
	v_lshl_add_u64 v[2:3], v[4:5], 0, v[2:3]
.LBB312_654:
	s_or_b64 exec, exec, s[6:7]
	v_cmp_eq_u32_e32 vcc, 0, v1
	s_and_saveexec_b64 s[4:5], vcc
; %bb.655:
	v_lshrrev_b32_e32 v4, 3, v0
	v_and_b32_e32 v4, 24, v4
	ds_write_b64 v4, v[2:3] offset:256
; %bb.656:
	s_or_b64 exec, exec, s[4:5]
	v_cmp_gt_u32_e32 vcc, 4, v0
	s_waitcnt lgkmcnt(0)
	s_barrier
	s_and_saveexec_b64 s[4:5], vcc
	s_cbranch_execz .LBB312_660
; %bb.657:
	v_lshlrev_b32_e32 v2, 3, v1
	ds_read_b64 v[2:3], v2 offset:256
	v_and_b32_e32 v6, 3, v1
	v_cmp_ne_u32_e32 vcc, 3, v6
	v_mov_b32_e32 v8, 0
	s_add_i32 s8, s8, 63
	v_addc_co_u32_e32 v1, vcc, 0, v1, vcc
	v_lshlrev_b32_e32 v1, 2, v1
	s_waitcnt lgkmcnt(0)
	ds_bpermute_b32 v4, v1, v2
	ds_bpermute_b32 v9, v1, v3
	v_mov_b32_e32 v5, v8
	s_lshr_b32 s8, s8, 6
	v_add_u32_e32 v1, 1, v6
	s_waitcnt lgkmcnt(1)
	v_lshl_add_u64 v[12:13], v[2:3], 0, v[4:5]
	s_waitcnt lgkmcnt(0)
	v_lshl_add_u64 v[4:5], v[8:9], 0, v[12:13]
	v_cmp_gt_u32_e32 vcc, s8, v1
	v_or_b32_e32 v8, 8, v10
	s_nop 0
	v_cndmask_b32_e32 v7, v3, v5, vcc
	v_cndmask_b32_e32 v1, v2, v12, vcc
	ds_bpermute_b32 v1, v8, v1
	ds_bpermute_b32 v7, v8, v7
	s_and_saveexec_b64 s[6:7], vcc
	s_cbranch_execz .LBB312_659
; %bb.658:
	v_add_u32_e32 v2, 2, v6
	v_cmp_gt_u32_e32 vcc, s8, v2
	s_waitcnt lgkmcnt(0)
	s_nop 0
	v_cndmask_b32_e32 v3, 0, v7, vcc
	v_cndmask_b32_e32 v2, 0, v1, vcc
	v_lshl_add_u64 v[2:3], v[2:3], 0, v[4:5]
.LBB312_659:
	s_or_b64 exec, exec, s[6:7]
.LBB312_660:
	s_or_b64 exec, exec, s[4:5]
.LBB312_661:
	v_cmp_eq_u32_e64 s[4:5], 0, v0
	v_mov_b64_e32 v[4:5], s[2:3]
	s_branch .LBB312_683
.LBB312_662:
	s_cmp_eq_u32 s33, 1
                                        ; implicit-def: $vgpr2_vgpr3
                                        ; implicit-def: $vgpr4_vgpr5
	s_cbranch_scc0 .LBB312_683
; %bb.663:
	s_mov_b32 s5, 0
	s_lshl_b32 s4, s2, 8
	s_mov_b32 s3, s5
	s_lshr_b64 s[6:7], s[36:37], 8
	s_cmp_lg_u64 s[6:7], s[2:3]
	s_waitcnt lgkmcnt(1)
	v_mbcnt_lo_u32_b32 v1, -1, 0
	s_cbranch_scc0 .LBB312_669
; %bb.664:
	s_lshl_b64 s[6:7], s[4:5], 3
	s_add_u32 s6, s40, s6
	s_addc_u32 s7, s41, s7
	v_lshlrev_b32_e32 v2, 3, v0
	global_load_dwordx2 v[2:3], v2, s[6:7]
	v_mov_b32_e32 v8, 0
	s_waitcnt lgkmcnt(0)
	v_mov_b32_e32 v7, s5
	v_mov_b32_e32 v11, v8
	v_mov_b32_dpp v9, v8 quad_perm:[1,0,3,2] row_mask:0xf bank_mask:0xf bound_ctrl:1
	v_mov_b32_e32 v13, v8
	v_mov_b32_e32 v15, v8
	;; [unrolled: 1-line block ×4, first 2 shown]
	v_mbcnt_hi_u32_b32 v4, -1, v1
	v_mov_b32_e32 v21, v8
	v_lshlrev_b32_e32 v5, 2, v4
	v_or_b32_e32 v22, 0xfc, v5
	s_waitcnt vmcnt(0)
	v_cmp_neq_f64_e32 vcc, 0, v[2:3]
	s_nop 1
	v_cndmask_b32_e64 v6, 0, 1, vcc
	v_cmp_eq_u32_e32 vcc, 0, v4
	s_nop 0
	v_mov_b32_dpp v10, v6 quad_perm:[1,0,3,2] row_mask:0xf bank_mask:0xf bound_ctrl:1
	v_lshl_add_u64 v[2:3], v[10:11], 0, v[6:7]
	v_lshl_add_u64 v[6:7], v[8:9], 0, v[2:3]
	s_nop 0
	v_mov_b32_dpp v12, v2 quad_perm:[2,3,0,1] row_mask:0xf bank_mask:0xf bound_ctrl:1
	v_mov_b32_dpp v9, v7 quad_perm:[2,3,0,1] row_mask:0xf bank_mask:0xf bound_ctrl:1
	v_lshl_add_u64 v[2:3], v[6:7], 0, v[12:13]
	v_lshl_add_u64 v[6:7], v[2:3], 0, v[8:9]
	s_nop 0
	v_mov_b32_dpp v14, v2 row_ror:4 row_mask:0xf bank_mask:0xf bound_ctrl:1
	v_mov_b32_dpp v9, v7 row_ror:4 row_mask:0xf bank_mask:0xf bound_ctrl:1
	v_lshl_add_u64 v[2:3], v[6:7], 0, v[14:15]
	v_lshl_add_u64 v[6:7], v[2:3], 0, v[8:9]
	s_nop 0
	v_mov_b32_dpp v16, v2 row_ror:8 row_mask:0xf bank_mask:0xf bound_ctrl:1
	v_mov_b32_dpp v9, v7 row_ror:8 row_mask:0xf bank_mask:0xf bound_ctrl:1
	v_lshl_add_u64 v[2:3], v[6:7], 0, v[16:17]
	v_lshl_add_u64 v[6:7], v[2:3], 0, v[8:9]
	s_nop 0
	v_mov_b32_dpp v18, v2 row_bcast:15 row_mask:0xf bank_mask:0xf bound_ctrl:1
	v_mov_b32_dpp v9, v7 row_bcast:15 row_mask:0xf bank_mask:0xf bound_ctrl:1
	v_lshl_add_u64 v[2:3], v[6:7], 0, v[18:19]
	v_lshl_add_u64 v[6:7], v[2:3], 0, v[8:9]
	s_nop 0
	v_mov_b32_dpp v20, v2 row_bcast:31 row_mask:0xf bank_mask:0xf bound_ctrl:1
	v_lshl_add_u64 v[2:3], v[6:7], 0, v[20:21]
	ds_bpermute_b32 v2, v22, v2
	s_nop 0
	v_add_u32_dpp v3, v7, v3 row_bcast:31 row_mask:0xf bank_mask:0xf bound_ctrl:1
	ds_bpermute_b32 v3, v22, v3
	s_and_saveexec_b64 s[6:7], vcc
	s_cbranch_execz .LBB312_666
; %bb.665:
	v_lshrrev_b32_e32 v6, 3, v0
	v_and_b32_e32 v6, 24, v6
	s_waitcnt lgkmcnt(0)
	ds_write_b64 v6, v[2:3] offset:64
.LBB312_666:
	s_or_b64 exec, exec, s[6:7]
	v_cmp_gt_u32_e32 vcc, 64, v0
	s_waitcnt lgkmcnt(0)
	s_barrier
	s_and_saveexec_b64 s[6:7], vcc
	s_cbranch_execz .LBB312_668
; %bb.667:
	v_and_b32_e32 v6, 3, v4
	v_lshlrev_b32_e32 v2, 3, v6
	ds_read_b64 v[2:3], v2 offset:64
	v_cmp_ne_u32_e32 vcc, 3, v6
	v_or_b32_e32 v8, 8, v5
	s_nop 0
	v_addc_co_u32_e32 v4, vcc, 0, v4, vcc
	v_lshlrev_b32_e32 v6, 2, v4
	s_waitcnt lgkmcnt(0)
	ds_bpermute_b32 v4, v6, v2
	ds_bpermute_b32 v7, v6, v3
	v_mov_b32_e32 v6, 0
	v_mov_b32_e32 v5, v6
	s_waitcnt lgkmcnt(1)
	v_lshl_add_u64 v[2:3], v[2:3], 0, v[4:5]
	s_waitcnt lgkmcnt(0)
	v_lshl_add_u64 v[4:5], v[6:7], 0, v[2:3]
	ds_bpermute_b32 v2, v8, v2
	ds_bpermute_b32 v7, v8, v5
	v_mov_b32_e32 v3, v6
	s_waitcnt lgkmcnt(1)
	v_lshl_add_u64 v[2:3], v[4:5], 0, v[2:3]
	s_waitcnt lgkmcnt(0)
	v_lshl_add_u64 v[2:3], v[2:3], 0, v[6:7]
.LBB312_668:
	s_or_b64 exec, exec, s[6:7]
	s_mov_b64 s[6:7], 0
	s_branch .LBB312_670
.LBB312_669:
	s_mov_b64 s[6:7], -1
                                        ; implicit-def: $vgpr2_vgpr3
.LBB312_670:
	s_and_b64 vcc, exec, s[6:7]
	s_cbranch_vccz .LBB312_682
; %bb.671:
	s_sub_i32 s8, s36, s4
	v_cmp_gt_u32_e32 vcc, s8, v0
                                        ; implicit-def: $vgpr2_vgpr3
	s_and_saveexec_b64 s[6:7], vcc
	s_cbranch_execz .LBB312_673
; %bb.672:
	s_lshl_b64 s[4:5], s[4:5], 3
	s_add_u32 s4, s40, s4
	s_addc_u32 s5, s41, s5
	v_lshlrev_b32_e32 v2, 3, v0
	global_load_dwordx2 v[2:3], v2, s[4:5]
	s_mov_b32 s4, 0
	s_waitcnt vmcnt(0)
	v_cmp_neq_f64_e32 vcc, 0, v[2:3]
	s_nop 1
	v_cndmask_b32_e64 v2, 0, 1, vcc
	v_mov_b32_e32 v3, s4
.LBB312_673:
	s_or_b64 exec, exec, s[6:7]
	v_mbcnt_hi_u32_b32 v1, -1, v1
	v_and_b32_e32 v9, 63, v1
	s_min_u32 s8, s8, 0x100
	v_and_b32_e32 v4, 0xc0, v0
	v_cmp_ne_u32_e32 vcc, 63, v9
	v_sub_u32_e64 v8, s8, v4 clamp
	v_mov_b32_e32 v6, 0
	v_addc_co_u32_e32 v4, vcc, 0, v1, vcc
	v_lshlrev_b32_e32 v5, 2, v4
	ds_bpermute_b32 v4, v5, v2
	s_waitcnt lgkmcnt(1)
	ds_bpermute_b32 v7, v5, v3
	v_add_u32_e32 v10, 1, v9
	v_mov_b32_e32 v5, v6
	v_cmp_lt_u32_e64 s[4:5], v10, v8
	s_waitcnt lgkmcnt(1)
	v_lshl_add_u64 v[4:5], v[2:3], 0, v[4:5]
	v_cmp_gt_u32_e32 vcc, 62, v9
	s_waitcnt lgkmcnt(0)
	v_lshl_add_u64 v[6:7], v[6:7], 0, v[4:5]
	v_cndmask_b32_e64 v12, v2, v4, s[4:5]
	v_cndmask_b32_e64 v4, 0, 2, vcc
	v_cndmask_b32_e64 v5, v3, v7, s[4:5]
	v_add_lshl_u32 v4, v4, v1, 2
	ds_bpermute_b32 v10, v4, v12
	ds_bpermute_b32 v11, v4, v5
	v_cndmask_b32_e64 v4, v2, v6, s[4:5]
	v_add_u32_e32 v13, 2, v9
	v_cmp_lt_u32_e32 vcc, v13, v8
	v_cmp_gt_u32_e64 s[6:7], 60, v9
	s_waitcnt lgkmcnt(0)
	v_lshl_add_u64 v[6:7], v[10:11], 0, v[4:5]
	v_cndmask_b32_e32 v5, v5, v7, vcc
	v_cndmask_b32_e64 v7, 0, 4, s[6:7]
	v_cndmask_b32_e32 v12, v12, v6, vcc
	v_add_lshl_u32 v7, v7, v1, 2
	ds_bpermute_b32 v10, v7, v12
	ds_bpermute_b32 v11, v7, v5
	v_cndmask_b32_e32 v4, v4, v6, vcc
	v_add_u32_e32 v13, 4, v9
	v_cmp_lt_u32_e32 vcc, v13, v8
	v_cmp_gt_u32_e64 s[6:7], 56, v9
	s_waitcnt lgkmcnt(0)
	v_lshl_add_u64 v[6:7], v[10:11], 0, v[4:5]
	v_cndmask_b32_e32 v5, v5, v7, vcc
	v_cndmask_b32_e64 v7, 0, 8, s[6:7]
	v_cndmask_b32_e32 v12, v12, v6, vcc
	v_add_lshl_u32 v7, v7, v1, 2
	ds_bpermute_b32 v10, v7, v12
	ds_bpermute_b32 v11, v7, v5
	v_cndmask_b32_e32 v4, v4, v6, vcc
	v_add_u32_e32 v13, 8, v9
	v_cmp_lt_u32_e32 vcc, v13, v8
	v_cmp_gt_u32_e64 s[6:7], 48, v9
	s_waitcnt lgkmcnt(0)
	v_lshl_add_u64 v[6:7], v[10:11], 0, v[4:5]
	v_cndmask_b32_e32 v5, v5, v7, vcc
	v_cndmask_b32_e64 v7, 0, 16, s[6:7]
	v_cndmask_b32_e32 v12, v12, v6, vcc
	v_add_lshl_u32 v7, v7, v1, 2
	ds_bpermute_b32 v10, v7, v12
	ds_bpermute_b32 v11, v7, v5
	v_cndmask_b32_e32 v4, v4, v6, vcc
	v_add_u32_e32 v13, 16, v9
	v_cmp_lt_u32_e32 vcc, v13, v8
	s_waitcnt lgkmcnt(0)
	v_lshl_add_u64 v[6:7], v[10:11], 0, v[4:5]
	v_lshlrev_b32_e32 v10, 2, v1
	v_cndmask_b32_e32 v13, v5, v7, vcc
	v_cndmask_b32_e32 v11, v12, v6, vcc
	v_or_b32_e32 v12, 0x80, v10
	ds_bpermute_b32 v11, v12, v11
	ds_bpermute_b32 v12, v12, v13
	s_and_saveexec_b64 s[6:7], s[4:5]
	s_cbranch_execz .LBB312_675
; %bb.674:
	v_add_u32_e32 v9, 32, v9
	v_cndmask_b32_e32 v3, v5, v7, vcc
	v_cndmask_b32_e32 v2, v4, v6, vcc
	v_cmp_lt_u32_e32 vcc, v9, v8
	s_waitcnt lgkmcnt(0)
	s_nop 0
	v_cndmask_b32_e32 v5, 0, v12, vcc
	v_cndmask_b32_e32 v4, 0, v11, vcc
	v_lshl_add_u64 v[2:3], v[4:5], 0, v[2:3]
.LBB312_675:
	s_or_b64 exec, exec, s[6:7]
	v_cmp_eq_u32_e32 vcc, 0, v1
	s_and_saveexec_b64 s[4:5], vcc
; %bb.676:
	v_lshrrev_b32_e32 v4, 3, v0
	v_and_b32_e32 v4, 24, v4
	ds_write_b64 v4, v[2:3] offset:256
; %bb.677:
	s_or_b64 exec, exec, s[4:5]
	v_cmp_gt_u32_e32 vcc, 4, v0
	s_waitcnt lgkmcnt(0)
	s_barrier
	s_and_saveexec_b64 s[4:5], vcc
	s_cbranch_execz .LBB312_681
; %bb.678:
	v_lshlrev_b32_e32 v2, 3, v1
	ds_read_b64 v[2:3], v2 offset:256
	v_and_b32_e32 v6, 3, v1
	v_cmp_ne_u32_e32 vcc, 3, v6
	v_mov_b32_e32 v8, 0
	s_add_i32 s8, s8, 63
	v_addc_co_u32_e32 v1, vcc, 0, v1, vcc
	v_lshlrev_b32_e32 v1, 2, v1
	s_waitcnt lgkmcnt(0)
	ds_bpermute_b32 v4, v1, v2
	ds_bpermute_b32 v9, v1, v3
	v_mov_b32_e32 v5, v8
	s_lshr_b32 s8, s8, 6
	v_add_u32_e32 v1, 1, v6
	s_waitcnt lgkmcnt(1)
	v_lshl_add_u64 v[12:13], v[2:3], 0, v[4:5]
	s_waitcnt lgkmcnt(0)
	v_lshl_add_u64 v[4:5], v[8:9], 0, v[12:13]
	v_cmp_gt_u32_e32 vcc, s8, v1
	v_or_b32_e32 v8, 8, v10
	s_nop 0
	v_cndmask_b32_e32 v7, v3, v5, vcc
	v_cndmask_b32_e32 v1, v2, v12, vcc
	ds_bpermute_b32 v1, v8, v1
	ds_bpermute_b32 v7, v8, v7
	s_and_saveexec_b64 s[6:7], vcc
	s_cbranch_execz .LBB312_680
; %bb.679:
	v_add_u32_e32 v2, 2, v6
	v_cmp_gt_u32_e32 vcc, s8, v2
	s_waitcnt lgkmcnt(0)
	s_nop 0
	v_cndmask_b32_e32 v3, 0, v7, vcc
	v_cndmask_b32_e32 v2, 0, v1, vcc
	v_lshl_add_u64 v[2:3], v[2:3], 0, v[4:5]
.LBB312_680:
	s_or_b64 exec, exec, s[6:7]
.LBB312_681:
	s_or_b64 exec, exec, s[4:5]
.LBB312_682:
	v_cmp_eq_u32_e64 s[4:5], 0, v0
	v_mov_b64_e32 v[4:5], s[2:3]
.LBB312_683:
	s_and_saveexec_b64 s[2:3], s[4:5]
	s_cbranch_execz .LBB312_685
; %bb.684:
	s_load_dwordx2 s[0:1], s[0:1], 0x28
	s_cmp_lg_u64 s[36:37], 0
	s_cselect_b64 vcc, -1, 0
	s_waitcnt lgkmcnt(0)
	v_lshlrev_b64 v[0:1], 3, v[4:5]
	v_cndmask_b32_e32 v3, 0, v3, vcc
	v_cndmask_b32_e32 v2, 0, v2, vcc
	v_lshl_add_u64 v[0:1], s[38:39], 0, v[0:1]
	v_lshl_add_u64 v[2:3], v[2:3], 0, s[0:1]
	global_store_dwordx2 v[0:1], v[2:3], off
.LBB312_685:
	s_endpgm
	.section	.rodata,"a",@progbits
	.p2align	6, 0x0
	.amdhsa_kernel _ZN7rocprim17ROCPRIM_400000_NS6detail17trampoline_kernelINS0_14default_configENS1_22reduce_config_selectorIbEEZNS1_11reduce_implILb1ES3_N6hipcub16HIPCUB_304000_NS22TransformInputIteratorIb7NonZeroIdEPdlEEPllNS8_6detail34convert_binary_result_type_wrapperINS8_3SumESD_lEEEE10hipError_tPvRmT1_T2_T3_mT4_P12ihipStream_tbEUlT_E1_NS1_11comp_targetILNS1_3genE0ELNS1_11target_archE4294967295ELNS1_3gpuE0ELNS1_3repE0EEENS1_30default_config_static_selectorELNS0_4arch9wavefront6targetE1EEEvSM_
		.amdhsa_group_segment_fixed_size 288
		.amdhsa_private_segment_fixed_size 0
		.amdhsa_kernarg_size 56
		.amdhsa_user_sgpr_count 2
		.amdhsa_user_sgpr_dispatch_ptr 0
		.amdhsa_user_sgpr_queue_ptr 0
		.amdhsa_user_sgpr_kernarg_segment_ptr 1
		.amdhsa_user_sgpr_dispatch_id 0
		.amdhsa_user_sgpr_kernarg_preload_length 0
		.amdhsa_user_sgpr_kernarg_preload_offset 0
		.amdhsa_user_sgpr_private_segment_size 0
		.amdhsa_uses_dynamic_stack 0
		.amdhsa_enable_private_segment 0
		.amdhsa_system_sgpr_workgroup_id_x 1
		.amdhsa_system_sgpr_workgroup_id_y 0
		.amdhsa_system_sgpr_workgroup_id_z 0
		.amdhsa_system_sgpr_workgroup_info 0
		.amdhsa_system_vgpr_workitem_id 0
		.amdhsa_next_free_vgpr 260
		.amdhsa_next_free_sgpr 46
		.amdhsa_accum_offset 256
		.amdhsa_reserve_vcc 1
		.amdhsa_float_round_mode_32 0
		.amdhsa_float_round_mode_16_64 0
		.amdhsa_float_denorm_mode_32 3
		.amdhsa_float_denorm_mode_16_64 3
		.amdhsa_dx10_clamp 1
		.amdhsa_ieee_mode 1
		.amdhsa_fp16_overflow 0
		.amdhsa_tg_split 0
		.amdhsa_exception_fp_ieee_invalid_op 0
		.amdhsa_exception_fp_denorm_src 0
		.amdhsa_exception_fp_ieee_div_zero 0
		.amdhsa_exception_fp_ieee_overflow 0
		.amdhsa_exception_fp_ieee_underflow 0
		.amdhsa_exception_fp_ieee_inexact 0
		.amdhsa_exception_int_div_zero 0
	.end_amdhsa_kernel
	.section	.text._ZN7rocprim17ROCPRIM_400000_NS6detail17trampoline_kernelINS0_14default_configENS1_22reduce_config_selectorIbEEZNS1_11reduce_implILb1ES3_N6hipcub16HIPCUB_304000_NS22TransformInputIteratorIb7NonZeroIdEPdlEEPllNS8_6detail34convert_binary_result_type_wrapperINS8_3SumESD_lEEEE10hipError_tPvRmT1_T2_T3_mT4_P12ihipStream_tbEUlT_E1_NS1_11comp_targetILNS1_3genE0ELNS1_11target_archE4294967295ELNS1_3gpuE0ELNS1_3repE0EEENS1_30default_config_static_selectorELNS0_4arch9wavefront6targetE1EEEvSM_,"axG",@progbits,_ZN7rocprim17ROCPRIM_400000_NS6detail17trampoline_kernelINS0_14default_configENS1_22reduce_config_selectorIbEEZNS1_11reduce_implILb1ES3_N6hipcub16HIPCUB_304000_NS22TransformInputIteratorIb7NonZeroIdEPdlEEPllNS8_6detail34convert_binary_result_type_wrapperINS8_3SumESD_lEEEE10hipError_tPvRmT1_T2_T3_mT4_P12ihipStream_tbEUlT_E1_NS1_11comp_targetILNS1_3genE0ELNS1_11target_archE4294967295ELNS1_3gpuE0ELNS1_3repE0EEENS1_30default_config_static_selectorELNS0_4arch9wavefront6targetE1EEEvSM_,comdat
.Lfunc_end312:
	.size	_ZN7rocprim17ROCPRIM_400000_NS6detail17trampoline_kernelINS0_14default_configENS1_22reduce_config_selectorIbEEZNS1_11reduce_implILb1ES3_N6hipcub16HIPCUB_304000_NS22TransformInputIteratorIb7NonZeroIdEPdlEEPllNS8_6detail34convert_binary_result_type_wrapperINS8_3SumESD_lEEEE10hipError_tPvRmT1_T2_T3_mT4_P12ihipStream_tbEUlT_E1_NS1_11comp_targetILNS1_3genE0ELNS1_11target_archE4294967295ELNS1_3gpuE0ELNS1_3repE0EEENS1_30default_config_static_selectorELNS0_4arch9wavefront6targetE1EEEvSM_, .Lfunc_end312-_ZN7rocprim17ROCPRIM_400000_NS6detail17trampoline_kernelINS0_14default_configENS1_22reduce_config_selectorIbEEZNS1_11reduce_implILb1ES3_N6hipcub16HIPCUB_304000_NS22TransformInputIteratorIb7NonZeroIdEPdlEEPllNS8_6detail34convert_binary_result_type_wrapperINS8_3SumESD_lEEEE10hipError_tPvRmT1_T2_T3_mT4_P12ihipStream_tbEUlT_E1_NS1_11comp_targetILNS1_3genE0ELNS1_11target_archE4294967295ELNS1_3gpuE0ELNS1_3repE0EEENS1_30default_config_static_selectorELNS0_4arch9wavefront6targetE1EEEvSM_
                                        ; -- End function
	.set _ZN7rocprim17ROCPRIM_400000_NS6detail17trampoline_kernelINS0_14default_configENS1_22reduce_config_selectorIbEEZNS1_11reduce_implILb1ES3_N6hipcub16HIPCUB_304000_NS22TransformInputIteratorIb7NonZeroIdEPdlEEPllNS8_6detail34convert_binary_result_type_wrapperINS8_3SumESD_lEEEE10hipError_tPvRmT1_T2_T3_mT4_P12ihipStream_tbEUlT_E1_NS1_11comp_targetILNS1_3genE0ELNS1_11target_archE4294967295ELNS1_3gpuE0ELNS1_3repE0EEENS1_30default_config_static_selectorELNS0_4arch9wavefront6targetE1EEEvSM_.num_vgpr, 256
	.set _ZN7rocprim17ROCPRIM_400000_NS6detail17trampoline_kernelINS0_14default_configENS1_22reduce_config_selectorIbEEZNS1_11reduce_implILb1ES3_N6hipcub16HIPCUB_304000_NS22TransformInputIteratorIb7NonZeroIdEPdlEEPllNS8_6detail34convert_binary_result_type_wrapperINS8_3SumESD_lEEEE10hipError_tPvRmT1_T2_T3_mT4_P12ihipStream_tbEUlT_E1_NS1_11comp_targetILNS1_3genE0ELNS1_11target_archE4294967295ELNS1_3gpuE0ELNS1_3repE0EEENS1_30default_config_static_selectorELNS0_4arch9wavefront6targetE1EEEvSM_.num_agpr, 4
	.set _ZN7rocprim17ROCPRIM_400000_NS6detail17trampoline_kernelINS0_14default_configENS1_22reduce_config_selectorIbEEZNS1_11reduce_implILb1ES3_N6hipcub16HIPCUB_304000_NS22TransformInputIteratorIb7NonZeroIdEPdlEEPllNS8_6detail34convert_binary_result_type_wrapperINS8_3SumESD_lEEEE10hipError_tPvRmT1_T2_T3_mT4_P12ihipStream_tbEUlT_E1_NS1_11comp_targetILNS1_3genE0ELNS1_11target_archE4294967295ELNS1_3gpuE0ELNS1_3repE0EEENS1_30default_config_static_selectorELNS0_4arch9wavefront6targetE1EEEvSM_.numbered_sgpr, 46
	.set _ZN7rocprim17ROCPRIM_400000_NS6detail17trampoline_kernelINS0_14default_configENS1_22reduce_config_selectorIbEEZNS1_11reduce_implILb1ES3_N6hipcub16HIPCUB_304000_NS22TransformInputIteratorIb7NonZeroIdEPdlEEPllNS8_6detail34convert_binary_result_type_wrapperINS8_3SumESD_lEEEE10hipError_tPvRmT1_T2_T3_mT4_P12ihipStream_tbEUlT_E1_NS1_11comp_targetILNS1_3genE0ELNS1_11target_archE4294967295ELNS1_3gpuE0ELNS1_3repE0EEENS1_30default_config_static_selectorELNS0_4arch9wavefront6targetE1EEEvSM_.num_named_barrier, 0
	.set _ZN7rocprim17ROCPRIM_400000_NS6detail17trampoline_kernelINS0_14default_configENS1_22reduce_config_selectorIbEEZNS1_11reduce_implILb1ES3_N6hipcub16HIPCUB_304000_NS22TransformInputIteratorIb7NonZeroIdEPdlEEPllNS8_6detail34convert_binary_result_type_wrapperINS8_3SumESD_lEEEE10hipError_tPvRmT1_T2_T3_mT4_P12ihipStream_tbEUlT_E1_NS1_11comp_targetILNS1_3genE0ELNS1_11target_archE4294967295ELNS1_3gpuE0ELNS1_3repE0EEENS1_30default_config_static_selectorELNS0_4arch9wavefront6targetE1EEEvSM_.private_seg_size, 0
	.set _ZN7rocprim17ROCPRIM_400000_NS6detail17trampoline_kernelINS0_14default_configENS1_22reduce_config_selectorIbEEZNS1_11reduce_implILb1ES3_N6hipcub16HIPCUB_304000_NS22TransformInputIteratorIb7NonZeroIdEPdlEEPllNS8_6detail34convert_binary_result_type_wrapperINS8_3SumESD_lEEEE10hipError_tPvRmT1_T2_T3_mT4_P12ihipStream_tbEUlT_E1_NS1_11comp_targetILNS1_3genE0ELNS1_11target_archE4294967295ELNS1_3gpuE0ELNS1_3repE0EEENS1_30default_config_static_selectorELNS0_4arch9wavefront6targetE1EEEvSM_.uses_vcc, 1
	.set _ZN7rocprim17ROCPRIM_400000_NS6detail17trampoline_kernelINS0_14default_configENS1_22reduce_config_selectorIbEEZNS1_11reduce_implILb1ES3_N6hipcub16HIPCUB_304000_NS22TransformInputIteratorIb7NonZeroIdEPdlEEPllNS8_6detail34convert_binary_result_type_wrapperINS8_3SumESD_lEEEE10hipError_tPvRmT1_T2_T3_mT4_P12ihipStream_tbEUlT_E1_NS1_11comp_targetILNS1_3genE0ELNS1_11target_archE4294967295ELNS1_3gpuE0ELNS1_3repE0EEENS1_30default_config_static_selectorELNS0_4arch9wavefront6targetE1EEEvSM_.uses_flat_scratch, 0
	.set _ZN7rocprim17ROCPRIM_400000_NS6detail17trampoline_kernelINS0_14default_configENS1_22reduce_config_selectorIbEEZNS1_11reduce_implILb1ES3_N6hipcub16HIPCUB_304000_NS22TransformInputIteratorIb7NonZeroIdEPdlEEPllNS8_6detail34convert_binary_result_type_wrapperINS8_3SumESD_lEEEE10hipError_tPvRmT1_T2_T3_mT4_P12ihipStream_tbEUlT_E1_NS1_11comp_targetILNS1_3genE0ELNS1_11target_archE4294967295ELNS1_3gpuE0ELNS1_3repE0EEENS1_30default_config_static_selectorELNS0_4arch9wavefront6targetE1EEEvSM_.has_dyn_sized_stack, 0
	.set _ZN7rocprim17ROCPRIM_400000_NS6detail17trampoline_kernelINS0_14default_configENS1_22reduce_config_selectorIbEEZNS1_11reduce_implILb1ES3_N6hipcub16HIPCUB_304000_NS22TransformInputIteratorIb7NonZeroIdEPdlEEPllNS8_6detail34convert_binary_result_type_wrapperINS8_3SumESD_lEEEE10hipError_tPvRmT1_T2_T3_mT4_P12ihipStream_tbEUlT_E1_NS1_11comp_targetILNS1_3genE0ELNS1_11target_archE4294967295ELNS1_3gpuE0ELNS1_3repE0EEENS1_30default_config_static_selectorELNS0_4arch9wavefront6targetE1EEEvSM_.has_recursion, 0
	.set _ZN7rocprim17ROCPRIM_400000_NS6detail17trampoline_kernelINS0_14default_configENS1_22reduce_config_selectorIbEEZNS1_11reduce_implILb1ES3_N6hipcub16HIPCUB_304000_NS22TransformInputIteratorIb7NonZeroIdEPdlEEPllNS8_6detail34convert_binary_result_type_wrapperINS8_3SumESD_lEEEE10hipError_tPvRmT1_T2_T3_mT4_P12ihipStream_tbEUlT_E1_NS1_11comp_targetILNS1_3genE0ELNS1_11target_archE4294967295ELNS1_3gpuE0ELNS1_3repE0EEENS1_30default_config_static_selectorELNS0_4arch9wavefront6targetE1EEEvSM_.has_indirect_call, 0
	.section	.AMDGPU.csdata,"",@progbits
; Kernel info:
; codeLenInByte = 42060
; TotalNumSgprs: 52
; NumVgprs: 256
; NumAgprs: 4
; TotalNumVgprs: 260
; ScratchSize: 0
; MemoryBound: 0
; FloatMode: 240
; IeeeMode: 1
; LDSByteSize: 288 bytes/workgroup (compile time only)
; SGPRBlocks: 6
; VGPRBlocks: 32
; NumSGPRsForWavesPerEU: 52
; NumVGPRsForWavesPerEU: 260
; AccumOffset: 256
; Occupancy: 1
; WaveLimiterHint : 1
; COMPUTE_PGM_RSRC2:SCRATCH_EN: 0
; COMPUTE_PGM_RSRC2:USER_SGPR: 2
; COMPUTE_PGM_RSRC2:TRAP_HANDLER: 0
; COMPUTE_PGM_RSRC2:TGID_X_EN: 1
; COMPUTE_PGM_RSRC2:TGID_Y_EN: 0
; COMPUTE_PGM_RSRC2:TGID_Z_EN: 0
; COMPUTE_PGM_RSRC2:TIDIG_COMP_CNT: 0
; COMPUTE_PGM_RSRC3_GFX90A:ACCUM_OFFSET: 63
; COMPUTE_PGM_RSRC3_GFX90A:TG_SPLIT: 0
	.section	.text._ZN7rocprim17ROCPRIM_400000_NS6detail17trampoline_kernelINS0_14default_configENS1_22reduce_config_selectorIbEEZNS1_11reduce_implILb1ES3_N6hipcub16HIPCUB_304000_NS22TransformInputIteratorIb7NonZeroIdEPdlEEPllNS8_6detail34convert_binary_result_type_wrapperINS8_3SumESD_lEEEE10hipError_tPvRmT1_T2_T3_mT4_P12ihipStream_tbEUlT_E1_NS1_11comp_targetILNS1_3genE5ELNS1_11target_archE942ELNS1_3gpuE9ELNS1_3repE0EEENS1_30default_config_static_selectorELNS0_4arch9wavefront6targetE1EEEvSM_,"axG",@progbits,_ZN7rocprim17ROCPRIM_400000_NS6detail17trampoline_kernelINS0_14default_configENS1_22reduce_config_selectorIbEEZNS1_11reduce_implILb1ES3_N6hipcub16HIPCUB_304000_NS22TransformInputIteratorIb7NonZeroIdEPdlEEPllNS8_6detail34convert_binary_result_type_wrapperINS8_3SumESD_lEEEE10hipError_tPvRmT1_T2_T3_mT4_P12ihipStream_tbEUlT_E1_NS1_11comp_targetILNS1_3genE5ELNS1_11target_archE942ELNS1_3gpuE9ELNS1_3repE0EEENS1_30default_config_static_selectorELNS0_4arch9wavefront6targetE1EEEvSM_,comdat
	.protected	_ZN7rocprim17ROCPRIM_400000_NS6detail17trampoline_kernelINS0_14default_configENS1_22reduce_config_selectorIbEEZNS1_11reduce_implILb1ES3_N6hipcub16HIPCUB_304000_NS22TransformInputIteratorIb7NonZeroIdEPdlEEPllNS8_6detail34convert_binary_result_type_wrapperINS8_3SumESD_lEEEE10hipError_tPvRmT1_T2_T3_mT4_P12ihipStream_tbEUlT_E1_NS1_11comp_targetILNS1_3genE5ELNS1_11target_archE942ELNS1_3gpuE9ELNS1_3repE0EEENS1_30default_config_static_selectorELNS0_4arch9wavefront6targetE1EEEvSM_ ; -- Begin function _ZN7rocprim17ROCPRIM_400000_NS6detail17trampoline_kernelINS0_14default_configENS1_22reduce_config_selectorIbEEZNS1_11reduce_implILb1ES3_N6hipcub16HIPCUB_304000_NS22TransformInputIteratorIb7NonZeroIdEPdlEEPllNS8_6detail34convert_binary_result_type_wrapperINS8_3SumESD_lEEEE10hipError_tPvRmT1_T2_T3_mT4_P12ihipStream_tbEUlT_E1_NS1_11comp_targetILNS1_3genE5ELNS1_11target_archE942ELNS1_3gpuE9ELNS1_3repE0EEENS1_30default_config_static_selectorELNS0_4arch9wavefront6targetE1EEEvSM_
	.globl	_ZN7rocprim17ROCPRIM_400000_NS6detail17trampoline_kernelINS0_14default_configENS1_22reduce_config_selectorIbEEZNS1_11reduce_implILb1ES3_N6hipcub16HIPCUB_304000_NS22TransformInputIteratorIb7NonZeroIdEPdlEEPllNS8_6detail34convert_binary_result_type_wrapperINS8_3SumESD_lEEEE10hipError_tPvRmT1_T2_T3_mT4_P12ihipStream_tbEUlT_E1_NS1_11comp_targetILNS1_3genE5ELNS1_11target_archE942ELNS1_3gpuE9ELNS1_3repE0EEENS1_30default_config_static_selectorELNS0_4arch9wavefront6targetE1EEEvSM_
	.p2align	8
	.type	_ZN7rocprim17ROCPRIM_400000_NS6detail17trampoline_kernelINS0_14default_configENS1_22reduce_config_selectorIbEEZNS1_11reduce_implILb1ES3_N6hipcub16HIPCUB_304000_NS22TransformInputIteratorIb7NonZeroIdEPdlEEPllNS8_6detail34convert_binary_result_type_wrapperINS8_3SumESD_lEEEE10hipError_tPvRmT1_T2_T3_mT4_P12ihipStream_tbEUlT_E1_NS1_11comp_targetILNS1_3genE5ELNS1_11target_archE942ELNS1_3gpuE9ELNS1_3repE0EEENS1_30default_config_static_selectorELNS0_4arch9wavefront6targetE1EEEvSM_,@function
_ZN7rocprim17ROCPRIM_400000_NS6detail17trampoline_kernelINS0_14default_configENS1_22reduce_config_selectorIbEEZNS1_11reduce_implILb1ES3_N6hipcub16HIPCUB_304000_NS22TransformInputIteratorIb7NonZeroIdEPdlEEPllNS8_6detail34convert_binary_result_type_wrapperINS8_3SumESD_lEEEE10hipError_tPvRmT1_T2_T3_mT4_P12ihipStream_tbEUlT_E1_NS1_11comp_targetILNS1_3genE5ELNS1_11target_archE942ELNS1_3gpuE9ELNS1_3repE0EEENS1_30default_config_static_selectorELNS0_4arch9wavefront6targetE1EEEvSM_: ; @_ZN7rocprim17ROCPRIM_400000_NS6detail17trampoline_kernelINS0_14default_configENS1_22reduce_config_selectorIbEEZNS1_11reduce_implILb1ES3_N6hipcub16HIPCUB_304000_NS22TransformInputIteratorIb7NonZeroIdEPdlEEPllNS8_6detail34convert_binary_result_type_wrapperINS8_3SumESD_lEEEE10hipError_tPvRmT1_T2_T3_mT4_P12ihipStream_tbEUlT_E1_NS1_11comp_targetILNS1_3genE5ELNS1_11target_archE942ELNS1_3gpuE9ELNS1_3repE0EEENS1_30default_config_static_selectorELNS0_4arch9wavefront6targetE1EEEvSM_
; %bb.0:
	.section	.rodata,"a",@progbits
	.p2align	6, 0x0
	.amdhsa_kernel _ZN7rocprim17ROCPRIM_400000_NS6detail17trampoline_kernelINS0_14default_configENS1_22reduce_config_selectorIbEEZNS1_11reduce_implILb1ES3_N6hipcub16HIPCUB_304000_NS22TransformInputIteratorIb7NonZeroIdEPdlEEPllNS8_6detail34convert_binary_result_type_wrapperINS8_3SumESD_lEEEE10hipError_tPvRmT1_T2_T3_mT4_P12ihipStream_tbEUlT_E1_NS1_11comp_targetILNS1_3genE5ELNS1_11target_archE942ELNS1_3gpuE9ELNS1_3repE0EEENS1_30default_config_static_selectorELNS0_4arch9wavefront6targetE1EEEvSM_
		.amdhsa_group_segment_fixed_size 0
		.amdhsa_private_segment_fixed_size 0
		.amdhsa_kernarg_size 56
		.amdhsa_user_sgpr_count 2
		.amdhsa_user_sgpr_dispatch_ptr 0
		.amdhsa_user_sgpr_queue_ptr 0
		.amdhsa_user_sgpr_kernarg_segment_ptr 1
		.amdhsa_user_sgpr_dispatch_id 0
		.amdhsa_user_sgpr_kernarg_preload_length 0
		.amdhsa_user_sgpr_kernarg_preload_offset 0
		.amdhsa_user_sgpr_private_segment_size 0
		.amdhsa_uses_dynamic_stack 0
		.amdhsa_enable_private_segment 0
		.amdhsa_system_sgpr_workgroup_id_x 1
		.amdhsa_system_sgpr_workgroup_id_y 0
		.amdhsa_system_sgpr_workgroup_id_z 0
		.amdhsa_system_sgpr_workgroup_info 0
		.amdhsa_system_vgpr_workitem_id 0
		.amdhsa_next_free_vgpr 1
		.amdhsa_next_free_sgpr 0
		.amdhsa_accum_offset 4
		.amdhsa_reserve_vcc 0
		.amdhsa_float_round_mode_32 0
		.amdhsa_float_round_mode_16_64 0
		.amdhsa_float_denorm_mode_32 3
		.amdhsa_float_denorm_mode_16_64 3
		.amdhsa_dx10_clamp 1
		.amdhsa_ieee_mode 1
		.amdhsa_fp16_overflow 0
		.amdhsa_tg_split 0
		.amdhsa_exception_fp_ieee_invalid_op 0
		.amdhsa_exception_fp_denorm_src 0
		.amdhsa_exception_fp_ieee_div_zero 0
		.amdhsa_exception_fp_ieee_overflow 0
		.amdhsa_exception_fp_ieee_underflow 0
		.amdhsa_exception_fp_ieee_inexact 0
		.amdhsa_exception_int_div_zero 0
	.end_amdhsa_kernel
	.section	.text._ZN7rocprim17ROCPRIM_400000_NS6detail17trampoline_kernelINS0_14default_configENS1_22reduce_config_selectorIbEEZNS1_11reduce_implILb1ES3_N6hipcub16HIPCUB_304000_NS22TransformInputIteratorIb7NonZeroIdEPdlEEPllNS8_6detail34convert_binary_result_type_wrapperINS8_3SumESD_lEEEE10hipError_tPvRmT1_T2_T3_mT4_P12ihipStream_tbEUlT_E1_NS1_11comp_targetILNS1_3genE5ELNS1_11target_archE942ELNS1_3gpuE9ELNS1_3repE0EEENS1_30default_config_static_selectorELNS0_4arch9wavefront6targetE1EEEvSM_,"axG",@progbits,_ZN7rocprim17ROCPRIM_400000_NS6detail17trampoline_kernelINS0_14default_configENS1_22reduce_config_selectorIbEEZNS1_11reduce_implILb1ES3_N6hipcub16HIPCUB_304000_NS22TransformInputIteratorIb7NonZeroIdEPdlEEPllNS8_6detail34convert_binary_result_type_wrapperINS8_3SumESD_lEEEE10hipError_tPvRmT1_T2_T3_mT4_P12ihipStream_tbEUlT_E1_NS1_11comp_targetILNS1_3genE5ELNS1_11target_archE942ELNS1_3gpuE9ELNS1_3repE0EEENS1_30default_config_static_selectorELNS0_4arch9wavefront6targetE1EEEvSM_,comdat
.Lfunc_end313:
	.size	_ZN7rocprim17ROCPRIM_400000_NS6detail17trampoline_kernelINS0_14default_configENS1_22reduce_config_selectorIbEEZNS1_11reduce_implILb1ES3_N6hipcub16HIPCUB_304000_NS22TransformInputIteratorIb7NonZeroIdEPdlEEPllNS8_6detail34convert_binary_result_type_wrapperINS8_3SumESD_lEEEE10hipError_tPvRmT1_T2_T3_mT4_P12ihipStream_tbEUlT_E1_NS1_11comp_targetILNS1_3genE5ELNS1_11target_archE942ELNS1_3gpuE9ELNS1_3repE0EEENS1_30default_config_static_selectorELNS0_4arch9wavefront6targetE1EEEvSM_, .Lfunc_end313-_ZN7rocprim17ROCPRIM_400000_NS6detail17trampoline_kernelINS0_14default_configENS1_22reduce_config_selectorIbEEZNS1_11reduce_implILb1ES3_N6hipcub16HIPCUB_304000_NS22TransformInputIteratorIb7NonZeroIdEPdlEEPllNS8_6detail34convert_binary_result_type_wrapperINS8_3SumESD_lEEEE10hipError_tPvRmT1_T2_T3_mT4_P12ihipStream_tbEUlT_E1_NS1_11comp_targetILNS1_3genE5ELNS1_11target_archE942ELNS1_3gpuE9ELNS1_3repE0EEENS1_30default_config_static_selectorELNS0_4arch9wavefront6targetE1EEEvSM_
                                        ; -- End function
	.set _ZN7rocprim17ROCPRIM_400000_NS6detail17trampoline_kernelINS0_14default_configENS1_22reduce_config_selectorIbEEZNS1_11reduce_implILb1ES3_N6hipcub16HIPCUB_304000_NS22TransformInputIteratorIb7NonZeroIdEPdlEEPllNS8_6detail34convert_binary_result_type_wrapperINS8_3SumESD_lEEEE10hipError_tPvRmT1_T2_T3_mT4_P12ihipStream_tbEUlT_E1_NS1_11comp_targetILNS1_3genE5ELNS1_11target_archE942ELNS1_3gpuE9ELNS1_3repE0EEENS1_30default_config_static_selectorELNS0_4arch9wavefront6targetE1EEEvSM_.num_vgpr, 0
	.set _ZN7rocprim17ROCPRIM_400000_NS6detail17trampoline_kernelINS0_14default_configENS1_22reduce_config_selectorIbEEZNS1_11reduce_implILb1ES3_N6hipcub16HIPCUB_304000_NS22TransformInputIteratorIb7NonZeroIdEPdlEEPllNS8_6detail34convert_binary_result_type_wrapperINS8_3SumESD_lEEEE10hipError_tPvRmT1_T2_T3_mT4_P12ihipStream_tbEUlT_E1_NS1_11comp_targetILNS1_3genE5ELNS1_11target_archE942ELNS1_3gpuE9ELNS1_3repE0EEENS1_30default_config_static_selectorELNS0_4arch9wavefront6targetE1EEEvSM_.num_agpr, 0
	.set _ZN7rocprim17ROCPRIM_400000_NS6detail17trampoline_kernelINS0_14default_configENS1_22reduce_config_selectorIbEEZNS1_11reduce_implILb1ES3_N6hipcub16HIPCUB_304000_NS22TransformInputIteratorIb7NonZeroIdEPdlEEPllNS8_6detail34convert_binary_result_type_wrapperINS8_3SumESD_lEEEE10hipError_tPvRmT1_T2_T3_mT4_P12ihipStream_tbEUlT_E1_NS1_11comp_targetILNS1_3genE5ELNS1_11target_archE942ELNS1_3gpuE9ELNS1_3repE0EEENS1_30default_config_static_selectorELNS0_4arch9wavefront6targetE1EEEvSM_.numbered_sgpr, 0
	.set _ZN7rocprim17ROCPRIM_400000_NS6detail17trampoline_kernelINS0_14default_configENS1_22reduce_config_selectorIbEEZNS1_11reduce_implILb1ES3_N6hipcub16HIPCUB_304000_NS22TransformInputIteratorIb7NonZeroIdEPdlEEPllNS8_6detail34convert_binary_result_type_wrapperINS8_3SumESD_lEEEE10hipError_tPvRmT1_T2_T3_mT4_P12ihipStream_tbEUlT_E1_NS1_11comp_targetILNS1_3genE5ELNS1_11target_archE942ELNS1_3gpuE9ELNS1_3repE0EEENS1_30default_config_static_selectorELNS0_4arch9wavefront6targetE1EEEvSM_.num_named_barrier, 0
	.set _ZN7rocprim17ROCPRIM_400000_NS6detail17trampoline_kernelINS0_14default_configENS1_22reduce_config_selectorIbEEZNS1_11reduce_implILb1ES3_N6hipcub16HIPCUB_304000_NS22TransformInputIteratorIb7NonZeroIdEPdlEEPllNS8_6detail34convert_binary_result_type_wrapperINS8_3SumESD_lEEEE10hipError_tPvRmT1_T2_T3_mT4_P12ihipStream_tbEUlT_E1_NS1_11comp_targetILNS1_3genE5ELNS1_11target_archE942ELNS1_3gpuE9ELNS1_3repE0EEENS1_30default_config_static_selectorELNS0_4arch9wavefront6targetE1EEEvSM_.private_seg_size, 0
	.set _ZN7rocprim17ROCPRIM_400000_NS6detail17trampoline_kernelINS0_14default_configENS1_22reduce_config_selectorIbEEZNS1_11reduce_implILb1ES3_N6hipcub16HIPCUB_304000_NS22TransformInputIteratorIb7NonZeroIdEPdlEEPllNS8_6detail34convert_binary_result_type_wrapperINS8_3SumESD_lEEEE10hipError_tPvRmT1_T2_T3_mT4_P12ihipStream_tbEUlT_E1_NS1_11comp_targetILNS1_3genE5ELNS1_11target_archE942ELNS1_3gpuE9ELNS1_3repE0EEENS1_30default_config_static_selectorELNS0_4arch9wavefront6targetE1EEEvSM_.uses_vcc, 0
	.set _ZN7rocprim17ROCPRIM_400000_NS6detail17trampoline_kernelINS0_14default_configENS1_22reduce_config_selectorIbEEZNS1_11reduce_implILb1ES3_N6hipcub16HIPCUB_304000_NS22TransformInputIteratorIb7NonZeroIdEPdlEEPllNS8_6detail34convert_binary_result_type_wrapperINS8_3SumESD_lEEEE10hipError_tPvRmT1_T2_T3_mT4_P12ihipStream_tbEUlT_E1_NS1_11comp_targetILNS1_3genE5ELNS1_11target_archE942ELNS1_3gpuE9ELNS1_3repE0EEENS1_30default_config_static_selectorELNS0_4arch9wavefront6targetE1EEEvSM_.uses_flat_scratch, 0
	.set _ZN7rocprim17ROCPRIM_400000_NS6detail17trampoline_kernelINS0_14default_configENS1_22reduce_config_selectorIbEEZNS1_11reduce_implILb1ES3_N6hipcub16HIPCUB_304000_NS22TransformInputIteratorIb7NonZeroIdEPdlEEPllNS8_6detail34convert_binary_result_type_wrapperINS8_3SumESD_lEEEE10hipError_tPvRmT1_T2_T3_mT4_P12ihipStream_tbEUlT_E1_NS1_11comp_targetILNS1_3genE5ELNS1_11target_archE942ELNS1_3gpuE9ELNS1_3repE0EEENS1_30default_config_static_selectorELNS0_4arch9wavefront6targetE1EEEvSM_.has_dyn_sized_stack, 0
	.set _ZN7rocprim17ROCPRIM_400000_NS6detail17trampoline_kernelINS0_14default_configENS1_22reduce_config_selectorIbEEZNS1_11reduce_implILb1ES3_N6hipcub16HIPCUB_304000_NS22TransformInputIteratorIb7NonZeroIdEPdlEEPllNS8_6detail34convert_binary_result_type_wrapperINS8_3SumESD_lEEEE10hipError_tPvRmT1_T2_T3_mT4_P12ihipStream_tbEUlT_E1_NS1_11comp_targetILNS1_3genE5ELNS1_11target_archE942ELNS1_3gpuE9ELNS1_3repE0EEENS1_30default_config_static_selectorELNS0_4arch9wavefront6targetE1EEEvSM_.has_recursion, 0
	.set _ZN7rocprim17ROCPRIM_400000_NS6detail17trampoline_kernelINS0_14default_configENS1_22reduce_config_selectorIbEEZNS1_11reduce_implILb1ES3_N6hipcub16HIPCUB_304000_NS22TransformInputIteratorIb7NonZeroIdEPdlEEPllNS8_6detail34convert_binary_result_type_wrapperINS8_3SumESD_lEEEE10hipError_tPvRmT1_T2_T3_mT4_P12ihipStream_tbEUlT_E1_NS1_11comp_targetILNS1_3genE5ELNS1_11target_archE942ELNS1_3gpuE9ELNS1_3repE0EEENS1_30default_config_static_selectorELNS0_4arch9wavefront6targetE1EEEvSM_.has_indirect_call, 0
	.section	.AMDGPU.csdata,"",@progbits
; Kernel info:
; codeLenInByte = 0
; TotalNumSgprs: 6
; NumVgprs: 0
; NumAgprs: 0
; TotalNumVgprs: 0
; ScratchSize: 0
; MemoryBound: 0
; FloatMode: 240
; IeeeMode: 1
; LDSByteSize: 0 bytes/workgroup (compile time only)
; SGPRBlocks: 0
; VGPRBlocks: 0
; NumSGPRsForWavesPerEU: 6
; NumVGPRsForWavesPerEU: 1
; AccumOffset: 4
; Occupancy: 8
; WaveLimiterHint : 0
; COMPUTE_PGM_RSRC2:SCRATCH_EN: 0
; COMPUTE_PGM_RSRC2:USER_SGPR: 2
; COMPUTE_PGM_RSRC2:TRAP_HANDLER: 0
; COMPUTE_PGM_RSRC2:TGID_X_EN: 1
; COMPUTE_PGM_RSRC2:TGID_Y_EN: 0
; COMPUTE_PGM_RSRC2:TGID_Z_EN: 0
; COMPUTE_PGM_RSRC2:TIDIG_COMP_CNT: 0
; COMPUTE_PGM_RSRC3_GFX90A:ACCUM_OFFSET: 0
; COMPUTE_PGM_RSRC3_GFX90A:TG_SPLIT: 0
	.section	.text._ZN7rocprim17ROCPRIM_400000_NS6detail17trampoline_kernelINS0_14default_configENS1_22reduce_config_selectorIbEEZNS1_11reduce_implILb1ES3_N6hipcub16HIPCUB_304000_NS22TransformInputIteratorIb7NonZeroIdEPdlEEPllNS8_6detail34convert_binary_result_type_wrapperINS8_3SumESD_lEEEE10hipError_tPvRmT1_T2_T3_mT4_P12ihipStream_tbEUlT_E1_NS1_11comp_targetILNS1_3genE4ELNS1_11target_archE910ELNS1_3gpuE8ELNS1_3repE0EEENS1_30default_config_static_selectorELNS0_4arch9wavefront6targetE1EEEvSM_,"axG",@progbits,_ZN7rocprim17ROCPRIM_400000_NS6detail17trampoline_kernelINS0_14default_configENS1_22reduce_config_selectorIbEEZNS1_11reduce_implILb1ES3_N6hipcub16HIPCUB_304000_NS22TransformInputIteratorIb7NonZeroIdEPdlEEPllNS8_6detail34convert_binary_result_type_wrapperINS8_3SumESD_lEEEE10hipError_tPvRmT1_T2_T3_mT4_P12ihipStream_tbEUlT_E1_NS1_11comp_targetILNS1_3genE4ELNS1_11target_archE910ELNS1_3gpuE8ELNS1_3repE0EEENS1_30default_config_static_selectorELNS0_4arch9wavefront6targetE1EEEvSM_,comdat
	.protected	_ZN7rocprim17ROCPRIM_400000_NS6detail17trampoline_kernelINS0_14default_configENS1_22reduce_config_selectorIbEEZNS1_11reduce_implILb1ES3_N6hipcub16HIPCUB_304000_NS22TransformInputIteratorIb7NonZeroIdEPdlEEPllNS8_6detail34convert_binary_result_type_wrapperINS8_3SumESD_lEEEE10hipError_tPvRmT1_T2_T3_mT4_P12ihipStream_tbEUlT_E1_NS1_11comp_targetILNS1_3genE4ELNS1_11target_archE910ELNS1_3gpuE8ELNS1_3repE0EEENS1_30default_config_static_selectorELNS0_4arch9wavefront6targetE1EEEvSM_ ; -- Begin function _ZN7rocprim17ROCPRIM_400000_NS6detail17trampoline_kernelINS0_14default_configENS1_22reduce_config_selectorIbEEZNS1_11reduce_implILb1ES3_N6hipcub16HIPCUB_304000_NS22TransformInputIteratorIb7NonZeroIdEPdlEEPllNS8_6detail34convert_binary_result_type_wrapperINS8_3SumESD_lEEEE10hipError_tPvRmT1_T2_T3_mT4_P12ihipStream_tbEUlT_E1_NS1_11comp_targetILNS1_3genE4ELNS1_11target_archE910ELNS1_3gpuE8ELNS1_3repE0EEENS1_30default_config_static_selectorELNS0_4arch9wavefront6targetE1EEEvSM_
	.globl	_ZN7rocprim17ROCPRIM_400000_NS6detail17trampoline_kernelINS0_14default_configENS1_22reduce_config_selectorIbEEZNS1_11reduce_implILb1ES3_N6hipcub16HIPCUB_304000_NS22TransformInputIteratorIb7NonZeroIdEPdlEEPllNS8_6detail34convert_binary_result_type_wrapperINS8_3SumESD_lEEEE10hipError_tPvRmT1_T2_T3_mT4_P12ihipStream_tbEUlT_E1_NS1_11comp_targetILNS1_3genE4ELNS1_11target_archE910ELNS1_3gpuE8ELNS1_3repE0EEENS1_30default_config_static_selectorELNS0_4arch9wavefront6targetE1EEEvSM_
	.p2align	8
	.type	_ZN7rocprim17ROCPRIM_400000_NS6detail17trampoline_kernelINS0_14default_configENS1_22reduce_config_selectorIbEEZNS1_11reduce_implILb1ES3_N6hipcub16HIPCUB_304000_NS22TransformInputIteratorIb7NonZeroIdEPdlEEPllNS8_6detail34convert_binary_result_type_wrapperINS8_3SumESD_lEEEE10hipError_tPvRmT1_T2_T3_mT4_P12ihipStream_tbEUlT_E1_NS1_11comp_targetILNS1_3genE4ELNS1_11target_archE910ELNS1_3gpuE8ELNS1_3repE0EEENS1_30default_config_static_selectorELNS0_4arch9wavefront6targetE1EEEvSM_,@function
_ZN7rocprim17ROCPRIM_400000_NS6detail17trampoline_kernelINS0_14default_configENS1_22reduce_config_selectorIbEEZNS1_11reduce_implILb1ES3_N6hipcub16HIPCUB_304000_NS22TransformInputIteratorIb7NonZeroIdEPdlEEPllNS8_6detail34convert_binary_result_type_wrapperINS8_3SumESD_lEEEE10hipError_tPvRmT1_T2_T3_mT4_P12ihipStream_tbEUlT_E1_NS1_11comp_targetILNS1_3genE4ELNS1_11target_archE910ELNS1_3gpuE8ELNS1_3repE0EEENS1_30default_config_static_selectorELNS0_4arch9wavefront6targetE1EEEvSM_: ; @_ZN7rocprim17ROCPRIM_400000_NS6detail17trampoline_kernelINS0_14default_configENS1_22reduce_config_selectorIbEEZNS1_11reduce_implILb1ES3_N6hipcub16HIPCUB_304000_NS22TransformInputIteratorIb7NonZeroIdEPdlEEPllNS8_6detail34convert_binary_result_type_wrapperINS8_3SumESD_lEEEE10hipError_tPvRmT1_T2_T3_mT4_P12ihipStream_tbEUlT_E1_NS1_11comp_targetILNS1_3genE4ELNS1_11target_archE910ELNS1_3gpuE8ELNS1_3repE0EEENS1_30default_config_static_selectorELNS0_4arch9wavefront6targetE1EEEvSM_
; %bb.0:
	.section	.rodata,"a",@progbits
	.p2align	6, 0x0
	.amdhsa_kernel _ZN7rocprim17ROCPRIM_400000_NS6detail17trampoline_kernelINS0_14default_configENS1_22reduce_config_selectorIbEEZNS1_11reduce_implILb1ES3_N6hipcub16HIPCUB_304000_NS22TransformInputIteratorIb7NonZeroIdEPdlEEPllNS8_6detail34convert_binary_result_type_wrapperINS8_3SumESD_lEEEE10hipError_tPvRmT1_T2_T3_mT4_P12ihipStream_tbEUlT_E1_NS1_11comp_targetILNS1_3genE4ELNS1_11target_archE910ELNS1_3gpuE8ELNS1_3repE0EEENS1_30default_config_static_selectorELNS0_4arch9wavefront6targetE1EEEvSM_
		.amdhsa_group_segment_fixed_size 0
		.amdhsa_private_segment_fixed_size 0
		.amdhsa_kernarg_size 56
		.amdhsa_user_sgpr_count 2
		.amdhsa_user_sgpr_dispatch_ptr 0
		.amdhsa_user_sgpr_queue_ptr 0
		.amdhsa_user_sgpr_kernarg_segment_ptr 1
		.amdhsa_user_sgpr_dispatch_id 0
		.amdhsa_user_sgpr_kernarg_preload_length 0
		.amdhsa_user_sgpr_kernarg_preload_offset 0
		.amdhsa_user_sgpr_private_segment_size 0
		.amdhsa_uses_dynamic_stack 0
		.amdhsa_enable_private_segment 0
		.amdhsa_system_sgpr_workgroup_id_x 1
		.amdhsa_system_sgpr_workgroup_id_y 0
		.amdhsa_system_sgpr_workgroup_id_z 0
		.amdhsa_system_sgpr_workgroup_info 0
		.amdhsa_system_vgpr_workitem_id 0
		.amdhsa_next_free_vgpr 1
		.amdhsa_next_free_sgpr 0
		.amdhsa_accum_offset 4
		.amdhsa_reserve_vcc 0
		.amdhsa_float_round_mode_32 0
		.amdhsa_float_round_mode_16_64 0
		.amdhsa_float_denorm_mode_32 3
		.amdhsa_float_denorm_mode_16_64 3
		.amdhsa_dx10_clamp 1
		.amdhsa_ieee_mode 1
		.amdhsa_fp16_overflow 0
		.amdhsa_tg_split 0
		.amdhsa_exception_fp_ieee_invalid_op 0
		.amdhsa_exception_fp_denorm_src 0
		.amdhsa_exception_fp_ieee_div_zero 0
		.amdhsa_exception_fp_ieee_overflow 0
		.amdhsa_exception_fp_ieee_underflow 0
		.amdhsa_exception_fp_ieee_inexact 0
		.amdhsa_exception_int_div_zero 0
	.end_amdhsa_kernel
	.section	.text._ZN7rocprim17ROCPRIM_400000_NS6detail17trampoline_kernelINS0_14default_configENS1_22reduce_config_selectorIbEEZNS1_11reduce_implILb1ES3_N6hipcub16HIPCUB_304000_NS22TransformInputIteratorIb7NonZeroIdEPdlEEPllNS8_6detail34convert_binary_result_type_wrapperINS8_3SumESD_lEEEE10hipError_tPvRmT1_T2_T3_mT4_P12ihipStream_tbEUlT_E1_NS1_11comp_targetILNS1_3genE4ELNS1_11target_archE910ELNS1_3gpuE8ELNS1_3repE0EEENS1_30default_config_static_selectorELNS0_4arch9wavefront6targetE1EEEvSM_,"axG",@progbits,_ZN7rocprim17ROCPRIM_400000_NS6detail17trampoline_kernelINS0_14default_configENS1_22reduce_config_selectorIbEEZNS1_11reduce_implILb1ES3_N6hipcub16HIPCUB_304000_NS22TransformInputIteratorIb7NonZeroIdEPdlEEPllNS8_6detail34convert_binary_result_type_wrapperINS8_3SumESD_lEEEE10hipError_tPvRmT1_T2_T3_mT4_P12ihipStream_tbEUlT_E1_NS1_11comp_targetILNS1_3genE4ELNS1_11target_archE910ELNS1_3gpuE8ELNS1_3repE0EEENS1_30default_config_static_selectorELNS0_4arch9wavefront6targetE1EEEvSM_,comdat
.Lfunc_end314:
	.size	_ZN7rocprim17ROCPRIM_400000_NS6detail17trampoline_kernelINS0_14default_configENS1_22reduce_config_selectorIbEEZNS1_11reduce_implILb1ES3_N6hipcub16HIPCUB_304000_NS22TransformInputIteratorIb7NonZeroIdEPdlEEPllNS8_6detail34convert_binary_result_type_wrapperINS8_3SumESD_lEEEE10hipError_tPvRmT1_T2_T3_mT4_P12ihipStream_tbEUlT_E1_NS1_11comp_targetILNS1_3genE4ELNS1_11target_archE910ELNS1_3gpuE8ELNS1_3repE0EEENS1_30default_config_static_selectorELNS0_4arch9wavefront6targetE1EEEvSM_, .Lfunc_end314-_ZN7rocprim17ROCPRIM_400000_NS6detail17trampoline_kernelINS0_14default_configENS1_22reduce_config_selectorIbEEZNS1_11reduce_implILb1ES3_N6hipcub16HIPCUB_304000_NS22TransformInputIteratorIb7NonZeroIdEPdlEEPllNS8_6detail34convert_binary_result_type_wrapperINS8_3SumESD_lEEEE10hipError_tPvRmT1_T2_T3_mT4_P12ihipStream_tbEUlT_E1_NS1_11comp_targetILNS1_3genE4ELNS1_11target_archE910ELNS1_3gpuE8ELNS1_3repE0EEENS1_30default_config_static_selectorELNS0_4arch9wavefront6targetE1EEEvSM_
                                        ; -- End function
	.set _ZN7rocprim17ROCPRIM_400000_NS6detail17trampoline_kernelINS0_14default_configENS1_22reduce_config_selectorIbEEZNS1_11reduce_implILb1ES3_N6hipcub16HIPCUB_304000_NS22TransformInputIteratorIb7NonZeroIdEPdlEEPllNS8_6detail34convert_binary_result_type_wrapperINS8_3SumESD_lEEEE10hipError_tPvRmT1_T2_T3_mT4_P12ihipStream_tbEUlT_E1_NS1_11comp_targetILNS1_3genE4ELNS1_11target_archE910ELNS1_3gpuE8ELNS1_3repE0EEENS1_30default_config_static_selectorELNS0_4arch9wavefront6targetE1EEEvSM_.num_vgpr, 0
	.set _ZN7rocprim17ROCPRIM_400000_NS6detail17trampoline_kernelINS0_14default_configENS1_22reduce_config_selectorIbEEZNS1_11reduce_implILb1ES3_N6hipcub16HIPCUB_304000_NS22TransformInputIteratorIb7NonZeroIdEPdlEEPllNS8_6detail34convert_binary_result_type_wrapperINS8_3SumESD_lEEEE10hipError_tPvRmT1_T2_T3_mT4_P12ihipStream_tbEUlT_E1_NS1_11comp_targetILNS1_3genE4ELNS1_11target_archE910ELNS1_3gpuE8ELNS1_3repE0EEENS1_30default_config_static_selectorELNS0_4arch9wavefront6targetE1EEEvSM_.num_agpr, 0
	.set _ZN7rocprim17ROCPRIM_400000_NS6detail17trampoline_kernelINS0_14default_configENS1_22reduce_config_selectorIbEEZNS1_11reduce_implILb1ES3_N6hipcub16HIPCUB_304000_NS22TransformInputIteratorIb7NonZeroIdEPdlEEPllNS8_6detail34convert_binary_result_type_wrapperINS8_3SumESD_lEEEE10hipError_tPvRmT1_T2_T3_mT4_P12ihipStream_tbEUlT_E1_NS1_11comp_targetILNS1_3genE4ELNS1_11target_archE910ELNS1_3gpuE8ELNS1_3repE0EEENS1_30default_config_static_selectorELNS0_4arch9wavefront6targetE1EEEvSM_.numbered_sgpr, 0
	.set _ZN7rocprim17ROCPRIM_400000_NS6detail17trampoline_kernelINS0_14default_configENS1_22reduce_config_selectorIbEEZNS1_11reduce_implILb1ES3_N6hipcub16HIPCUB_304000_NS22TransformInputIteratorIb7NonZeroIdEPdlEEPllNS8_6detail34convert_binary_result_type_wrapperINS8_3SumESD_lEEEE10hipError_tPvRmT1_T2_T3_mT4_P12ihipStream_tbEUlT_E1_NS1_11comp_targetILNS1_3genE4ELNS1_11target_archE910ELNS1_3gpuE8ELNS1_3repE0EEENS1_30default_config_static_selectorELNS0_4arch9wavefront6targetE1EEEvSM_.num_named_barrier, 0
	.set _ZN7rocprim17ROCPRIM_400000_NS6detail17trampoline_kernelINS0_14default_configENS1_22reduce_config_selectorIbEEZNS1_11reduce_implILb1ES3_N6hipcub16HIPCUB_304000_NS22TransformInputIteratorIb7NonZeroIdEPdlEEPllNS8_6detail34convert_binary_result_type_wrapperINS8_3SumESD_lEEEE10hipError_tPvRmT1_T2_T3_mT4_P12ihipStream_tbEUlT_E1_NS1_11comp_targetILNS1_3genE4ELNS1_11target_archE910ELNS1_3gpuE8ELNS1_3repE0EEENS1_30default_config_static_selectorELNS0_4arch9wavefront6targetE1EEEvSM_.private_seg_size, 0
	.set _ZN7rocprim17ROCPRIM_400000_NS6detail17trampoline_kernelINS0_14default_configENS1_22reduce_config_selectorIbEEZNS1_11reduce_implILb1ES3_N6hipcub16HIPCUB_304000_NS22TransformInputIteratorIb7NonZeroIdEPdlEEPllNS8_6detail34convert_binary_result_type_wrapperINS8_3SumESD_lEEEE10hipError_tPvRmT1_T2_T3_mT4_P12ihipStream_tbEUlT_E1_NS1_11comp_targetILNS1_3genE4ELNS1_11target_archE910ELNS1_3gpuE8ELNS1_3repE0EEENS1_30default_config_static_selectorELNS0_4arch9wavefront6targetE1EEEvSM_.uses_vcc, 0
	.set _ZN7rocprim17ROCPRIM_400000_NS6detail17trampoline_kernelINS0_14default_configENS1_22reduce_config_selectorIbEEZNS1_11reduce_implILb1ES3_N6hipcub16HIPCUB_304000_NS22TransformInputIteratorIb7NonZeroIdEPdlEEPllNS8_6detail34convert_binary_result_type_wrapperINS8_3SumESD_lEEEE10hipError_tPvRmT1_T2_T3_mT4_P12ihipStream_tbEUlT_E1_NS1_11comp_targetILNS1_3genE4ELNS1_11target_archE910ELNS1_3gpuE8ELNS1_3repE0EEENS1_30default_config_static_selectorELNS0_4arch9wavefront6targetE1EEEvSM_.uses_flat_scratch, 0
	.set _ZN7rocprim17ROCPRIM_400000_NS6detail17trampoline_kernelINS0_14default_configENS1_22reduce_config_selectorIbEEZNS1_11reduce_implILb1ES3_N6hipcub16HIPCUB_304000_NS22TransformInputIteratorIb7NonZeroIdEPdlEEPllNS8_6detail34convert_binary_result_type_wrapperINS8_3SumESD_lEEEE10hipError_tPvRmT1_T2_T3_mT4_P12ihipStream_tbEUlT_E1_NS1_11comp_targetILNS1_3genE4ELNS1_11target_archE910ELNS1_3gpuE8ELNS1_3repE0EEENS1_30default_config_static_selectorELNS0_4arch9wavefront6targetE1EEEvSM_.has_dyn_sized_stack, 0
	.set _ZN7rocprim17ROCPRIM_400000_NS6detail17trampoline_kernelINS0_14default_configENS1_22reduce_config_selectorIbEEZNS1_11reduce_implILb1ES3_N6hipcub16HIPCUB_304000_NS22TransformInputIteratorIb7NonZeroIdEPdlEEPllNS8_6detail34convert_binary_result_type_wrapperINS8_3SumESD_lEEEE10hipError_tPvRmT1_T2_T3_mT4_P12ihipStream_tbEUlT_E1_NS1_11comp_targetILNS1_3genE4ELNS1_11target_archE910ELNS1_3gpuE8ELNS1_3repE0EEENS1_30default_config_static_selectorELNS0_4arch9wavefront6targetE1EEEvSM_.has_recursion, 0
	.set _ZN7rocprim17ROCPRIM_400000_NS6detail17trampoline_kernelINS0_14default_configENS1_22reduce_config_selectorIbEEZNS1_11reduce_implILb1ES3_N6hipcub16HIPCUB_304000_NS22TransformInputIteratorIb7NonZeroIdEPdlEEPllNS8_6detail34convert_binary_result_type_wrapperINS8_3SumESD_lEEEE10hipError_tPvRmT1_T2_T3_mT4_P12ihipStream_tbEUlT_E1_NS1_11comp_targetILNS1_3genE4ELNS1_11target_archE910ELNS1_3gpuE8ELNS1_3repE0EEENS1_30default_config_static_selectorELNS0_4arch9wavefront6targetE1EEEvSM_.has_indirect_call, 0
	.section	.AMDGPU.csdata,"",@progbits
; Kernel info:
; codeLenInByte = 0
; TotalNumSgprs: 6
; NumVgprs: 0
; NumAgprs: 0
; TotalNumVgprs: 0
; ScratchSize: 0
; MemoryBound: 0
; FloatMode: 240
; IeeeMode: 1
; LDSByteSize: 0 bytes/workgroup (compile time only)
; SGPRBlocks: 0
; VGPRBlocks: 0
; NumSGPRsForWavesPerEU: 6
; NumVGPRsForWavesPerEU: 1
; AccumOffset: 4
; Occupancy: 8
; WaveLimiterHint : 0
; COMPUTE_PGM_RSRC2:SCRATCH_EN: 0
; COMPUTE_PGM_RSRC2:USER_SGPR: 2
; COMPUTE_PGM_RSRC2:TRAP_HANDLER: 0
; COMPUTE_PGM_RSRC2:TGID_X_EN: 1
; COMPUTE_PGM_RSRC2:TGID_Y_EN: 0
; COMPUTE_PGM_RSRC2:TGID_Z_EN: 0
; COMPUTE_PGM_RSRC2:TIDIG_COMP_CNT: 0
; COMPUTE_PGM_RSRC3_GFX90A:ACCUM_OFFSET: 0
; COMPUTE_PGM_RSRC3_GFX90A:TG_SPLIT: 0
	.section	.text._ZN7rocprim17ROCPRIM_400000_NS6detail17trampoline_kernelINS0_14default_configENS1_22reduce_config_selectorIbEEZNS1_11reduce_implILb1ES3_N6hipcub16HIPCUB_304000_NS22TransformInputIteratorIb7NonZeroIdEPdlEEPllNS8_6detail34convert_binary_result_type_wrapperINS8_3SumESD_lEEEE10hipError_tPvRmT1_T2_T3_mT4_P12ihipStream_tbEUlT_E1_NS1_11comp_targetILNS1_3genE3ELNS1_11target_archE908ELNS1_3gpuE7ELNS1_3repE0EEENS1_30default_config_static_selectorELNS0_4arch9wavefront6targetE1EEEvSM_,"axG",@progbits,_ZN7rocprim17ROCPRIM_400000_NS6detail17trampoline_kernelINS0_14default_configENS1_22reduce_config_selectorIbEEZNS1_11reduce_implILb1ES3_N6hipcub16HIPCUB_304000_NS22TransformInputIteratorIb7NonZeroIdEPdlEEPllNS8_6detail34convert_binary_result_type_wrapperINS8_3SumESD_lEEEE10hipError_tPvRmT1_T2_T3_mT4_P12ihipStream_tbEUlT_E1_NS1_11comp_targetILNS1_3genE3ELNS1_11target_archE908ELNS1_3gpuE7ELNS1_3repE0EEENS1_30default_config_static_selectorELNS0_4arch9wavefront6targetE1EEEvSM_,comdat
	.protected	_ZN7rocprim17ROCPRIM_400000_NS6detail17trampoline_kernelINS0_14default_configENS1_22reduce_config_selectorIbEEZNS1_11reduce_implILb1ES3_N6hipcub16HIPCUB_304000_NS22TransformInputIteratorIb7NonZeroIdEPdlEEPllNS8_6detail34convert_binary_result_type_wrapperINS8_3SumESD_lEEEE10hipError_tPvRmT1_T2_T3_mT4_P12ihipStream_tbEUlT_E1_NS1_11comp_targetILNS1_3genE3ELNS1_11target_archE908ELNS1_3gpuE7ELNS1_3repE0EEENS1_30default_config_static_selectorELNS0_4arch9wavefront6targetE1EEEvSM_ ; -- Begin function _ZN7rocprim17ROCPRIM_400000_NS6detail17trampoline_kernelINS0_14default_configENS1_22reduce_config_selectorIbEEZNS1_11reduce_implILb1ES3_N6hipcub16HIPCUB_304000_NS22TransformInputIteratorIb7NonZeroIdEPdlEEPllNS8_6detail34convert_binary_result_type_wrapperINS8_3SumESD_lEEEE10hipError_tPvRmT1_T2_T3_mT4_P12ihipStream_tbEUlT_E1_NS1_11comp_targetILNS1_3genE3ELNS1_11target_archE908ELNS1_3gpuE7ELNS1_3repE0EEENS1_30default_config_static_selectorELNS0_4arch9wavefront6targetE1EEEvSM_
	.globl	_ZN7rocprim17ROCPRIM_400000_NS6detail17trampoline_kernelINS0_14default_configENS1_22reduce_config_selectorIbEEZNS1_11reduce_implILb1ES3_N6hipcub16HIPCUB_304000_NS22TransformInputIteratorIb7NonZeroIdEPdlEEPllNS8_6detail34convert_binary_result_type_wrapperINS8_3SumESD_lEEEE10hipError_tPvRmT1_T2_T3_mT4_P12ihipStream_tbEUlT_E1_NS1_11comp_targetILNS1_3genE3ELNS1_11target_archE908ELNS1_3gpuE7ELNS1_3repE0EEENS1_30default_config_static_selectorELNS0_4arch9wavefront6targetE1EEEvSM_
	.p2align	8
	.type	_ZN7rocprim17ROCPRIM_400000_NS6detail17trampoline_kernelINS0_14default_configENS1_22reduce_config_selectorIbEEZNS1_11reduce_implILb1ES3_N6hipcub16HIPCUB_304000_NS22TransformInputIteratorIb7NonZeroIdEPdlEEPllNS8_6detail34convert_binary_result_type_wrapperINS8_3SumESD_lEEEE10hipError_tPvRmT1_T2_T3_mT4_P12ihipStream_tbEUlT_E1_NS1_11comp_targetILNS1_3genE3ELNS1_11target_archE908ELNS1_3gpuE7ELNS1_3repE0EEENS1_30default_config_static_selectorELNS0_4arch9wavefront6targetE1EEEvSM_,@function
_ZN7rocprim17ROCPRIM_400000_NS6detail17trampoline_kernelINS0_14default_configENS1_22reduce_config_selectorIbEEZNS1_11reduce_implILb1ES3_N6hipcub16HIPCUB_304000_NS22TransformInputIteratorIb7NonZeroIdEPdlEEPllNS8_6detail34convert_binary_result_type_wrapperINS8_3SumESD_lEEEE10hipError_tPvRmT1_T2_T3_mT4_P12ihipStream_tbEUlT_E1_NS1_11comp_targetILNS1_3genE3ELNS1_11target_archE908ELNS1_3gpuE7ELNS1_3repE0EEENS1_30default_config_static_selectorELNS0_4arch9wavefront6targetE1EEEvSM_: ; @_ZN7rocprim17ROCPRIM_400000_NS6detail17trampoline_kernelINS0_14default_configENS1_22reduce_config_selectorIbEEZNS1_11reduce_implILb1ES3_N6hipcub16HIPCUB_304000_NS22TransformInputIteratorIb7NonZeroIdEPdlEEPllNS8_6detail34convert_binary_result_type_wrapperINS8_3SumESD_lEEEE10hipError_tPvRmT1_T2_T3_mT4_P12ihipStream_tbEUlT_E1_NS1_11comp_targetILNS1_3genE3ELNS1_11target_archE908ELNS1_3gpuE7ELNS1_3repE0EEENS1_30default_config_static_selectorELNS0_4arch9wavefront6targetE1EEEvSM_
; %bb.0:
	.section	.rodata,"a",@progbits
	.p2align	6, 0x0
	.amdhsa_kernel _ZN7rocprim17ROCPRIM_400000_NS6detail17trampoline_kernelINS0_14default_configENS1_22reduce_config_selectorIbEEZNS1_11reduce_implILb1ES3_N6hipcub16HIPCUB_304000_NS22TransformInputIteratorIb7NonZeroIdEPdlEEPllNS8_6detail34convert_binary_result_type_wrapperINS8_3SumESD_lEEEE10hipError_tPvRmT1_T2_T3_mT4_P12ihipStream_tbEUlT_E1_NS1_11comp_targetILNS1_3genE3ELNS1_11target_archE908ELNS1_3gpuE7ELNS1_3repE0EEENS1_30default_config_static_selectorELNS0_4arch9wavefront6targetE1EEEvSM_
		.amdhsa_group_segment_fixed_size 0
		.amdhsa_private_segment_fixed_size 0
		.amdhsa_kernarg_size 56
		.amdhsa_user_sgpr_count 2
		.amdhsa_user_sgpr_dispatch_ptr 0
		.amdhsa_user_sgpr_queue_ptr 0
		.amdhsa_user_sgpr_kernarg_segment_ptr 1
		.amdhsa_user_sgpr_dispatch_id 0
		.amdhsa_user_sgpr_kernarg_preload_length 0
		.amdhsa_user_sgpr_kernarg_preload_offset 0
		.amdhsa_user_sgpr_private_segment_size 0
		.amdhsa_uses_dynamic_stack 0
		.amdhsa_enable_private_segment 0
		.amdhsa_system_sgpr_workgroup_id_x 1
		.amdhsa_system_sgpr_workgroup_id_y 0
		.amdhsa_system_sgpr_workgroup_id_z 0
		.amdhsa_system_sgpr_workgroup_info 0
		.amdhsa_system_vgpr_workitem_id 0
		.amdhsa_next_free_vgpr 1
		.amdhsa_next_free_sgpr 0
		.amdhsa_accum_offset 4
		.amdhsa_reserve_vcc 0
		.amdhsa_float_round_mode_32 0
		.amdhsa_float_round_mode_16_64 0
		.amdhsa_float_denorm_mode_32 3
		.amdhsa_float_denorm_mode_16_64 3
		.amdhsa_dx10_clamp 1
		.amdhsa_ieee_mode 1
		.amdhsa_fp16_overflow 0
		.amdhsa_tg_split 0
		.amdhsa_exception_fp_ieee_invalid_op 0
		.amdhsa_exception_fp_denorm_src 0
		.amdhsa_exception_fp_ieee_div_zero 0
		.amdhsa_exception_fp_ieee_overflow 0
		.amdhsa_exception_fp_ieee_underflow 0
		.amdhsa_exception_fp_ieee_inexact 0
		.amdhsa_exception_int_div_zero 0
	.end_amdhsa_kernel
	.section	.text._ZN7rocprim17ROCPRIM_400000_NS6detail17trampoline_kernelINS0_14default_configENS1_22reduce_config_selectorIbEEZNS1_11reduce_implILb1ES3_N6hipcub16HIPCUB_304000_NS22TransformInputIteratorIb7NonZeroIdEPdlEEPllNS8_6detail34convert_binary_result_type_wrapperINS8_3SumESD_lEEEE10hipError_tPvRmT1_T2_T3_mT4_P12ihipStream_tbEUlT_E1_NS1_11comp_targetILNS1_3genE3ELNS1_11target_archE908ELNS1_3gpuE7ELNS1_3repE0EEENS1_30default_config_static_selectorELNS0_4arch9wavefront6targetE1EEEvSM_,"axG",@progbits,_ZN7rocprim17ROCPRIM_400000_NS6detail17trampoline_kernelINS0_14default_configENS1_22reduce_config_selectorIbEEZNS1_11reduce_implILb1ES3_N6hipcub16HIPCUB_304000_NS22TransformInputIteratorIb7NonZeroIdEPdlEEPllNS8_6detail34convert_binary_result_type_wrapperINS8_3SumESD_lEEEE10hipError_tPvRmT1_T2_T3_mT4_P12ihipStream_tbEUlT_E1_NS1_11comp_targetILNS1_3genE3ELNS1_11target_archE908ELNS1_3gpuE7ELNS1_3repE0EEENS1_30default_config_static_selectorELNS0_4arch9wavefront6targetE1EEEvSM_,comdat
.Lfunc_end315:
	.size	_ZN7rocprim17ROCPRIM_400000_NS6detail17trampoline_kernelINS0_14default_configENS1_22reduce_config_selectorIbEEZNS1_11reduce_implILb1ES3_N6hipcub16HIPCUB_304000_NS22TransformInputIteratorIb7NonZeroIdEPdlEEPllNS8_6detail34convert_binary_result_type_wrapperINS8_3SumESD_lEEEE10hipError_tPvRmT1_T2_T3_mT4_P12ihipStream_tbEUlT_E1_NS1_11comp_targetILNS1_3genE3ELNS1_11target_archE908ELNS1_3gpuE7ELNS1_3repE0EEENS1_30default_config_static_selectorELNS0_4arch9wavefront6targetE1EEEvSM_, .Lfunc_end315-_ZN7rocprim17ROCPRIM_400000_NS6detail17trampoline_kernelINS0_14default_configENS1_22reduce_config_selectorIbEEZNS1_11reduce_implILb1ES3_N6hipcub16HIPCUB_304000_NS22TransformInputIteratorIb7NonZeroIdEPdlEEPllNS8_6detail34convert_binary_result_type_wrapperINS8_3SumESD_lEEEE10hipError_tPvRmT1_T2_T3_mT4_P12ihipStream_tbEUlT_E1_NS1_11comp_targetILNS1_3genE3ELNS1_11target_archE908ELNS1_3gpuE7ELNS1_3repE0EEENS1_30default_config_static_selectorELNS0_4arch9wavefront6targetE1EEEvSM_
                                        ; -- End function
	.set _ZN7rocprim17ROCPRIM_400000_NS6detail17trampoline_kernelINS0_14default_configENS1_22reduce_config_selectorIbEEZNS1_11reduce_implILb1ES3_N6hipcub16HIPCUB_304000_NS22TransformInputIteratorIb7NonZeroIdEPdlEEPllNS8_6detail34convert_binary_result_type_wrapperINS8_3SumESD_lEEEE10hipError_tPvRmT1_T2_T3_mT4_P12ihipStream_tbEUlT_E1_NS1_11comp_targetILNS1_3genE3ELNS1_11target_archE908ELNS1_3gpuE7ELNS1_3repE0EEENS1_30default_config_static_selectorELNS0_4arch9wavefront6targetE1EEEvSM_.num_vgpr, 0
	.set _ZN7rocprim17ROCPRIM_400000_NS6detail17trampoline_kernelINS0_14default_configENS1_22reduce_config_selectorIbEEZNS1_11reduce_implILb1ES3_N6hipcub16HIPCUB_304000_NS22TransformInputIteratorIb7NonZeroIdEPdlEEPllNS8_6detail34convert_binary_result_type_wrapperINS8_3SumESD_lEEEE10hipError_tPvRmT1_T2_T3_mT4_P12ihipStream_tbEUlT_E1_NS1_11comp_targetILNS1_3genE3ELNS1_11target_archE908ELNS1_3gpuE7ELNS1_3repE0EEENS1_30default_config_static_selectorELNS0_4arch9wavefront6targetE1EEEvSM_.num_agpr, 0
	.set _ZN7rocprim17ROCPRIM_400000_NS6detail17trampoline_kernelINS0_14default_configENS1_22reduce_config_selectorIbEEZNS1_11reduce_implILb1ES3_N6hipcub16HIPCUB_304000_NS22TransformInputIteratorIb7NonZeroIdEPdlEEPllNS8_6detail34convert_binary_result_type_wrapperINS8_3SumESD_lEEEE10hipError_tPvRmT1_T2_T3_mT4_P12ihipStream_tbEUlT_E1_NS1_11comp_targetILNS1_3genE3ELNS1_11target_archE908ELNS1_3gpuE7ELNS1_3repE0EEENS1_30default_config_static_selectorELNS0_4arch9wavefront6targetE1EEEvSM_.numbered_sgpr, 0
	.set _ZN7rocprim17ROCPRIM_400000_NS6detail17trampoline_kernelINS0_14default_configENS1_22reduce_config_selectorIbEEZNS1_11reduce_implILb1ES3_N6hipcub16HIPCUB_304000_NS22TransformInputIteratorIb7NonZeroIdEPdlEEPllNS8_6detail34convert_binary_result_type_wrapperINS8_3SumESD_lEEEE10hipError_tPvRmT1_T2_T3_mT4_P12ihipStream_tbEUlT_E1_NS1_11comp_targetILNS1_3genE3ELNS1_11target_archE908ELNS1_3gpuE7ELNS1_3repE0EEENS1_30default_config_static_selectorELNS0_4arch9wavefront6targetE1EEEvSM_.num_named_barrier, 0
	.set _ZN7rocprim17ROCPRIM_400000_NS6detail17trampoline_kernelINS0_14default_configENS1_22reduce_config_selectorIbEEZNS1_11reduce_implILb1ES3_N6hipcub16HIPCUB_304000_NS22TransformInputIteratorIb7NonZeroIdEPdlEEPllNS8_6detail34convert_binary_result_type_wrapperINS8_3SumESD_lEEEE10hipError_tPvRmT1_T2_T3_mT4_P12ihipStream_tbEUlT_E1_NS1_11comp_targetILNS1_3genE3ELNS1_11target_archE908ELNS1_3gpuE7ELNS1_3repE0EEENS1_30default_config_static_selectorELNS0_4arch9wavefront6targetE1EEEvSM_.private_seg_size, 0
	.set _ZN7rocprim17ROCPRIM_400000_NS6detail17trampoline_kernelINS0_14default_configENS1_22reduce_config_selectorIbEEZNS1_11reduce_implILb1ES3_N6hipcub16HIPCUB_304000_NS22TransformInputIteratorIb7NonZeroIdEPdlEEPllNS8_6detail34convert_binary_result_type_wrapperINS8_3SumESD_lEEEE10hipError_tPvRmT1_T2_T3_mT4_P12ihipStream_tbEUlT_E1_NS1_11comp_targetILNS1_3genE3ELNS1_11target_archE908ELNS1_3gpuE7ELNS1_3repE0EEENS1_30default_config_static_selectorELNS0_4arch9wavefront6targetE1EEEvSM_.uses_vcc, 0
	.set _ZN7rocprim17ROCPRIM_400000_NS6detail17trampoline_kernelINS0_14default_configENS1_22reduce_config_selectorIbEEZNS1_11reduce_implILb1ES3_N6hipcub16HIPCUB_304000_NS22TransformInputIteratorIb7NonZeroIdEPdlEEPllNS8_6detail34convert_binary_result_type_wrapperINS8_3SumESD_lEEEE10hipError_tPvRmT1_T2_T3_mT4_P12ihipStream_tbEUlT_E1_NS1_11comp_targetILNS1_3genE3ELNS1_11target_archE908ELNS1_3gpuE7ELNS1_3repE0EEENS1_30default_config_static_selectorELNS0_4arch9wavefront6targetE1EEEvSM_.uses_flat_scratch, 0
	.set _ZN7rocprim17ROCPRIM_400000_NS6detail17trampoline_kernelINS0_14default_configENS1_22reduce_config_selectorIbEEZNS1_11reduce_implILb1ES3_N6hipcub16HIPCUB_304000_NS22TransformInputIteratorIb7NonZeroIdEPdlEEPllNS8_6detail34convert_binary_result_type_wrapperINS8_3SumESD_lEEEE10hipError_tPvRmT1_T2_T3_mT4_P12ihipStream_tbEUlT_E1_NS1_11comp_targetILNS1_3genE3ELNS1_11target_archE908ELNS1_3gpuE7ELNS1_3repE0EEENS1_30default_config_static_selectorELNS0_4arch9wavefront6targetE1EEEvSM_.has_dyn_sized_stack, 0
	.set _ZN7rocprim17ROCPRIM_400000_NS6detail17trampoline_kernelINS0_14default_configENS1_22reduce_config_selectorIbEEZNS1_11reduce_implILb1ES3_N6hipcub16HIPCUB_304000_NS22TransformInputIteratorIb7NonZeroIdEPdlEEPllNS8_6detail34convert_binary_result_type_wrapperINS8_3SumESD_lEEEE10hipError_tPvRmT1_T2_T3_mT4_P12ihipStream_tbEUlT_E1_NS1_11comp_targetILNS1_3genE3ELNS1_11target_archE908ELNS1_3gpuE7ELNS1_3repE0EEENS1_30default_config_static_selectorELNS0_4arch9wavefront6targetE1EEEvSM_.has_recursion, 0
	.set _ZN7rocprim17ROCPRIM_400000_NS6detail17trampoline_kernelINS0_14default_configENS1_22reduce_config_selectorIbEEZNS1_11reduce_implILb1ES3_N6hipcub16HIPCUB_304000_NS22TransformInputIteratorIb7NonZeroIdEPdlEEPllNS8_6detail34convert_binary_result_type_wrapperINS8_3SumESD_lEEEE10hipError_tPvRmT1_T2_T3_mT4_P12ihipStream_tbEUlT_E1_NS1_11comp_targetILNS1_3genE3ELNS1_11target_archE908ELNS1_3gpuE7ELNS1_3repE0EEENS1_30default_config_static_selectorELNS0_4arch9wavefront6targetE1EEEvSM_.has_indirect_call, 0
	.section	.AMDGPU.csdata,"",@progbits
; Kernel info:
; codeLenInByte = 0
; TotalNumSgprs: 6
; NumVgprs: 0
; NumAgprs: 0
; TotalNumVgprs: 0
; ScratchSize: 0
; MemoryBound: 0
; FloatMode: 240
; IeeeMode: 1
; LDSByteSize: 0 bytes/workgroup (compile time only)
; SGPRBlocks: 0
; VGPRBlocks: 0
; NumSGPRsForWavesPerEU: 6
; NumVGPRsForWavesPerEU: 1
; AccumOffset: 4
; Occupancy: 8
; WaveLimiterHint : 0
; COMPUTE_PGM_RSRC2:SCRATCH_EN: 0
; COMPUTE_PGM_RSRC2:USER_SGPR: 2
; COMPUTE_PGM_RSRC2:TRAP_HANDLER: 0
; COMPUTE_PGM_RSRC2:TGID_X_EN: 1
; COMPUTE_PGM_RSRC2:TGID_Y_EN: 0
; COMPUTE_PGM_RSRC2:TGID_Z_EN: 0
; COMPUTE_PGM_RSRC2:TIDIG_COMP_CNT: 0
; COMPUTE_PGM_RSRC3_GFX90A:ACCUM_OFFSET: 0
; COMPUTE_PGM_RSRC3_GFX90A:TG_SPLIT: 0
	.section	.text._ZN7rocprim17ROCPRIM_400000_NS6detail17trampoline_kernelINS0_14default_configENS1_22reduce_config_selectorIbEEZNS1_11reduce_implILb1ES3_N6hipcub16HIPCUB_304000_NS22TransformInputIteratorIb7NonZeroIdEPdlEEPllNS8_6detail34convert_binary_result_type_wrapperINS8_3SumESD_lEEEE10hipError_tPvRmT1_T2_T3_mT4_P12ihipStream_tbEUlT_E1_NS1_11comp_targetILNS1_3genE2ELNS1_11target_archE906ELNS1_3gpuE6ELNS1_3repE0EEENS1_30default_config_static_selectorELNS0_4arch9wavefront6targetE1EEEvSM_,"axG",@progbits,_ZN7rocprim17ROCPRIM_400000_NS6detail17trampoline_kernelINS0_14default_configENS1_22reduce_config_selectorIbEEZNS1_11reduce_implILb1ES3_N6hipcub16HIPCUB_304000_NS22TransformInputIteratorIb7NonZeroIdEPdlEEPllNS8_6detail34convert_binary_result_type_wrapperINS8_3SumESD_lEEEE10hipError_tPvRmT1_T2_T3_mT4_P12ihipStream_tbEUlT_E1_NS1_11comp_targetILNS1_3genE2ELNS1_11target_archE906ELNS1_3gpuE6ELNS1_3repE0EEENS1_30default_config_static_selectorELNS0_4arch9wavefront6targetE1EEEvSM_,comdat
	.protected	_ZN7rocprim17ROCPRIM_400000_NS6detail17trampoline_kernelINS0_14default_configENS1_22reduce_config_selectorIbEEZNS1_11reduce_implILb1ES3_N6hipcub16HIPCUB_304000_NS22TransformInputIteratorIb7NonZeroIdEPdlEEPllNS8_6detail34convert_binary_result_type_wrapperINS8_3SumESD_lEEEE10hipError_tPvRmT1_T2_T3_mT4_P12ihipStream_tbEUlT_E1_NS1_11comp_targetILNS1_3genE2ELNS1_11target_archE906ELNS1_3gpuE6ELNS1_3repE0EEENS1_30default_config_static_selectorELNS0_4arch9wavefront6targetE1EEEvSM_ ; -- Begin function _ZN7rocprim17ROCPRIM_400000_NS6detail17trampoline_kernelINS0_14default_configENS1_22reduce_config_selectorIbEEZNS1_11reduce_implILb1ES3_N6hipcub16HIPCUB_304000_NS22TransformInputIteratorIb7NonZeroIdEPdlEEPllNS8_6detail34convert_binary_result_type_wrapperINS8_3SumESD_lEEEE10hipError_tPvRmT1_T2_T3_mT4_P12ihipStream_tbEUlT_E1_NS1_11comp_targetILNS1_3genE2ELNS1_11target_archE906ELNS1_3gpuE6ELNS1_3repE0EEENS1_30default_config_static_selectorELNS0_4arch9wavefront6targetE1EEEvSM_
	.globl	_ZN7rocprim17ROCPRIM_400000_NS6detail17trampoline_kernelINS0_14default_configENS1_22reduce_config_selectorIbEEZNS1_11reduce_implILb1ES3_N6hipcub16HIPCUB_304000_NS22TransformInputIteratorIb7NonZeroIdEPdlEEPllNS8_6detail34convert_binary_result_type_wrapperINS8_3SumESD_lEEEE10hipError_tPvRmT1_T2_T3_mT4_P12ihipStream_tbEUlT_E1_NS1_11comp_targetILNS1_3genE2ELNS1_11target_archE906ELNS1_3gpuE6ELNS1_3repE0EEENS1_30default_config_static_selectorELNS0_4arch9wavefront6targetE1EEEvSM_
	.p2align	8
	.type	_ZN7rocprim17ROCPRIM_400000_NS6detail17trampoline_kernelINS0_14default_configENS1_22reduce_config_selectorIbEEZNS1_11reduce_implILb1ES3_N6hipcub16HIPCUB_304000_NS22TransformInputIteratorIb7NonZeroIdEPdlEEPllNS8_6detail34convert_binary_result_type_wrapperINS8_3SumESD_lEEEE10hipError_tPvRmT1_T2_T3_mT4_P12ihipStream_tbEUlT_E1_NS1_11comp_targetILNS1_3genE2ELNS1_11target_archE906ELNS1_3gpuE6ELNS1_3repE0EEENS1_30default_config_static_selectorELNS0_4arch9wavefront6targetE1EEEvSM_,@function
_ZN7rocprim17ROCPRIM_400000_NS6detail17trampoline_kernelINS0_14default_configENS1_22reduce_config_selectorIbEEZNS1_11reduce_implILb1ES3_N6hipcub16HIPCUB_304000_NS22TransformInputIteratorIb7NonZeroIdEPdlEEPllNS8_6detail34convert_binary_result_type_wrapperINS8_3SumESD_lEEEE10hipError_tPvRmT1_T2_T3_mT4_P12ihipStream_tbEUlT_E1_NS1_11comp_targetILNS1_3genE2ELNS1_11target_archE906ELNS1_3gpuE6ELNS1_3repE0EEENS1_30default_config_static_selectorELNS0_4arch9wavefront6targetE1EEEvSM_: ; @_ZN7rocprim17ROCPRIM_400000_NS6detail17trampoline_kernelINS0_14default_configENS1_22reduce_config_selectorIbEEZNS1_11reduce_implILb1ES3_N6hipcub16HIPCUB_304000_NS22TransformInputIteratorIb7NonZeroIdEPdlEEPllNS8_6detail34convert_binary_result_type_wrapperINS8_3SumESD_lEEEE10hipError_tPvRmT1_T2_T3_mT4_P12ihipStream_tbEUlT_E1_NS1_11comp_targetILNS1_3genE2ELNS1_11target_archE906ELNS1_3gpuE6ELNS1_3repE0EEENS1_30default_config_static_selectorELNS0_4arch9wavefront6targetE1EEEvSM_
; %bb.0:
	.section	.rodata,"a",@progbits
	.p2align	6, 0x0
	.amdhsa_kernel _ZN7rocprim17ROCPRIM_400000_NS6detail17trampoline_kernelINS0_14default_configENS1_22reduce_config_selectorIbEEZNS1_11reduce_implILb1ES3_N6hipcub16HIPCUB_304000_NS22TransformInputIteratorIb7NonZeroIdEPdlEEPllNS8_6detail34convert_binary_result_type_wrapperINS8_3SumESD_lEEEE10hipError_tPvRmT1_T2_T3_mT4_P12ihipStream_tbEUlT_E1_NS1_11comp_targetILNS1_3genE2ELNS1_11target_archE906ELNS1_3gpuE6ELNS1_3repE0EEENS1_30default_config_static_selectorELNS0_4arch9wavefront6targetE1EEEvSM_
		.amdhsa_group_segment_fixed_size 0
		.amdhsa_private_segment_fixed_size 0
		.amdhsa_kernarg_size 56
		.amdhsa_user_sgpr_count 2
		.amdhsa_user_sgpr_dispatch_ptr 0
		.amdhsa_user_sgpr_queue_ptr 0
		.amdhsa_user_sgpr_kernarg_segment_ptr 1
		.amdhsa_user_sgpr_dispatch_id 0
		.amdhsa_user_sgpr_kernarg_preload_length 0
		.amdhsa_user_sgpr_kernarg_preload_offset 0
		.amdhsa_user_sgpr_private_segment_size 0
		.amdhsa_uses_dynamic_stack 0
		.amdhsa_enable_private_segment 0
		.amdhsa_system_sgpr_workgroup_id_x 1
		.amdhsa_system_sgpr_workgroup_id_y 0
		.amdhsa_system_sgpr_workgroup_id_z 0
		.amdhsa_system_sgpr_workgroup_info 0
		.amdhsa_system_vgpr_workitem_id 0
		.amdhsa_next_free_vgpr 1
		.amdhsa_next_free_sgpr 0
		.amdhsa_accum_offset 4
		.amdhsa_reserve_vcc 0
		.amdhsa_float_round_mode_32 0
		.amdhsa_float_round_mode_16_64 0
		.amdhsa_float_denorm_mode_32 3
		.amdhsa_float_denorm_mode_16_64 3
		.amdhsa_dx10_clamp 1
		.amdhsa_ieee_mode 1
		.amdhsa_fp16_overflow 0
		.amdhsa_tg_split 0
		.amdhsa_exception_fp_ieee_invalid_op 0
		.amdhsa_exception_fp_denorm_src 0
		.amdhsa_exception_fp_ieee_div_zero 0
		.amdhsa_exception_fp_ieee_overflow 0
		.amdhsa_exception_fp_ieee_underflow 0
		.amdhsa_exception_fp_ieee_inexact 0
		.amdhsa_exception_int_div_zero 0
	.end_amdhsa_kernel
	.section	.text._ZN7rocprim17ROCPRIM_400000_NS6detail17trampoline_kernelINS0_14default_configENS1_22reduce_config_selectorIbEEZNS1_11reduce_implILb1ES3_N6hipcub16HIPCUB_304000_NS22TransformInputIteratorIb7NonZeroIdEPdlEEPllNS8_6detail34convert_binary_result_type_wrapperINS8_3SumESD_lEEEE10hipError_tPvRmT1_T2_T3_mT4_P12ihipStream_tbEUlT_E1_NS1_11comp_targetILNS1_3genE2ELNS1_11target_archE906ELNS1_3gpuE6ELNS1_3repE0EEENS1_30default_config_static_selectorELNS0_4arch9wavefront6targetE1EEEvSM_,"axG",@progbits,_ZN7rocprim17ROCPRIM_400000_NS6detail17trampoline_kernelINS0_14default_configENS1_22reduce_config_selectorIbEEZNS1_11reduce_implILb1ES3_N6hipcub16HIPCUB_304000_NS22TransformInputIteratorIb7NonZeroIdEPdlEEPllNS8_6detail34convert_binary_result_type_wrapperINS8_3SumESD_lEEEE10hipError_tPvRmT1_T2_T3_mT4_P12ihipStream_tbEUlT_E1_NS1_11comp_targetILNS1_3genE2ELNS1_11target_archE906ELNS1_3gpuE6ELNS1_3repE0EEENS1_30default_config_static_selectorELNS0_4arch9wavefront6targetE1EEEvSM_,comdat
.Lfunc_end316:
	.size	_ZN7rocprim17ROCPRIM_400000_NS6detail17trampoline_kernelINS0_14default_configENS1_22reduce_config_selectorIbEEZNS1_11reduce_implILb1ES3_N6hipcub16HIPCUB_304000_NS22TransformInputIteratorIb7NonZeroIdEPdlEEPllNS8_6detail34convert_binary_result_type_wrapperINS8_3SumESD_lEEEE10hipError_tPvRmT1_T2_T3_mT4_P12ihipStream_tbEUlT_E1_NS1_11comp_targetILNS1_3genE2ELNS1_11target_archE906ELNS1_3gpuE6ELNS1_3repE0EEENS1_30default_config_static_selectorELNS0_4arch9wavefront6targetE1EEEvSM_, .Lfunc_end316-_ZN7rocprim17ROCPRIM_400000_NS6detail17trampoline_kernelINS0_14default_configENS1_22reduce_config_selectorIbEEZNS1_11reduce_implILb1ES3_N6hipcub16HIPCUB_304000_NS22TransformInputIteratorIb7NonZeroIdEPdlEEPllNS8_6detail34convert_binary_result_type_wrapperINS8_3SumESD_lEEEE10hipError_tPvRmT1_T2_T3_mT4_P12ihipStream_tbEUlT_E1_NS1_11comp_targetILNS1_3genE2ELNS1_11target_archE906ELNS1_3gpuE6ELNS1_3repE0EEENS1_30default_config_static_selectorELNS0_4arch9wavefront6targetE1EEEvSM_
                                        ; -- End function
	.set _ZN7rocprim17ROCPRIM_400000_NS6detail17trampoline_kernelINS0_14default_configENS1_22reduce_config_selectorIbEEZNS1_11reduce_implILb1ES3_N6hipcub16HIPCUB_304000_NS22TransformInputIteratorIb7NonZeroIdEPdlEEPllNS8_6detail34convert_binary_result_type_wrapperINS8_3SumESD_lEEEE10hipError_tPvRmT1_T2_T3_mT4_P12ihipStream_tbEUlT_E1_NS1_11comp_targetILNS1_3genE2ELNS1_11target_archE906ELNS1_3gpuE6ELNS1_3repE0EEENS1_30default_config_static_selectorELNS0_4arch9wavefront6targetE1EEEvSM_.num_vgpr, 0
	.set _ZN7rocprim17ROCPRIM_400000_NS6detail17trampoline_kernelINS0_14default_configENS1_22reduce_config_selectorIbEEZNS1_11reduce_implILb1ES3_N6hipcub16HIPCUB_304000_NS22TransformInputIteratorIb7NonZeroIdEPdlEEPllNS8_6detail34convert_binary_result_type_wrapperINS8_3SumESD_lEEEE10hipError_tPvRmT1_T2_T3_mT4_P12ihipStream_tbEUlT_E1_NS1_11comp_targetILNS1_3genE2ELNS1_11target_archE906ELNS1_3gpuE6ELNS1_3repE0EEENS1_30default_config_static_selectorELNS0_4arch9wavefront6targetE1EEEvSM_.num_agpr, 0
	.set _ZN7rocprim17ROCPRIM_400000_NS6detail17trampoline_kernelINS0_14default_configENS1_22reduce_config_selectorIbEEZNS1_11reduce_implILb1ES3_N6hipcub16HIPCUB_304000_NS22TransformInputIteratorIb7NonZeroIdEPdlEEPllNS8_6detail34convert_binary_result_type_wrapperINS8_3SumESD_lEEEE10hipError_tPvRmT1_T2_T3_mT4_P12ihipStream_tbEUlT_E1_NS1_11comp_targetILNS1_3genE2ELNS1_11target_archE906ELNS1_3gpuE6ELNS1_3repE0EEENS1_30default_config_static_selectorELNS0_4arch9wavefront6targetE1EEEvSM_.numbered_sgpr, 0
	.set _ZN7rocprim17ROCPRIM_400000_NS6detail17trampoline_kernelINS0_14default_configENS1_22reduce_config_selectorIbEEZNS1_11reduce_implILb1ES3_N6hipcub16HIPCUB_304000_NS22TransformInputIteratorIb7NonZeroIdEPdlEEPllNS8_6detail34convert_binary_result_type_wrapperINS8_3SumESD_lEEEE10hipError_tPvRmT1_T2_T3_mT4_P12ihipStream_tbEUlT_E1_NS1_11comp_targetILNS1_3genE2ELNS1_11target_archE906ELNS1_3gpuE6ELNS1_3repE0EEENS1_30default_config_static_selectorELNS0_4arch9wavefront6targetE1EEEvSM_.num_named_barrier, 0
	.set _ZN7rocprim17ROCPRIM_400000_NS6detail17trampoline_kernelINS0_14default_configENS1_22reduce_config_selectorIbEEZNS1_11reduce_implILb1ES3_N6hipcub16HIPCUB_304000_NS22TransformInputIteratorIb7NonZeroIdEPdlEEPllNS8_6detail34convert_binary_result_type_wrapperINS8_3SumESD_lEEEE10hipError_tPvRmT1_T2_T3_mT4_P12ihipStream_tbEUlT_E1_NS1_11comp_targetILNS1_3genE2ELNS1_11target_archE906ELNS1_3gpuE6ELNS1_3repE0EEENS1_30default_config_static_selectorELNS0_4arch9wavefront6targetE1EEEvSM_.private_seg_size, 0
	.set _ZN7rocprim17ROCPRIM_400000_NS6detail17trampoline_kernelINS0_14default_configENS1_22reduce_config_selectorIbEEZNS1_11reduce_implILb1ES3_N6hipcub16HIPCUB_304000_NS22TransformInputIteratorIb7NonZeroIdEPdlEEPllNS8_6detail34convert_binary_result_type_wrapperINS8_3SumESD_lEEEE10hipError_tPvRmT1_T2_T3_mT4_P12ihipStream_tbEUlT_E1_NS1_11comp_targetILNS1_3genE2ELNS1_11target_archE906ELNS1_3gpuE6ELNS1_3repE0EEENS1_30default_config_static_selectorELNS0_4arch9wavefront6targetE1EEEvSM_.uses_vcc, 0
	.set _ZN7rocprim17ROCPRIM_400000_NS6detail17trampoline_kernelINS0_14default_configENS1_22reduce_config_selectorIbEEZNS1_11reduce_implILb1ES3_N6hipcub16HIPCUB_304000_NS22TransformInputIteratorIb7NonZeroIdEPdlEEPllNS8_6detail34convert_binary_result_type_wrapperINS8_3SumESD_lEEEE10hipError_tPvRmT1_T2_T3_mT4_P12ihipStream_tbEUlT_E1_NS1_11comp_targetILNS1_3genE2ELNS1_11target_archE906ELNS1_3gpuE6ELNS1_3repE0EEENS1_30default_config_static_selectorELNS0_4arch9wavefront6targetE1EEEvSM_.uses_flat_scratch, 0
	.set _ZN7rocprim17ROCPRIM_400000_NS6detail17trampoline_kernelINS0_14default_configENS1_22reduce_config_selectorIbEEZNS1_11reduce_implILb1ES3_N6hipcub16HIPCUB_304000_NS22TransformInputIteratorIb7NonZeroIdEPdlEEPllNS8_6detail34convert_binary_result_type_wrapperINS8_3SumESD_lEEEE10hipError_tPvRmT1_T2_T3_mT4_P12ihipStream_tbEUlT_E1_NS1_11comp_targetILNS1_3genE2ELNS1_11target_archE906ELNS1_3gpuE6ELNS1_3repE0EEENS1_30default_config_static_selectorELNS0_4arch9wavefront6targetE1EEEvSM_.has_dyn_sized_stack, 0
	.set _ZN7rocprim17ROCPRIM_400000_NS6detail17trampoline_kernelINS0_14default_configENS1_22reduce_config_selectorIbEEZNS1_11reduce_implILb1ES3_N6hipcub16HIPCUB_304000_NS22TransformInputIteratorIb7NonZeroIdEPdlEEPllNS8_6detail34convert_binary_result_type_wrapperINS8_3SumESD_lEEEE10hipError_tPvRmT1_T2_T3_mT4_P12ihipStream_tbEUlT_E1_NS1_11comp_targetILNS1_3genE2ELNS1_11target_archE906ELNS1_3gpuE6ELNS1_3repE0EEENS1_30default_config_static_selectorELNS0_4arch9wavefront6targetE1EEEvSM_.has_recursion, 0
	.set _ZN7rocprim17ROCPRIM_400000_NS6detail17trampoline_kernelINS0_14default_configENS1_22reduce_config_selectorIbEEZNS1_11reduce_implILb1ES3_N6hipcub16HIPCUB_304000_NS22TransformInputIteratorIb7NonZeroIdEPdlEEPllNS8_6detail34convert_binary_result_type_wrapperINS8_3SumESD_lEEEE10hipError_tPvRmT1_T2_T3_mT4_P12ihipStream_tbEUlT_E1_NS1_11comp_targetILNS1_3genE2ELNS1_11target_archE906ELNS1_3gpuE6ELNS1_3repE0EEENS1_30default_config_static_selectorELNS0_4arch9wavefront6targetE1EEEvSM_.has_indirect_call, 0
	.section	.AMDGPU.csdata,"",@progbits
; Kernel info:
; codeLenInByte = 0
; TotalNumSgprs: 6
; NumVgprs: 0
; NumAgprs: 0
; TotalNumVgprs: 0
; ScratchSize: 0
; MemoryBound: 0
; FloatMode: 240
; IeeeMode: 1
; LDSByteSize: 0 bytes/workgroup (compile time only)
; SGPRBlocks: 0
; VGPRBlocks: 0
; NumSGPRsForWavesPerEU: 6
; NumVGPRsForWavesPerEU: 1
; AccumOffset: 4
; Occupancy: 8
; WaveLimiterHint : 0
; COMPUTE_PGM_RSRC2:SCRATCH_EN: 0
; COMPUTE_PGM_RSRC2:USER_SGPR: 2
; COMPUTE_PGM_RSRC2:TRAP_HANDLER: 0
; COMPUTE_PGM_RSRC2:TGID_X_EN: 1
; COMPUTE_PGM_RSRC2:TGID_Y_EN: 0
; COMPUTE_PGM_RSRC2:TGID_Z_EN: 0
; COMPUTE_PGM_RSRC2:TIDIG_COMP_CNT: 0
; COMPUTE_PGM_RSRC3_GFX90A:ACCUM_OFFSET: 0
; COMPUTE_PGM_RSRC3_GFX90A:TG_SPLIT: 0
	.section	.text._ZN7rocprim17ROCPRIM_400000_NS6detail17trampoline_kernelINS0_14default_configENS1_22reduce_config_selectorIbEEZNS1_11reduce_implILb1ES3_N6hipcub16HIPCUB_304000_NS22TransformInputIteratorIb7NonZeroIdEPdlEEPllNS8_6detail34convert_binary_result_type_wrapperINS8_3SumESD_lEEEE10hipError_tPvRmT1_T2_T3_mT4_P12ihipStream_tbEUlT_E1_NS1_11comp_targetILNS1_3genE10ELNS1_11target_archE1201ELNS1_3gpuE5ELNS1_3repE0EEENS1_30default_config_static_selectorELNS0_4arch9wavefront6targetE1EEEvSM_,"axG",@progbits,_ZN7rocprim17ROCPRIM_400000_NS6detail17trampoline_kernelINS0_14default_configENS1_22reduce_config_selectorIbEEZNS1_11reduce_implILb1ES3_N6hipcub16HIPCUB_304000_NS22TransformInputIteratorIb7NonZeroIdEPdlEEPllNS8_6detail34convert_binary_result_type_wrapperINS8_3SumESD_lEEEE10hipError_tPvRmT1_T2_T3_mT4_P12ihipStream_tbEUlT_E1_NS1_11comp_targetILNS1_3genE10ELNS1_11target_archE1201ELNS1_3gpuE5ELNS1_3repE0EEENS1_30default_config_static_selectorELNS0_4arch9wavefront6targetE1EEEvSM_,comdat
	.protected	_ZN7rocprim17ROCPRIM_400000_NS6detail17trampoline_kernelINS0_14default_configENS1_22reduce_config_selectorIbEEZNS1_11reduce_implILb1ES3_N6hipcub16HIPCUB_304000_NS22TransformInputIteratorIb7NonZeroIdEPdlEEPllNS8_6detail34convert_binary_result_type_wrapperINS8_3SumESD_lEEEE10hipError_tPvRmT1_T2_T3_mT4_P12ihipStream_tbEUlT_E1_NS1_11comp_targetILNS1_3genE10ELNS1_11target_archE1201ELNS1_3gpuE5ELNS1_3repE0EEENS1_30default_config_static_selectorELNS0_4arch9wavefront6targetE1EEEvSM_ ; -- Begin function _ZN7rocprim17ROCPRIM_400000_NS6detail17trampoline_kernelINS0_14default_configENS1_22reduce_config_selectorIbEEZNS1_11reduce_implILb1ES3_N6hipcub16HIPCUB_304000_NS22TransformInputIteratorIb7NonZeroIdEPdlEEPllNS8_6detail34convert_binary_result_type_wrapperINS8_3SumESD_lEEEE10hipError_tPvRmT1_T2_T3_mT4_P12ihipStream_tbEUlT_E1_NS1_11comp_targetILNS1_3genE10ELNS1_11target_archE1201ELNS1_3gpuE5ELNS1_3repE0EEENS1_30default_config_static_selectorELNS0_4arch9wavefront6targetE1EEEvSM_
	.globl	_ZN7rocprim17ROCPRIM_400000_NS6detail17trampoline_kernelINS0_14default_configENS1_22reduce_config_selectorIbEEZNS1_11reduce_implILb1ES3_N6hipcub16HIPCUB_304000_NS22TransformInputIteratorIb7NonZeroIdEPdlEEPllNS8_6detail34convert_binary_result_type_wrapperINS8_3SumESD_lEEEE10hipError_tPvRmT1_T2_T3_mT4_P12ihipStream_tbEUlT_E1_NS1_11comp_targetILNS1_3genE10ELNS1_11target_archE1201ELNS1_3gpuE5ELNS1_3repE0EEENS1_30default_config_static_selectorELNS0_4arch9wavefront6targetE1EEEvSM_
	.p2align	8
	.type	_ZN7rocprim17ROCPRIM_400000_NS6detail17trampoline_kernelINS0_14default_configENS1_22reduce_config_selectorIbEEZNS1_11reduce_implILb1ES3_N6hipcub16HIPCUB_304000_NS22TransformInputIteratorIb7NonZeroIdEPdlEEPllNS8_6detail34convert_binary_result_type_wrapperINS8_3SumESD_lEEEE10hipError_tPvRmT1_T2_T3_mT4_P12ihipStream_tbEUlT_E1_NS1_11comp_targetILNS1_3genE10ELNS1_11target_archE1201ELNS1_3gpuE5ELNS1_3repE0EEENS1_30default_config_static_selectorELNS0_4arch9wavefront6targetE1EEEvSM_,@function
_ZN7rocprim17ROCPRIM_400000_NS6detail17trampoline_kernelINS0_14default_configENS1_22reduce_config_selectorIbEEZNS1_11reduce_implILb1ES3_N6hipcub16HIPCUB_304000_NS22TransformInputIteratorIb7NonZeroIdEPdlEEPllNS8_6detail34convert_binary_result_type_wrapperINS8_3SumESD_lEEEE10hipError_tPvRmT1_T2_T3_mT4_P12ihipStream_tbEUlT_E1_NS1_11comp_targetILNS1_3genE10ELNS1_11target_archE1201ELNS1_3gpuE5ELNS1_3repE0EEENS1_30default_config_static_selectorELNS0_4arch9wavefront6targetE1EEEvSM_: ; @_ZN7rocprim17ROCPRIM_400000_NS6detail17trampoline_kernelINS0_14default_configENS1_22reduce_config_selectorIbEEZNS1_11reduce_implILb1ES3_N6hipcub16HIPCUB_304000_NS22TransformInputIteratorIb7NonZeroIdEPdlEEPllNS8_6detail34convert_binary_result_type_wrapperINS8_3SumESD_lEEEE10hipError_tPvRmT1_T2_T3_mT4_P12ihipStream_tbEUlT_E1_NS1_11comp_targetILNS1_3genE10ELNS1_11target_archE1201ELNS1_3gpuE5ELNS1_3repE0EEENS1_30default_config_static_selectorELNS0_4arch9wavefront6targetE1EEEvSM_
; %bb.0:
	.section	.rodata,"a",@progbits
	.p2align	6, 0x0
	.amdhsa_kernel _ZN7rocprim17ROCPRIM_400000_NS6detail17trampoline_kernelINS0_14default_configENS1_22reduce_config_selectorIbEEZNS1_11reduce_implILb1ES3_N6hipcub16HIPCUB_304000_NS22TransformInputIteratorIb7NonZeroIdEPdlEEPllNS8_6detail34convert_binary_result_type_wrapperINS8_3SumESD_lEEEE10hipError_tPvRmT1_T2_T3_mT4_P12ihipStream_tbEUlT_E1_NS1_11comp_targetILNS1_3genE10ELNS1_11target_archE1201ELNS1_3gpuE5ELNS1_3repE0EEENS1_30default_config_static_selectorELNS0_4arch9wavefront6targetE1EEEvSM_
		.amdhsa_group_segment_fixed_size 0
		.amdhsa_private_segment_fixed_size 0
		.amdhsa_kernarg_size 56
		.amdhsa_user_sgpr_count 2
		.amdhsa_user_sgpr_dispatch_ptr 0
		.amdhsa_user_sgpr_queue_ptr 0
		.amdhsa_user_sgpr_kernarg_segment_ptr 1
		.amdhsa_user_sgpr_dispatch_id 0
		.amdhsa_user_sgpr_kernarg_preload_length 0
		.amdhsa_user_sgpr_kernarg_preload_offset 0
		.amdhsa_user_sgpr_private_segment_size 0
		.amdhsa_uses_dynamic_stack 0
		.amdhsa_enable_private_segment 0
		.amdhsa_system_sgpr_workgroup_id_x 1
		.amdhsa_system_sgpr_workgroup_id_y 0
		.amdhsa_system_sgpr_workgroup_id_z 0
		.amdhsa_system_sgpr_workgroup_info 0
		.amdhsa_system_vgpr_workitem_id 0
		.amdhsa_next_free_vgpr 1
		.amdhsa_next_free_sgpr 0
		.amdhsa_accum_offset 4
		.amdhsa_reserve_vcc 0
		.amdhsa_float_round_mode_32 0
		.amdhsa_float_round_mode_16_64 0
		.amdhsa_float_denorm_mode_32 3
		.amdhsa_float_denorm_mode_16_64 3
		.amdhsa_dx10_clamp 1
		.amdhsa_ieee_mode 1
		.amdhsa_fp16_overflow 0
		.amdhsa_tg_split 0
		.amdhsa_exception_fp_ieee_invalid_op 0
		.amdhsa_exception_fp_denorm_src 0
		.amdhsa_exception_fp_ieee_div_zero 0
		.amdhsa_exception_fp_ieee_overflow 0
		.amdhsa_exception_fp_ieee_underflow 0
		.amdhsa_exception_fp_ieee_inexact 0
		.amdhsa_exception_int_div_zero 0
	.end_amdhsa_kernel
	.section	.text._ZN7rocprim17ROCPRIM_400000_NS6detail17trampoline_kernelINS0_14default_configENS1_22reduce_config_selectorIbEEZNS1_11reduce_implILb1ES3_N6hipcub16HIPCUB_304000_NS22TransformInputIteratorIb7NonZeroIdEPdlEEPllNS8_6detail34convert_binary_result_type_wrapperINS8_3SumESD_lEEEE10hipError_tPvRmT1_T2_T3_mT4_P12ihipStream_tbEUlT_E1_NS1_11comp_targetILNS1_3genE10ELNS1_11target_archE1201ELNS1_3gpuE5ELNS1_3repE0EEENS1_30default_config_static_selectorELNS0_4arch9wavefront6targetE1EEEvSM_,"axG",@progbits,_ZN7rocprim17ROCPRIM_400000_NS6detail17trampoline_kernelINS0_14default_configENS1_22reduce_config_selectorIbEEZNS1_11reduce_implILb1ES3_N6hipcub16HIPCUB_304000_NS22TransformInputIteratorIb7NonZeroIdEPdlEEPllNS8_6detail34convert_binary_result_type_wrapperINS8_3SumESD_lEEEE10hipError_tPvRmT1_T2_T3_mT4_P12ihipStream_tbEUlT_E1_NS1_11comp_targetILNS1_3genE10ELNS1_11target_archE1201ELNS1_3gpuE5ELNS1_3repE0EEENS1_30default_config_static_selectorELNS0_4arch9wavefront6targetE1EEEvSM_,comdat
.Lfunc_end317:
	.size	_ZN7rocprim17ROCPRIM_400000_NS6detail17trampoline_kernelINS0_14default_configENS1_22reduce_config_selectorIbEEZNS1_11reduce_implILb1ES3_N6hipcub16HIPCUB_304000_NS22TransformInputIteratorIb7NonZeroIdEPdlEEPllNS8_6detail34convert_binary_result_type_wrapperINS8_3SumESD_lEEEE10hipError_tPvRmT1_T2_T3_mT4_P12ihipStream_tbEUlT_E1_NS1_11comp_targetILNS1_3genE10ELNS1_11target_archE1201ELNS1_3gpuE5ELNS1_3repE0EEENS1_30default_config_static_selectorELNS0_4arch9wavefront6targetE1EEEvSM_, .Lfunc_end317-_ZN7rocprim17ROCPRIM_400000_NS6detail17trampoline_kernelINS0_14default_configENS1_22reduce_config_selectorIbEEZNS1_11reduce_implILb1ES3_N6hipcub16HIPCUB_304000_NS22TransformInputIteratorIb7NonZeroIdEPdlEEPllNS8_6detail34convert_binary_result_type_wrapperINS8_3SumESD_lEEEE10hipError_tPvRmT1_T2_T3_mT4_P12ihipStream_tbEUlT_E1_NS1_11comp_targetILNS1_3genE10ELNS1_11target_archE1201ELNS1_3gpuE5ELNS1_3repE0EEENS1_30default_config_static_selectorELNS0_4arch9wavefront6targetE1EEEvSM_
                                        ; -- End function
	.set _ZN7rocprim17ROCPRIM_400000_NS6detail17trampoline_kernelINS0_14default_configENS1_22reduce_config_selectorIbEEZNS1_11reduce_implILb1ES3_N6hipcub16HIPCUB_304000_NS22TransformInputIteratorIb7NonZeroIdEPdlEEPllNS8_6detail34convert_binary_result_type_wrapperINS8_3SumESD_lEEEE10hipError_tPvRmT1_T2_T3_mT4_P12ihipStream_tbEUlT_E1_NS1_11comp_targetILNS1_3genE10ELNS1_11target_archE1201ELNS1_3gpuE5ELNS1_3repE0EEENS1_30default_config_static_selectorELNS0_4arch9wavefront6targetE1EEEvSM_.num_vgpr, 0
	.set _ZN7rocprim17ROCPRIM_400000_NS6detail17trampoline_kernelINS0_14default_configENS1_22reduce_config_selectorIbEEZNS1_11reduce_implILb1ES3_N6hipcub16HIPCUB_304000_NS22TransformInputIteratorIb7NonZeroIdEPdlEEPllNS8_6detail34convert_binary_result_type_wrapperINS8_3SumESD_lEEEE10hipError_tPvRmT1_T2_T3_mT4_P12ihipStream_tbEUlT_E1_NS1_11comp_targetILNS1_3genE10ELNS1_11target_archE1201ELNS1_3gpuE5ELNS1_3repE0EEENS1_30default_config_static_selectorELNS0_4arch9wavefront6targetE1EEEvSM_.num_agpr, 0
	.set _ZN7rocprim17ROCPRIM_400000_NS6detail17trampoline_kernelINS0_14default_configENS1_22reduce_config_selectorIbEEZNS1_11reduce_implILb1ES3_N6hipcub16HIPCUB_304000_NS22TransformInputIteratorIb7NonZeroIdEPdlEEPllNS8_6detail34convert_binary_result_type_wrapperINS8_3SumESD_lEEEE10hipError_tPvRmT1_T2_T3_mT4_P12ihipStream_tbEUlT_E1_NS1_11comp_targetILNS1_3genE10ELNS1_11target_archE1201ELNS1_3gpuE5ELNS1_3repE0EEENS1_30default_config_static_selectorELNS0_4arch9wavefront6targetE1EEEvSM_.numbered_sgpr, 0
	.set _ZN7rocprim17ROCPRIM_400000_NS6detail17trampoline_kernelINS0_14default_configENS1_22reduce_config_selectorIbEEZNS1_11reduce_implILb1ES3_N6hipcub16HIPCUB_304000_NS22TransformInputIteratorIb7NonZeroIdEPdlEEPllNS8_6detail34convert_binary_result_type_wrapperINS8_3SumESD_lEEEE10hipError_tPvRmT1_T2_T3_mT4_P12ihipStream_tbEUlT_E1_NS1_11comp_targetILNS1_3genE10ELNS1_11target_archE1201ELNS1_3gpuE5ELNS1_3repE0EEENS1_30default_config_static_selectorELNS0_4arch9wavefront6targetE1EEEvSM_.num_named_barrier, 0
	.set _ZN7rocprim17ROCPRIM_400000_NS6detail17trampoline_kernelINS0_14default_configENS1_22reduce_config_selectorIbEEZNS1_11reduce_implILb1ES3_N6hipcub16HIPCUB_304000_NS22TransformInputIteratorIb7NonZeroIdEPdlEEPllNS8_6detail34convert_binary_result_type_wrapperINS8_3SumESD_lEEEE10hipError_tPvRmT1_T2_T3_mT4_P12ihipStream_tbEUlT_E1_NS1_11comp_targetILNS1_3genE10ELNS1_11target_archE1201ELNS1_3gpuE5ELNS1_3repE0EEENS1_30default_config_static_selectorELNS0_4arch9wavefront6targetE1EEEvSM_.private_seg_size, 0
	.set _ZN7rocprim17ROCPRIM_400000_NS6detail17trampoline_kernelINS0_14default_configENS1_22reduce_config_selectorIbEEZNS1_11reduce_implILb1ES3_N6hipcub16HIPCUB_304000_NS22TransformInputIteratorIb7NonZeroIdEPdlEEPllNS8_6detail34convert_binary_result_type_wrapperINS8_3SumESD_lEEEE10hipError_tPvRmT1_T2_T3_mT4_P12ihipStream_tbEUlT_E1_NS1_11comp_targetILNS1_3genE10ELNS1_11target_archE1201ELNS1_3gpuE5ELNS1_3repE0EEENS1_30default_config_static_selectorELNS0_4arch9wavefront6targetE1EEEvSM_.uses_vcc, 0
	.set _ZN7rocprim17ROCPRIM_400000_NS6detail17trampoline_kernelINS0_14default_configENS1_22reduce_config_selectorIbEEZNS1_11reduce_implILb1ES3_N6hipcub16HIPCUB_304000_NS22TransformInputIteratorIb7NonZeroIdEPdlEEPllNS8_6detail34convert_binary_result_type_wrapperINS8_3SumESD_lEEEE10hipError_tPvRmT1_T2_T3_mT4_P12ihipStream_tbEUlT_E1_NS1_11comp_targetILNS1_3genE10ELNS1_11target_archE1201ELNS1_3gpuE5ELNS1_3repE0EEENS1_30default_config_static_selectorELNS0_4arch9wavefront6targetE1EEEvSM_.uses_flat_scratch, 0
	.set _ZN7rocprim17ROCPRIM_400000_NS6detail17trampoline_kernelINS0_14default_configENS1_22reduce_config_selectorIbEEZNS1_11reduce_implILb1ES3_N6hipcub16HIPCUB_304000_NS22TransformInputIteratorIb7NonZeroIdEPdlEEPllNS8_6detail34convert_binary_result_type_wrapperINS8_3SumESD_lEEEE10hipError_tPvRmT1_T2_T3_mT4_P12ihipStream_tbEUlT_E1_NS1_11comp_targetILNS1_3genE10ELNS1_11target_archE1201ELNS1_3gpuE5ELNS1_3repE0EEENS1_30default_config_static_selectorELNS0_4arch9wavefront6targetE1EEEvSM_.has_dyn_sized_stack, 0
	.set _ZN7rocprim17ROCPRIM_400000_NS6detail17trampoline_kernelINS0_14default_configENS1_22reduce_config_selectorIbEEZNS1_11reduce_implILb1ES3_N6hipcub16HIPCUB_304000_NS22TransformInputIteratorIb7NonZeroIdEPdlEEPllNS8_6detail34convert_binary_result_type_wrapperINS8_3SumESD_lEEEE10hipError_tPvRmT1_T2_T3_mT4_P12ihipStream_tbEUlT_E1_NS1_11comp_targetILNS1_3genE10ELNS1_11target_archE1201ELNS1_3gpuE5ELNS1_3repE0EEENS1_30default_config_static_selectorELNS0_4arch9wavefront6targetE1EEEvSM_.has_recursion, 0
	.set _ZN7rocprim17ROCPRIM_400000_NS6detail17trampoline_kernelINS0_14default_configENS1_22reduce_config_selectorIbEEZNS1_11reduce_implILb1ES3_N6hipcub16HIPCUB_304000_NS22TransformInputIteratorIb7NonZeroIdEPdlEEPllNS8_6detail34convert_binary_result_type_wrapperINS8_3SumESD_lEEEE10hipError_tPvRmT1_T2_T3_mT4_P12ihipStream_tbEUlT_E1_NS1_11comp_targetILNS1_3genE10ELNS1_11target_archE1201ELNS1_3gpuE5ELNS1_3repE0EEENS1_30default_config_static_selectorELNS0_4arch9wavefront6targetE1EEEvSM_.has_indirect_call, 0
	.section	.AMDGPU.csdata,"",@progbits
; Kernel info:
; codeLenInByte = 0
; TotalNumSgprs: 6
; NumVgprs: 0
; NumAgprs: 0
; TotalNumVgprs: 0
; ScratchSize: 0
; MemoryBound: 0
; FloatMode: 240
; IeeeMode: 1
; LDSByteSize: 0 bytes/workgroup (compile time only)
; SGPRBlocks: 0
; VGPRBlocks: 0
; NumSGPRsForWavesPerEU: 6
; NumVGPRsForWavesPerEU: 1
; AccumOffset: 4
; Occupancy: 8
; WaveLimiterHint : 0
; COMPUTE_PGM_RSRC2:SCRATCH_EN: 0
; COMPUTE_PGM_RSRC2:USER_SGPR: 2
; COMPUTE_PGM_RSRC2:TRAP_HANDLER: 0
; COMPUTE_PGM_RSRC2:TGID_X_EN: 1
; COMPUTE_PGM_RSRC2:TGID_Y_EN: 0
; COMPUTE_PGM_RSRC2:TGID_Z_EN: 0
; COMPUTE_PGM_RSRC2:TIDIG_COMP_CNT: 0
; COMPUTE_PGM_RSRC3_GFX90A:ACCUM_OFFSET: 0
; COMPUTE_PGM_RSRC3_GFX90A:TG_SPLIT: 0
	.section	.text._ZN7rocprim17ROCPRIM_400000_NS6detail17trampoline_kernelINS0_14default_configENS1_22reduce_config_selectorIbEEZNS1_11reduce_implILb1ES3_N6hipcub16HIPCUB_304000_NS22TransformInputIteratorIb7NonZeroIdEPdlEEPllNS8_6detail34convert_binary_result_type_wrapperINS8_3SumESD_lEEEE10hipError_tPvRmT1_T2_T3_mT4_P12ihipStream_tbEUlT_E1_NS1_11comp_targetILNS1_3genE10ELNS1_11target_archE1200ELNS1_3gpuE4ELNS1_3repE0EEENS1_30default_config_static_selectorELNS0_4arch9wavefront6targetE1EEEvSM_,"axG",@progbits,_ZN7rocprim17ROCPRIM_400000_NS6detail17trampoline_kernelINS0_14default_configENS1_22reduce_config_selectorIbEEZNS1_11reduce_implILb1ES3_N6hipcub16HIPCUB_304000_NS22TransformInputIteratorIb7NonZeroIdEPdlEEPllNS8_6detail34convert_binary_result_type_wrapperINS8_3SumESD_lEEEE10hipError_tPvRmT1_T2_T3_mT4_P12ihipStream_tbEUlT_E1_NS1_11comp_targetILNS1_3genE10ELNS1_11target_archE1200ELNS1_3gpuE4ELNS1_3repE0EEENS1_30default_config_static_selectorELNS0_4arch9wavefront6targetE1EEEvSM_,comdat
	.protected	_ZN7rocprim17ROCPRIM_400000_NS6detail17trampoline_kernelINS0_14default_configENS1_22reduce_config_selectorIbEEZNS1_11reduce_implILb1ES3_N6hipcub16HIPCUB_304000_NS22TransformInputIteratorIb7NonZeroIdEPdlEEPllNS8_6detail34convert_binary_result_type_wrapperINS8_3SumESD_lEEEE10hipError_tPvRmT1_T2_T3_mT4_P12ihipStream_tbEUlT_E1_NS1_11comp_targetILNS1_3genE10ELNS1_11target_archE1200ELNS1_3gpuE4ELNS1_3repE0EEENS1_30default_config_static_selectorELNS0_4arch9wavefront6targetE1EEEvSM_ ; -- Begin function _ZN7rocprim17ROCPRIM_400000_NS6detail17trampoline_kernelINS0_14default_configENS1_22reduce_config_selectorIbEEZNS1_11reduce_implILb1ES3_N6hipcub16HIPCUB_304000_NS22TransformInputIteratorIb7NonZeroIdEPdlEEPllNS8_6detail34convert_binary_result_type_wrapperINS8_3SumESD_lEEEE10hipError_tPvRmT1_T2_T3_mT4_P12ihipStream_tbEUlT_E1_NS1_11comp_targetILNS1_3genE10ELNS1_11target_archE1200ELNS1_3gpuE4ELNS1_3repE0EEENS1_30default_config_static_selectorELNS0_4arch9wavefront6targetE1EEEvSM_
	.globl	_ZN7rocprim17ROCPRIM_400000_NS6detail17trampoline_kernelINS0_14default_configENS1_22reduce_config_selectorIbEEZNS1_11reduce_implILb1ES3_N6hipcub16HIPCUB_304000_NS22TransformInputIteratorIb7NonZeroIdEPdlEEPllNS8_6detail34convert_binary_result_type_wrapperINS8_3SumESD_lEEEE10hipError_tPvRmT1_T2_T3_mT4_P12ihipStream_tbEUlT_E1_NS1_11comp_targetILNS1_3genE10ELNS1_11target_archE1200ELNS1_3gpuE4ELNS1_3repE0EEENS1_30default_config_static_selectorELNS0_4arch9wavefront6targetE1EEEvSM_
	.p2align	8
	.type	_ZN7rocprim17ROCPRIM_400000_NS6detail17trampoline_kernelINS0_14default_configENS1_22reduce_config_selectorIbEEZNS1_11reduce_implILb1ES3_N6hipcub16HIPCUB_304000_NS22TransformInputIteratorIb7NonZeroIdEPdlEEPllNS8_6detail34convert_binary_result_type_wrapperINS8_3SumESD_lEEEE10hipError_tPvRmT1_T2_T3_mT4_P12ihipStream_tbEUlT_E1_NS1_11comp_targetILNS1_3genE10ELNS1_11target_archE1200ELNS1_3gpuE4ELNS1_3repE0EEENS1_30default_config_static_selectorELNS0_4arch9wavefront6targetE1EEEvSM_,@function
_ZN7rocprim17ROCPRIM_400000_NS6detail17trampoline_kernelINS0_14default_configENS1_22reduce_config_selectorIbEEZNS1_11reduce_implILb1ES3_N6hipcub16HIPCUB_304000_NS22TransformInputIteratorIb7NonZeroIdEPdlEEPllNS8_6detail34convert_binary_result_type_wrapperINS8_3SumESD_lEEEE10hipError_tPvRmT1_T2_T3_mT4_P12ihipStream_tbEUlT_E1_NS1_11comp_targetILNS1_3genE10ELNS1_11target_archE1200ELNS1_3gpuE4ELNS1_3repE0EEENS1_30default_config_static_selectorELNS0_4arch9wavefront6targetE1EEEvSM_: ; @_ZN7rocprim17ROCPRIM_400000_NS6detail17trampoline_kernelINS0_14default_configENS1_22reduce_config_selectorIbEEZNS1_11reduce_implILb1ES3_N6hipcub16HIPCUB_304000_NS22TransformInputIteratorIb7NonZeroIdEPdlEEPllNS8_6detail34convert_binary_result_type_wrapperINS8_3SumESD_lEEEE10hipError_tPvRmT1_T2_T3_mT4_P12ihipStream_tbEUlT_E1_NS1_11comp_targetILNS1_3genE10ELNS1_11target_archE1200ELNS1_3gpuE4ELNS1_3repE0EEENS1_30default_config_static_selectorELNS0_4arch9wavefront6targetE1EEEvSM_
; %bb.0:
	.section	.rodata,"a",@progbits
	.p2align	6, 0x0
	.amdhsa_kernel _ZN7rocprim17ROCPRIM_400000_NS6detail17trampoline_kernelINS0_14default_configENS1_22reduce_config_selectorIbEEZNS1_11reduce_implILb1ES3_N6hipcub16HIPCUB_304000_NS22TransformInputIteratorIb7NonZeroIdEPdlEEPllNS8_6detail34convert_binary_result_type_wrapperINS8_3SumESD_lEEEE10hipError_tPvRmT1_T2_T3_mT4_P12ihipStream_tbEUlT_E1_NS1_11comp_targetILNS1_3genE10ELNS1_11target_archE1200ELNS1_3gpuE4ELNS1_3repE0EEENS1_30default_config_static_selectorELNS0_4arch9wavefront6targetE1EEEvSM_
		.amdhsa_group_segment_fixed_size 0
		.amdhsa_private_segment_fixed_size 0
		.amdhsa_kernarg_size 56
		.amdhsa_user_sgpr_count 2
		.amdhsa_user_sgpr_dispatch_ptr 0
		.amdhsa_user_sgpr_queue_ptr 0
		.amdhsa_user_sgpr_kernarg_segment_ptr 1
		.amdhsa_user_sgpr_dispatch_id 0
		.amdhsa_user_sgpr_kernarg_preload_length 0
		.amdhsa_user_sgpr_kernarg_preload_offset 0
		.amdhsa_user_sgpr_private_segment_size 0
		.amdhsa_uses_dynamic_stack 0
		.amdhsa_enable_private_segment 0
		.amdhsa_system_sgpr_workgroup_id_x 1
		.amdhsa_system_sgpr_workgroup_id_y 0
		.amdhsa_system_sgpr_workgroup_id_z 0
		.amdhsa_system_sgpr_workgroup_info 0
		.amdhsa_system_vgpr_workitem_id 0
		.amdhsa_next_free_vgpr 1
		.amdhsa_next_free_sgpr 0
		.amdhsa_accum_offset 4
		.amdhsa_reserve_vcc 0
		.amdhsa_float_round_mode_32 0
		.amdhsa_float_round_mode_16_64 0
		.amdhsa_float_denorm_mode_32 3
		.amdhsa_float_denorm_mode_16_64 3
		.amdhsa_dx10_clamp 1
		.amdhsa_ieee_mode 1
		.amdhsa_fp16_overflow 0
		.amdhsa_tg_split 0
		.amdhsa_exception_fp_ieee_invalid_op 0
		.amdhsa_exception_fp_denorm_src 0
		.amdhsa_exception_fp_ieee_div_zero 0
		.amdhsa_exception_fp_ieee_overflow 0
		.amdhsa_exception_fp_ieee_underflow 0
		.amdhsa_exception_fp_ieee_inexact 0
		.amdhsa_exception_int_div_zero 0
	.end_amdhsa_kernel
	.section	.text._ZN7rocprim17ROCPRIM_400000_NS6detail17trampoline_kernelINS0_14default_configENS1_22reduce_config_selectorIbEEZNS1_11reduce_implILb1ES3_N6hipcub16HIPCUB_304000_NS22TransformInputIteratorIb7NonZeroIdEPdlEEPllNS8_6detail34convert_binary_result_type_wrapperINS8_3SumESD_lEEEE10hipError_tPvRmT1_T2_T3_mT4_P12ihipStream_tbEUlT_E1_NS1_11comp_targetILNS1_3genE10ELNS1_11target_archE1200ELNS1_3gpuE4ELNS1_3repE0EEENS1_30default_config_static_selectorELNS0_4arch9wavefront6targetE1EEEvSM_,"axG",@progbits,_ZN7rocprim17ROCPRIM_400000_NS6detail17trampoline_kernelINS0_14default_configENS1_22reduce_config_selectorIbEEZNS1_11reduce_implILb1ES3_N6hipcub16HIPCUB_304000_NS22TransformInputIteratorIb7NonZeroIdEPdlEEPllNS8_6detail34convert_binary_result_type_wrapperINS8_3SumESD_lEEEE10hipError_tPvRmT1_T2_T3_mT4_P12ihipStream_tbEUlT_E1_NS1_11comp_targetILNS1_3genE10ELNS1_11target_archE1200ELNS1_3gpuE4ELNS1_3repE0EEENS1_30default_config_static_selectorELNS0_4arch9wavefront6targetE1EEEvSM_,comdat
.Lfunc_end318:
	.size	_ZN7rocprim17ROCPRIM_400000_NS6detail17trampoline_kernelINS0_14default_configENS1_22reduce_config_selectorIbEEZNS1_11reduce_implILb1ES3_N6hipcub16HIPCUB_304000_NS22TransformInputIteratorIb7NonZeroIdEPdlEEPllNS8_6detail34convert_binary_result_type_wrapperINS8_3SumESD_lEEEE10hipError_tPvRmT1_T2_T3_mT4_P12ihipStream_tbEUlT_E1_NS1_11comp_targetILNS1_3genE10ELNS1_11target_archE1200ELNS1_3gpuE4ELNS1_3repE0EEENS1_30default_config_static_selectorELNS0_4arch9wavefront6targetE1EEEvSM_, .Lfunc_end318-_ZN7rocprim17ROCPRIM_400000_NS6detail17trampoline_kernelINS0_14default_configENS1_22reduce_config_selectorIbEEZNS1_11reduce_implILb1ES3_N6hipcub16HIPCUB_304000_NS22TransformInputIteratorIb7NonZeroIdEPdlEEPllNS8_6detail34convert_binary_result_type_wrapperINS8_3SumESD_lEEEE10hipError_tPvRmT1_T2_T3_mT4_P12ihipStream_tbEUlT_E1_NS1_11comp_targetILNS1_3genE10ELNS1_11target_archE1200ELNS1_3gpuE4ELNS1_3repE0EEENS1_30default_config_static_selectorELNS0_4arch9wavefront6targetE1EEEvSM_
                                        ; -- End function
	.set _ZN7rocprim17ROCPRIM_400000_NS6detail17trampoline_kernelINS0_14default_configENS1_22reduce_config_selectorIbEEZNS1_11reduce_implILb1ES3_N6hipcub16HIPCUB_304000_NS22TransformInputIteratorIb7NonZeroIdEPdlEEPllNS8_6detail34convert_binary_result_type_wrapperINS8_3SumESD_lEEEE10hipError_tPvRmT1_T2_T3_mT4_P12ihipStream_tbEUlT_E1_NS1_11comp_targetILNS1_3genE10ELNS1_11target_archE1200ELNS1_3gpuE4ELNS1_3repE0EEENS1_30default_config_static_selectorELNS0_4arch9wavefront6targetE1EEEvSM_.num_vgpr, 0
	.set _ZN7rocprim17ROCPRIM_400000_NS6detail17trampoline_kernelINS0_14default_configENS1_22reduce_config_selectorIbEEZNS1_11reduce_implILb1ES3_N6hipcub16HIPCUB_304000_NS22TransformInputIteratorIb7NonZeroIdEPdlEEPllNS8_6detail34convert_binary_result_type_wrapperINS8_3SumESD_lEEEE10hipError_tPvRmT1_T2_T3_mT4_P12ihipStream_tbEUlT_E1_NS1_11comp_targetILNS1_3genE10ELNS1_11target_archE1200ELNS1_3gpuE4ELNS1_3repE0EEENS1_30default_config_static_selectorELNS0_4arch9wavefront6targetE1EEEvSM_.num_agpr, 0
	.set _ZN7rocprim17ROCPRIM_400000_NS6detail17trampoline_kernelINS0_14default_configENS1_22reduce_config_selectorIbEEZNS1_11reduce_implILb1ES3_N6hipcub16HIPCUB_304000_NS22TransformInputIteratorIb7NonZeroIdEPdlEEPllNS8_6detail34convert_binary_result_type_wrapperINS8_3SumESD_lEEEE10hipError_tPvRmT1_T2_T3_mT4_P12ihipStream_tbEUlT_E1_NS1_11comp_targetILNS1_3genE10ELNS1_11target_archE1200ELNS1_3gpuE4ELNS1_3repE0EEENS1_30default_config_static_selectorELNS0_4arch9wavefront6targetE1EEEvSM_.numbered_sgpr, 0
	.set _ZN7rocprim17ROCPRIM_400000_NS6detail17trampoline_kernelINS0_14default_configENS1_22reduce_config_selectorIbEEZNS1_11reduce_implILb1ES3_N6hipcub16HIPCUB_304000_NS22TransformInputIteratorIb7NonZeroIdEPdlEEPllNS8_6detail34convert_binary_result_type_wrapperINS8_3SumESD_lEEEE10hipError_tPvRmT1_T2_T3_mT4_P12ihipStream_tbEUlT_E1_NS1_11comp_targetILNS1_3genE10ELNS1_11target_archE1200ELNS1_3gpuE4ELNS1_3repE0EEENS1_30default_config_static_selectorELNS0_4arch9wavefront6targetE1EEEvSM_.num_named_barrier, 0
	.set _ZN7rocprim17ROCPRIM_400000_NS6detail17trampoline_kernelINS0_14default_configENS1_22reduce_config_selectorIbEEZNS1_11reduce_implILb1ES3_N6hipcub16HIPCUB_304000_NS22TransformInputIteratorIb7NonZeroIdEPdlEEPllNS8_6detail34convert_binary_result_type_wrapperINS8_3SumESD_lEEEE10hipError_tPvRmT1_T2_T3_mT4_P12ihipStream_tbEUlT_E1_NS1_11comp_targetILNS1_3genE10ELNS1_11target_archE1200ELNS1_3gpuE4ELNS1_3repE0EEENS1_30default_config_static_selectorELNS0_4arch9wavefront6targetE1EEEvSM_.private_seg_size, 0
	.set _ZN7rocprim17ROCPRIM_400000_NS6detail17trampoline_kernelINS0_14default_configENS1_22reduce_config_selectorIbEEZNS1_11reduce_implILb1ES3_N6hipcub16HIPCUB_304000_NS22TransformInputIteratorIb7NonZeroIdEPdlEEPllNS8_6detail34convert_binary_result_type_wrapperINS8_3SumESD_lEEEE10hipError_tPvRmT1_T2_T3_mT4_P12ihipStream_tbEUlT_E1_NS1_11comp_targetILNS1_3genE10ELNS1_11target_archE1200ELNS1_3gpuE4ELNS1_3repE0EEENS1_30default_config_static_selectorELNS0_4arch9wavefront6targetE1EEEvSM_.uses_vcc, 0
	.set _ZN7rocprim17ROCPRIM_400000_NS6detail17trampoline_kernelINS0_14default_configENS1_22reduce_config_selectorIbEEZNS1_11reduce_implILb1ES3_N6hipcub16HIPCUB_304000_NS22TransformInputIteratorIb7NonZeroIdEPdlEEPllNS8_6detail34convert_binary_result_type_wrapperINS8_3SumESD_lEEEE10hipError_tPvRmT1_T2_T3_mT4_P12ihipStream_tbEUlT_E1_NS1_11comp_targetILNS1_3genE10ELNS1_11target_archE1200ELNS1_3gpuE4ELNS1_3repE0EEENS1_30default_config_static_selectorELNS0_4arch9wavefront6targetE1EEEvSM_.uses_flat_scratch, 0
	.set _ZN7rocprim17ROCPRIM_400000_NS6detail17trampoline_kernelINS0_14default_configENS1_22reduce_config_selectorIbEEZNS1_11reduce_implILb1ES3_N6hipcub16HIPCUB_304000_NS22TransformInputIteratorIb7NonZeroIdEPdlEEPllNS8_6detail34convert_binary_result_type_wrapperINS8_3SumESD_lEEEE10hipError_tPvRmT1_T2_T3_mT4_P12ihipStream_tbEUlT_E1_NS1_11comp_targetILNS1_3genE10ELNS1_11target_archE1200ELNS1_3gpuE4ELNS1_3repE0EEENS1_30default_config_static_selectorELNS0_4arch9wavefront6targetE1EEEvSM_.has_dyn_sized_stack, 0
	.set _ZN7rocprim17ROCPRIM_400000_NS6detail17trampoline_kernelINS0_14default_configENS1_22reduce_config_selectorIbEEZNS1_11reduce_implILb1ES3_N6hipcub16HIPCUB_304000_NS22TransformInputIteratorIb7NonZeroIdEPdlEEPllNS8_6detail34convert_binary_result_type_wrapperINS8_3SumESD_lEEEE10hipError_tPvRmT1_T2_T3_mT4_P12ihipStream_tbEUlT_E1_NS1_11comp_targetILNS1_3genE10ELNS1_11target_archE1200ELNS1_3gpuE4ELNS1_3repE0EEENS1_30default_config_static_selectorELNS0_4arch9wavefront6targetE1EEEvSM_.has_recursion, 0
	.set _ZN7rocprim17ROCPRIM_400000_NS6detail17trampoline_kernelINS0_14default_configENS1_22reduce_config_selectorIbEEZNS1_11reduce_implILb1ES3_N6hipcub16HIPCUB_304000_NS22TransformInputIteratorIb7NonZeroIdEPdlEEPllNS8_6detail34convert_binary_result_type_wrapperINS8_3SumESD_lEEEE10hipError_tPvRmT1_T2_T3_mT4_P12ihipStream_tbEUlT_E1_NS1_11comp_targetILNS1_3genE10ELNS1_11target_archE1200ELNS1_3gpuE4ELNS1_3repE0EEENS1_30default_config_static_selectorELNS0_4arch9wavefront6targetE1EEEvSM_.has_indirect_call, 0
	.section	.AMDGPU.csdata,"",@progbits
; Kernel info:
; codeLenInByte = 0
; TotalNumSgprs: 6
; NumVgprs: 0
; NumAgprs: 0
; TotalNumVgprs: 0
; ScratchSize: 0
; MemoryBound: 0
; FloatMode: 240
; IeeeMode: 1
; LDSByteSize: 0 bytes/workgroup (compile time only)
; SGPRBlocks: 0
; VGPRBlocks: 0
; NumSGPRsForWavesPerEU: 6
; NumVGPRsForWavesPerEU: 1
; AccumOffset: 4
; Occupancy: 8
; WaveLimiterHint : 0
; COMPUTE_PGM_RSRC2:SCRATCH_EN: 0
; COMPUTE_PGM_RSRC2:USER_SGPR: 2
; COMPUTE_PGM_RSRC2:TRAP_HANDLER: 0
; COMPUTE_PGM_RSRC2:TGID_X_EN: 1
; COMPUTE_PGM_RSRC2:TGID_Y_EN: 0
; COMPUTE_PGM_RSRC2:TGID_Z_EN: 0
; COMPUTE_PGM_RSRC2:TIDIG_COMP_CNT: 0
; COMPUTE_PGM_RSRC3_GFX90A:ACCUM_OFFSET: 0
; COMPUTE_PGM_RSRC3_GFX90A:TG_SPLIT: 0
	.section	.text._ZN7rocprim17ROCPRIM_400000_NS6detail17trampoline_kernelINS0_14default_configENS1_22reduce_config_selectorIbEEZNS1_11reduce_implILb1ES3_N6hipcub16HIPCUB_304000_NS22TransformInputIteratorIb7NonZeroIdEPdlEEPllNS8_6detail34convert_binary_result_type_wrapperINS8_3SumESD_lEEEE10hipError_tPvRmT1_T2_T3_mT4_P12ihipStream_tbEUlT_E1_NS1_11comp_targetILNS1_3genE9ELNS1_11target_archE1100ELNS1_3gpuE3ELNS1_3repE0EEENS1_30default_config_static_selectorELNS0_4arch9wavefront6targetE1EEEvSM_,"axG",@progbits,_ZN7rocprim17ROCPRIM_400000_NS6detail17trampoline_kernelINS0_14default_configENS1_22reduce_config_selectorIbEEZNS1_11reduce_implILb1ES3_N6hipcub16HIPCUB_304000_NS22TransformInputIteratorIb7NonZeroIdEPdlEEPllNS8_6detail34convert_binary_result_type_wrapperINS8_3SumESD_lEEEE10hipError_tPvRmT1_T2_T3_mT4_P12ihipStream_tbEUlT_E1_NS1_11comp_targetILNS1_3genE9ELNS1_11target_archE1100ELNS1_3gpuE3ELNS1_3repE0EEENS1_30default_config_static_selectorELNS0_4arch9wavefront6targetE1EEEvSM_,comdat
	.protected	_ZN7rocprim17ROCPRIM_400000_NS6detail17trampoline_kernelINS0_14default_configENS1_22reduce_config_selectorIbEEZNS1_11reduce_implILb1ES3_N6hipcub16HIPCUB_304000_NS22TransformInputIteratorIb7NonZeroIdEPdlEEPllNS8_6detail34convert_binary_result_type_wrapperINS8_3SumESD_lEEEE10hipError_tPvRmT1_T2_T3_mT4_P12ihipStream_tbEUlT_E1_NS1_11comp_targetILNS1_3genE9ELNS1_11target_archE1100ELNS1_3gpuE3ELNS1_3repE0EEENS1_30default_config_static_selectorELNS0_4arch9wavefront6targetE1EEEvSM_ ; -- Begin function _ZN7rocprim17ROCPRIM_400000_NS6detail17trampoline_kernelINS0_14default_configENS1_22reduce_config_selectorIbEEZNS1_11reduce_implILb1ES3_N6hipcub16HIPCUB_304000_NS22TransformInputIteratorIb7NonZeroIdEPdlEEPllNS8_6detail34convert_binary_result_type_wrapperINS8_3SumESD_lEEEE10hipError_tPvRmT1_T2_T3_mT4_P12ihipStream_tbEUlT_E1_NS1_11comp_targetILNS1_3genE9ELNS1_11target_archE1100ELNS1_3gpuE3ELNS1_3repE0EEENS1_30default_config_static_selectorELNS0_4arch9wavefront6targetE1EEEvSM_
	.globl	_ZN7rocprim17ROCPRIM_400000_NS6detail17trampoline_kernelINS0_14default_configENS1_22reduce_config_selectorIbEEZNS1_11reduce_implILb1ES3_N6hipcub16HIPCUB_304000_NS22TransformInputIteratorIb7NonZeroIdEPdlEEPllNS8_6detail34convert_binary_result_type_wrapperINS8_3SumESD_lEEEE10hipError_tPvRmT1_T2_T3_mT4_P12ihipStream_tbEUlT_E1_NS1_11comp_targetILNS1_3genE9ELNS1_11target_archE1100ELNS1_3gpuE3ELNS1_3repE0EEENS1_30default_config_static_selectorELNS0_4arch9wavefront6targetE1EEEvSM_
	.p2align	8
	.type	_ZN7rocprim17ROCPRIM_400000_NS6detail17trampoline_kernelINS0_14default_configENS1_22reduce_config_selectorIbEEZNS1_11reduce_implILb1ES3_N6hipcub16HIPCUB_304000_NS22TransformInputIteratorIb7NonZeroIdEPdlEEPllNS8_6detail34convert_binary_result_type_wrapperINS8_3SumESD_lEEEE10hipError_tPvRmT1_T2_T3_mT4_P12ihipStream_tbEUlT_E1_NS1_11comp_targetILNS1_3genE9ELNS1_11target_archE1100ELNS1_3gpuE3ELNS1_3repE0EEENS1_30default_config_static_selectorELNS0_4arch9wavefront6targetE1EEEvSM_,@function
_ZN7rocprim17ROCPRIM_400000_NS6detail17trampoline_kernelINS0_14default_configENS1_22reduce_config_selectorIbEEZNS1_11reduce_implILb1ES3_N6hipcub16HIPCUB_304000_NS22TransformInputIteratorIb7NonZeroIdEPdlEEPllNS8_6detail34convert_binary_result_type_wrapperINS8_3SumESD_lEEEE10hipError_tPvRmT1_T2_T3_mT4_P12ihipStream_tbEUlT_E1_NS1_11comp_targetILNS1_3genE9ELNS1_11target_archE1100ELNS1_3gpuE3ELNS1_3repE0EEENS1_30default_config_static_selectorELNS0_4arch9wavefront6targetE1EEEvSM_: ; @_ZN7rocprim17ROCPRIM_400000_NS6detail17trampoline_kernelINS0_14default_configENS1_22reduce_config_selectorIbEEZNS1_11reduce_implILb1ES3_N6hipcub16HIPCUB_304000_NS22TransformInputIteratorIb7NonZeroIdEPdlEEPllNS8_6detail34convert_binary_result_type_wrapperINS8_3SumESD_lEEEE10hipError_tPvRmT1_T2_T3_mT4_P12ihipStream_tbEUlT_E1_NS1_11comp_targetILNS1_3genE9ELNS1_11target_archE1100ELNS1_3gpuE3ELNS1_3repE0EEENS1_30default_config_static_selectorELNS0_4arch9wavefront6targetE1EEEvSM_
; %bb.0:
	.section	.rodata,"a",@progbits
	.p2align	6, 0x0
	.amdhsa_kernel _ZN7rocprim17ROCPRIM_400000_NS6detail17trampoline_kernelINS0_14default_configENS1_22reduce_config_selectorIbEEZNS1_11reduce_implILb1ES3_N6hipcub16HIPCUB_304000_NS22TransformInputIteratorIb7NonZeroIdEPdlEEPllNS8_6detail34convert_binary_result_type_wrapperINS8_3SumESD_lEEEE10hipError_tPvRmT1_T2_T3_mT4_P12ihipStream_tbEUlT_E1_NS1_11comp_targetILNS1_3genE9ELNS1_11target_archE1100ELNS1_3gpuE3ELNS1_3repE0EEENS1_30default_config_static_selectorELNS0_4arch9wavefront6targetE1EEEvSM_
		.amdhsa_group_segment_fixed_size 0
		.amdhsa_private_segment_fixed_size 0
		.amdhsa_kernarg_size 56
		.amdhsa_user_sgpr_count 2
		.amdhsa_user_sgpr_dispatch_ptr 0
		.amdhsa_user_sgpr_queue_ptr 0
		.amdhsa_user_sgpr_kernarg_segment_ptr 1
		.amdhsa_user_sgpr_dispatch_id 0
		.amdhsa_user_sgpr_kernarg_preload_length 0
		.amdhsa_user_sgpr_kernarg_preload_offset 0
		.amdhsa_user_sgpr_private_segment_size 0
		.amdhsa_uses_dynamic_stack 0
		.amdhsa_enable_private_segment 0
		.amdhsa_system_sgpr_workgroup_id_x 1
		.amdhsa_system_sgpr_workgroup_id_y 0
		.amdhsa_system_sgpr_workgroup_id_z 0
		.amdhsa_system_sgpr_workgroup_info 0
		.amdhsa_system_vgpr_workitem_id 0
		.amdhsa_next_free_vgpr 1
		.amdhsa_next_free_sgpr 0
		.amdhsa_accum_offset 4
		.amdhsa_reserve_vcc 0
		.amdhsa_float_round_mode_32 0
		.amdhsa_float_round_mode_16_64 0
		.amdhsa_float_denorm_mode_32 3
		.amdhsa_float_denorm_mode_16_64 3
		.amdhsa_dx10_clamp 1
		.amdhsa_ieee_mode 1
		.amdhsa_fp16_overflow 0
		.amdhsa_tg_split 0
		.amdhsa_exception_fp_ieee_invalid_op 0
		.amdhsa_exception_fp_denorm_src 0
		.amdhsa_exception_fp_ieee_div_zero 0
		.amdhsa_exception_fp_ieee_overflow 0
		.amdhsa_exception_fp_ieee_underflow 0
		.amdhsa_exception_fp_ieee_inexact 0
		.amdhsa_exception_int_div_zero 0
	.end_amdhsa_kernel
	.section	.text._ZN7rocprim17ROCPRIM_400000_NS6detail17trampoline_kernelINS0_14default_configENS1_22reduce_config_selectorIbEEZNS1_11reduce_implILb1ES3_N6hipcub16HIPCUB_304000_NS22TransformInputIteratorIb7NonZeroIdEPdlEEPllNS8_6detail34convert_binary_result_type_wrapperINS8_3SumESD_lEEEE10hipError_tPvRmT1_T2_T3_mT4_P12ihipStream_tbEUlT_E1_NS1_11comp_targetILNS1_3genE9ELNS1_11target_archE1100ELNS1_3gpuE3ELNS1_3repE0EEENS1_30default_config_static_selectorELNS0_4arch9wavefront6targetE1EEEvSM_,"axG",@progbits,_ZN7rocprim17ROCPRIM_400000_NS6detail17trampoline_kernelINS0_14default_configENS1_22reduce_config_selectorIbEEZNS1_11reduce_implILb1ES3_N6hipcub16HIPCUB_304000_NS22TransformInputIteratorIb7NonZeroIdEPdlEEPllNS8_6detail34convert_binary_result_type_wrapperINS8_3SumESD_lEEEE10hipError_tPvRmT1_T2_T3_mT4_P12ihipStream_tbEUlT_E1_NS1_11comp_targetILNS1_3genE9ELNS1_11target_archE1100ELNS1_3gpuE3ELNS1_3repE0EEENS1_30default_config_static_selectorELNS0_4arch9wavefront6targetE1EEEvSM_,comdat
.Lfunc_end319:
	.size	_ZN7rocprim17ROCPRIM_400000_NS6detail17trampoline_kernelINS0_14default_configENS1_22reduce_config_selectorIbEEZNS1_11reduce_implILb1ES3_N6hipcub16HIPCUB_304000_NS22TransformInputIteratorIb7NonZeroIdEPdlEEPllNS8_6detail34convert_binary_result_type_wrapperINS8_3SumESD_lEEEE10hipError_tPvRmT1_T2_T3_mT4_P12ihipStream_tbEUlT_E1_NS1_11comp_targetILNS1_3genE9ELNS1_11target_archE1100ELNS1_3gpuE3ELNS1_3repE0EEENS1_30default_config_static_selectorELNS0_4arch9wavefront6targetE1EEEvSM_, .Lfunc_end319-_ZN7rocprim17ROCPRIM_400000_NS6detail17trampoline_kernelINS0_14default_configENS1_22reduce_config_selectorIbEEZNS1_11reduce_implILb1ES3_N6hipcub16HIPCUB_304000_NS22TransformInputIteratorIb7NonZeroIdEPdlEEPllNS8_6detail34convert_binary_result_type_wrapperINS8_3SumESD_lEEEE10hipError_tPvRmT1_T2_T3_mT4_P12ihipStream_tbEUlT_E1_NS1_11comp_targetILNS1_3genE9ELNS1_11target_archE1100ELNS1_3gpuE3ELNS1_3repE0EEENS1_30default_config_static_selectorELNS0_4arch9wavefront6targetE1EEEvSM_
                                        ; -- End function
	.set _ZN7rocprim17ROCPRIM_400000_NS6detail17trampoline_kernelINS0_14default_configENS1_22reduce_config_selectorIbEEZNS1_11reduce_implILb1ES3_N6hipcub16HIPCUB_304000_NS22TransformInputIteratorIb7NonZeroIdEPdlEEPllNS8_6detail34convert_binary_result_type_wrapperINS8_3SumESD_lEEEE10hipError_tPvRmT1_T2_T3_mT4_P12ihipStream_tbEUlT_E1_NS1_11comp_targetILNS1_3genE9ELNS1_11target_archE1100ELNS1_3gpuE3ELNS1_3repE0EEENS1_30default_config_static_selectorELNS0_4arch9wavefront6targetE1EEEvSM_.num_vgpr, 0
	.set _ZN7rocprim17ROCPRIM_400000_NS6detail17trampoline_kernelINS0_14default_configENS1_22reduce_config_selectorIbEEZNS1_11reduce_implILb1ES3_N6hipcub16HIPCUB_304000_NS22TransformInputIteratorIb7NonZeroIdEPdlEEPllNS8_6detail34convert_binary_result_type_wrapperINS8_3SumESD_lEEEE10hipError_tPvRmT1_T2_T3_mT4_P12ihipStream_tbEUlT_E1_NS1_11comp_targetILNS1_3genE9ELNS1_11target_archE1100ELNS1_3gpuE3ELNS1_3repE0EEENS1_30default_config_static_selectorELNS0_4arch9wavefront6targetE1EEEvSM_.num_agpr, 0
	.set _ZN7rocprim17ROCPRIM_400000_NS6detail17trampoline_kernelINS0_14default_configENS1_22reduce_config_selectorIbEEZNS1_11reduce_implILb1ES3_N6hipcub16HIPCUB_304000_NS22TransformInputIteratorIb7NonZeroIdEPdlEEPllNS8_6detail34convert_binary_result_type_wrapperINS8_3SumESD_lEEEE10hipError_tPvRmT1_T2_T3_mT4_P12ihipStream_tbEUlT_E1_NS1_11comp_targetILNS1_3genE9ELNS1_11target_archE1100ELNS1_3gpuE3ELNS1_3repE0EEENS1_30default_config_static_selectorELNS0_4arch9wavefront6targetE1EEEvSM_.numbered_sgpr, 0
	.set _ZN7rocprim17ROCPRIM_400000_NS6detail17trampoline_kernelINS0_14default_configENS1_22reduce_config_selectorIbEEZNS1_11reduce_implILb1ES3_N6hipcub16HIPCUB_304000_NS22TransformInputIteratorIb7NonZeroIdEPdlEEPllNS8_6detail34convert_binary_result_type_wrapperINS8_3SumESD_lEEEE10hipError_tPvRmT1_T2_T3_mT4_P12ihipStream_tbEUlT_E1_NS1_11comp_targetILNS1_3genE9ELNS1_11target_archE1100ELNS1_3gpuE3ELNS1_3repE0EEENS1_30default_config_static_selectorELNS0_4arch9wavefront6targetE1EEEvSM_.num_named_barrier, 0
	.set _ZN7rocprim17ROCPRIM_400000_NS6detail17trampoline_kernelINS0_14default_configENS1_22reduce_config_selectorIbEEZNS1_11reduce_implILb1ES3_N6hipcub16HIPCUB_304000_NS22TransformInputIteratorIb7NonZeroIdEPdlEEPllNS8_6detail34convert_binary_result_type_wrapperINS8_3SumESD_lEEEE10hipError_tPvRmT1_T2_T3_mT4_P12ihipStream_tbEUlT_E1_NS1_11comp_targetILNS1_3genE9ELNS1_11target_archE1100ELNS1_3gpuE3ELNS1_3repE0EEENS1_30default_config_static_selectorELNS0_4arch9wavefront6targetE1EEEvSM_.private_seg_size, 0
	.set _ZN7rocprim17ROCPRIM_400000_NS6detail17trampoline_kernelINS0_14default_configENS1_22reduce_config_selectorIbEEZNS1_11reduce_implILb1ES3_N6hipcub16HIPCUB_304000_NS22TransformInputIteratorIb7NonZeroIdEPdlEEPllNS8_6detail34convert_binary_result_type_wrapperINS8_3SumESD_lEEEE10hipError_tPvRmT1_T2_T3_mT4_P12ihipStream_tbEUlT_E1_NS1_11comp_targetILNS1_3genE9ELNS1_11target_archE1100ELNS1_3gpuE3ELNS1_3repE0EEENS1_30default_config_static_selectorELNS0_4arch9wavefront6targetE1EEEvSM_.uses_vcc, 0
	.set _ZN7rocprim17ROCPRIM_400000_NS6detail17trampoline_kernelINS0_14default_configENS1_22reduce_config_selectorIbEEZNS1_11reduce_implILb1ES3_N6hipcub16HIPCUB_304000_NS22TransformInputIteratorIb7NonZeroIdEPdlEEPllNS8_6detail34convert_binary_result_type_wrapperINS8_3SumESD_lEEEE10hipError_tPvRmT1_T2_T3_mT4_P12ihipStream_tbEUlT_E1_NS1_11comp_targetILNS1_3genE9ELNS1_11target_archE1100ELNS1_3gpuE3ELNS1_3repE0EEENS1_30default_config_static_selectorELNS0_4arch9wavefront6targetE1EEEvSM_.uses_flat_scratch, 0
	.set _ZN7rocprim17ROCPRIM_400000_NS6detail17trampoline_kernelINS0_14default_configENS1_22reduce_config_selectorIbEEZNS1_11reduce_implILb1ES3_N6hipcub16HIPCUB_304000_NS22TransformInputIteratorIb7NonZeroIdEPdlEEPllNS8_6detail34convert_binary_result_type_wrapperINS8_3SumESD_lEEEE10hipError_tPvRmT1_T2_T3_mT4_P12ihipStream_tbEUlT_E1_NS1_11comp_targetILNS1_3genE9ELNS1_11target_archE1100ELNS1_3gpuE3ELNS1_3repE0EEENS1_30default_config_static_selectorELNS0_4arch9wavefront6targetE1EEEvSM_.has_dyn_sized_stack, 0
	.set _ZN7rocprim17ROCPRIM_400000_NS6detail17trampoline_kernelINS0_14default_configENS1_22reduce_config_selectorIbEEZNS1_11reduce_implILb1ES3_N6hipcub16HIPCUB_304000_NS22TransformInputIteratorIb7NonZeroIdEPdlEEPllNS8_6detail34convert_binary_result_type_wrapperINS8_3SumESD_lEEEE10hipError_tPvRmT1_T2_T3_mT4_P12ihipStream_tbEUlT_E1_NS1_11comp_targetILNS1_3genE9ELNS1_11target_archE1100ELNS1_3gpuE3ELNS1_3repE0EEENS1_30default_config_static_selectorELNS0_4arch9wavefront6targetE1EEEvSM_.has_recursion, 0
	.set _ZN7rocprim17ROCPRIM_400000_NS6detail17trampoline_kernelINS0_14default_configENS1_22reduce_config_selectorIbEEZNS1_11reduce_implILb1ES3_N6hipcub16HIPCUB_304000_NS22TransformInputIteratorIb7NonZeroIdEPdlEEPllNS8_6detail34convert_binary_result_type_wrapperINS8_3SumESD_lEEEE10hipError_tPvRmT1_T2_T3_mT4_P12ihipStream_tbEUlT_E1_NS1_11comp_targetILNS1_3genE9ELNS1_11target_archE1100ELNS1_3gpuE3ELNS1_3repE0EEENS1_30default_config_static_selectorELNS0_4arch9wavefront6targetE1EEEvSM_.has_indirect_call, 0
	.section	.AMDGPU.csdata,"",@progbits
; Kernel info:
; codeLenInByte = 0
; TotalNumSgprs: 6
; NumVgprs: 0
; NumAgprs: 0
; TotalNumVgprs: 0
; ScratchSize: 0
; MemoryBound: 0
; FloatMode: 240
; IeeeMode: 1
; LDSByteSize: 0 bytes/workgroup (compile time only)
; SGPRBlocks: 0
; VGPRBlocks: 0
; NumSGPRsForWavesPerEU: 6
; NumVGPRsForWavesPerEU: 1
; AccumOffset: 4
; Occupancy: 8
; WaveLimiterHint : 0
; COMPUTE_PGM_RSRC2:SCRATCH_EN: 0
; COMPUTE_PGM_RSRC2:USER_SGPR: 2
; COMPUTE_PGM_RSRC2:TRAP_HANDLER: 0
; COMPUTE_PGM_RSRC2:TGID_X_EN: 1
; COMPUTE_PGM_RSRC2:TGID_Y_EN: 0
; COMPUTE_PGM_RSRC2:TGID_Z_EN: 0
; COMPUTE_PGM_RSRC2:TIDIG_COMP_CNT: 0
; COMPUTE_PGM_RSRC3_GFX90A:ACCUM_OFFSET: 0
; COMPUTE_PGM_RSRC3_GFX90A:TG_SPLIT: 0
	.section	.text._ZN7rocprim17ROCPRIM_400000_NS6detail17trampoline_kernelINS0_14default_configENS1_22reduce_config_selectorIbEEZNS1_11reduce_implILb1ES3_N6hipcub16HIPCUB_304000_NS22TransformInputIteratorIb7NonZeroIdEPdlEEPllNS8_6detail34convert_binary_result_type_wrapperINS8_3SumESD_lEEEE10hipError_tPvRmT1_T2_T3_mT4_P12ihipStream_tbEUlT_E1_NS1_11comp_targetILNS1_3genE8ELNS1_11target_archE1030ELNS1_3gpuE2ELNS1_3repE0EEENS1_30default_config_static_selectorELNS0_4arch9wavefront6targetE1EEEvSM_,"axG",@progbits,_ZN7rocprim17ROCPRIM_400000_NS6detail17trampoline_kernelINS0_14default_configENS1_22reduce_config_selectorIbEEZNS1_11reduce_implILb1ES3_N6hipcub16HIPCUB_304000_NS22TransformInputIteratorIb7NonZeroIdEPdlEEPllNS8_6detail34convert_binary_result_type_wrapperINS8_3SumESD_lEEEE10hipError_tPvRmT1_T2_T3_mT4_P12ihipStream_tbEUlT_E1_NS1_11comp_targetILNS1_3genE8ELNS1_11target_archE1030ELNS1_3gpuE2ELNS1_3repE0EEENS1_30default_config_static_selectorELNS0_4arch9wavefront6targetE1EEEvSM_,comdat
	.protected	_ZN7rocprim17ROCPRIM_400000_NS6detail17trampoline_kernelINS0_14default_configENS1_22reduce_config_selectorIbEEZNS1_11reduce_implILb1ES3_N6hipcub16HIPCUB_304000_NS22TransformInputIteratorIb7NonZeroIdEPdlEEPllNS8_6detail34convert_binary_result_type_wrapperINS8_3SumESD_lEEEE10hipError_tPvRmT1_T2_T3_mT4_P12ihipStream_tbEUlT_E1_NS1_11comp_targetILNS1_3genE8ELNS1_11target_archE1030ELNS1_3gpuE2ELNS1_3repE0EEENS1_30default_config_static_selectorELNS0_4arch9wavefront6targetE1EEEvSM_ ; -- Begin function _ZN7rocprim17ROCPRIM_400000_NS6detail17trampoline_kernelINS0_14default_configENS1_22reduce_config_selectorIbEEZNS1_11reduce_implILb1ES3_N6hipcub16HIPCUB_304000_NS22TransformInputIteratorIb7NonZeroIdEPdlEEPllNS8_6detail34convert_binary_result_type_wrapperINS8_3SumESD_lEEEE10hipError_tPvRmT1_T2_T3_mT4_P12ihipStream_tbEUlT_E1_NS1_11comp_targetILNS1_3genE8ELNS1_11target_archE1030ELNS1_3gpuE2ELNS1_3repE0EEENS1_30default_config_static_selectorELNS0_4arch9wavefront6targetE1EEEvSM_
	.globl	_ZN7rocprim17ROCPRIM_400000_NS6detail17trampoline_kernelINS0_14default_configENS1_22reduce_config_selectorIbEEZNS1_11reduce_implILb1ES3_N6hipcub16HIPCUB_304000_NS22TransformInputIteratorIb7NonZeroIdEPdlEEPllNS8_6detail34convert_binary_result_type_wrapperINS8_3SumESD_lEEEE10hipError_tPvRmT1_T2_T3_mT4_P12ihipStream_tbEUlT_E1_NS1_11comp_targetILNS1_3genE8ELNS1_11target_archE1030ELNS1_3gpuE2ELNS1_3repE0EEENS1_30default_config_static_selectorELNS0_4arch9wavefront6targetE1EEEvSM_
	.p2align	8
	.type	_ZN7rocprim17ROCPRIM_400000_NS6detail17trampoline_kernelINS0_14default_configENS1_22reduce_config_selectorIbEEZNS1_11reduce_implILb1ES3_N6hipcub16HIPCUB_304000_NS22TransformInputIteratorIb7NonZeroIdEPdlEEPllNS8_6detail34convert_binary_result_type_wrapperINS8_3SumESD_lEEEE10hipError_tPvRmT1_T2_T3_mT4_P12ihipStream_tbEUlT_E1_NS1_11comp_targetILNS1_3genE8ELNS1_11target_archE1030ELNS1_3gpuE2ELNS1_3repE0EEENS1_30default_config_static_selectorELNS0_4arch9wavefront6targetE1EEEvSM_,@function
_ZN7rocprim17ROCPRIM_400000_NS6detail17trampoline_kernelINS0_14default_configENS1_22reduce_config_selectorIbEEZNS1_11reduce_implILb1ES3_N6hipcub16HIPCUB_304000_NS22TransformInputIteratorIb7NonZeroIdEPdlEEPllNS8_6detail34convert_binary_result_type_wrapperINS8_3SumESD_lEEEE10hipError_tPvRmT1_T2_T3_mT4_P12ihipStream_tbEUlT_E1_NS1_11comp_targetILNS1_3genE8ELNS1_11target_archE1030ELNS1_3gpuE2ELNS1_3repE0EEENS1_30default_config_static_selectorELNS0_4arch9wavefront6targetE1EEEvSM_: ; @_ZN7rocprim17ROCPRIM_400000_NS6detail17trampoline_kernelINS0_14default_configENS1_22reduce_config_selectorIbEEZNS1_11reduce_implILb1ES3_N6hipcub16HIPCUB_304000_NS22TransformInputIteratorIb7NonZeroIdEPdlEEPllNS8_6detail34convert_binary_result_type_wrapperINS8_3SumESD_lEEEE10hipError_tPvRmT1_T2_T3_mT4_P12ihipStream_tbEUlT_E1_NS1_11comp_targetILNS1_3genE8ELNS1_11target_archE1030ELNS1_3gpuE2ELNS1_3repE0EEENS1_30default_config_static_selectorELNS0_4arch9wavefront6targetE1EEEvSM_
; %bb.0:
	.section	.rodata,"a",@progbits
	.p2align	6, 0x0
	.amdhsa_kernel _ZN7rocprim17ROCPRIM_400000_NS6detail17trampoline_kernelINS0_14default_configENS1_22reduce_config_selectorIbEEZNS1_11reduce_implILb1ES3_N6hipcub16HIPCUB_304000_NS22TransformInputIteratorIb7NonZeroIdEPdlEEPllNS8_6detail34convert_binary_result_type_wrapperINS8_3SumESD_lEEEE10hipError_tPvRmT1_T2_T3_mT4_P12ihipStream_tbEUlT_E1_NS1_11comp_targetILNS1_3genE8ELNS1_11target_archE1030ELNS1_3gpuE2ELNS1_3repE0EEENS1_30default_config_static_selectorELNS0_4arch9wavefront6targetE1EEEvSM_
		.amdhsa_group_segment_fixed_size 0
		.amdhsa_private_segment_fixed_size 0
		.amdhsa_kernarg_size 56
		.amdhsa_user_sgpr_count 2
		.amdhsa_user_sgpr_dispatch_ptr 0
		.amdhsa_user_sgpr_queue_ptr 0
		.amdhsa_user_sgpr_kernarg_segment_ptr 1
		.amdhsa_user_sgpr_dispatch_id 0
		.amdhsa_user_sgpr_kernarg_preload_length 0
		.amdhsa_user_sgpr_kernarg_preload_offset 0
		.amdhsa_user_sgpr_private_segment_size 0
		.amdhsa_uses_dynamic_stack 0
		.amdhsa_enable_private_segment 0
		.amdhsa_system_sgpr_workgroup_id_x 1
		.amdhsa_system_sgpr_workgroup_id_y 0
		.amdhsa_system_sgpr_workgroup_id_z 0
		.amdhsa_system_sgpr_workgroup_info 0
		.amdhsa_system_vgpr_workitem_id 0
		.amdhsa_next_free_vgpr 1
		.amdhsa_next_free_sgpr 0
		.amdhsa_accum_offset 4
		.amdhsa_reserve_vcc 0
		.amdhsa_float_round_mode_32 0
		.amdhsa_float_round_mode_16_64 0
		.amdhsa_float_denorm_mode_32 3
		.amdhsa_float_denorm_mode_16_64 3
		.amdhsa_dx10_clamp 1
		.amdhsa_ieee_mode 1
		.amdhsa_fp16_overflow 0
		.amdhsa_tg_split 0
		.amdhsa_exception_fp_ieee_invalid_op 0
		.amdhsa_exception_fp_denorm_src 0
		.amdhsa_exception_fp_ieee_div_zero 0
		.amdhsa_exception_fp_ieee_overflow 0
		.amdhsa_exception_fp_ieee_underflow 0
		.amdhsa_exception_fp_ieee_inexact 0
		.amdhsa_exception_int_div_zero 0
	.end_amdhsa_kernel
	.section	.text._ZN7rocprim17ROCPRIM_400000_NS6detail17trampoline_kernelINS0_14default_configENS1_22reduce_config_selectorIbEEZNS1_11reduce_implILb1ES3_N6hipcub16HIPCUB_304000_NS22TransformInputIteratorIb7NonZeroIdEPdlEEPllNS8_6detail34convert_binary_result_type_wrapperINS8_3SumESD_lEEEE10hipError_tPvRmT1_T2_T3_mT4_P12ihipStream_tbEUlT_E1_NS1_11comp_targetILNS1_3genE8ELNS1_11target_archE1030ELNS1_3gpuE2ELNS1_3repE0EEENS1_30default_config_static_selectorELNS0_4arch9wavefront6targetE1EEEvSM_,"axG",@progbits,_ZN7rocprim17ROCPRIM_400000_NS6detail17trampoline_kernelINS0_14default_configENS1_22reduce_config_selectorIbEEZNS1_11reduce_implILb1ES3_N6hipcub16HIPCUB_304000_NS22TransformInputIteratorIb7NonZeroIdEPdlEEPllNS8_6detail34convert_binary_result_type_wrapperINS8_3SumESD_lEEEE10hipError_tPvRmT1_T2_T3_mT4_P12ihipStream_tbEUlT_E1_NS1_11comp_targetILNS1_3genE8ELNS1_11target_archE1030ELNS1_3gpuE2ELNS1_3repE0EEENS1_30default_config_static_selectorELNS0_4arch9wavefront6targetE1EEEvSM_,comdat
.Lfunc_end320:
	.size	_ZN7rocprim17ROCPRIM_400000_NS6detail17trampoline_kernelINS0_14default_configENS1_22reduce_config_selectorIbEEZNS1_11reduce_implILb1ES3_N6hipcub16HIPCUB_304000_NS22TransformInputIteratorIb7NonZeroIdEPdlEEPllNS8_6detail34convert_binary_result_type_wrapperINS8_3SumESD_lEEEE10hipError_tPvRmT1_T2_T3_mT4_P12ihipStream_tbEUlT_E1_NS1_11comp_targetILNS1_3genE8ELNS1_11target_archE1030ELNS1_3gpuE2ELNS1_3repE0EEENS1_30default_config_static_selectorELNS0_4arch9wavefront6targetE1EEEvSM_, .Lfunc_end320-_ZN7rocprim17ROCPRIM_400000_NS6detail17trampoline_kernelINS0_14default_configENS1_22reduce_config_selectorIbEEZNS1_11reduce_implILb1ES3_N6hipcub16HIPCUB_304000_NS22TransformInputIteratorIb7NonZeroIdEPdlEEPllNS8_6detail34convert_binary_result_type_wrapperINS8_3SumESD_lEEEE10hipError_tPvRmT1_T2_T3_mT4_P12ihipStream_tbEUlT_E1_NS1_11comp_targetILNS1_3genE8ELNS1_11target_archE1030ELNS1_3gpuE2ELNS1_3repE0EEENS1_30default_config_static_selectorELNS0_4arch9wavefront6targetE1EEEvSM_
                                        ; -- End function
	.set _ZN7rocprim17ROCPRIM_400000_NS6detail17trampoline_kernelINS0_14default_configENS1_22reduce_config_selectorIbEEZNS1_11reduce_implILb1ES3_N6hipcub16HIPCUB_304000_NS22TransformInputIteratorIb7NonZeroIdEPdlEEPllNS8_6detail34convert_binary_result_type_wrapperINS8_3SumESD_lEEEE10hipError_tPvRmT1_T2_T3_mT4_P12ihipStream_tbEUlT_E1_NS1_11comp_targetILNS1_3genE8ELNS1_11target_archE1030ELNS1_3gpuE2ELNS1_3repE0EEENS1_30default_config_static_selectorELNS0_4arch9wavefront6targetE1EEEvSM_.num_vgpr, 0
	.set _ZN7rocprim17ROCPRIM_400000_NS6detail17trampoline_kernelINS0_14default_configENS1_22reduce_config_selectorIbEEZNS1_11reduce_implILb1ES3_N6hipcub16HIPCUB_304000_NS22TransformInputIteratorIb7NonZeroIdEPdlEEPllNS8_6detail34convert_binary_result_type_wrapperINS8_3SumESD_lEEEE10hipError_tPvRmT1_T2_T3_mT4_P12ihipStream_tbEUlT_E1_NS1_11comp_targetILNS1_3genE8ELNS1_11target_archE1030ELNS1_3gpuE2ELNS1_3repE0EEENS1_30default_config_static_selectorELNS0_4arch9wavefront6targetE1EEEvSM_.num_agpr, 0
	.set _ZN7rocprim17ROCPRIM_400000_NS6detail17trampoline_kernelINS0_14default_configENS1_22reduce_config_selectorIbEEZNS1_11reduce_implILb1ES3_N6hipcub16HIPCUB_304000_NS22TransformInputIteratorIb7NonZeroIdEPdlEEPllNS8_6detail34convert_binary_result_type_wrapperINS8_3SumESD_lEEEE10hipError_tPvRmT1_T2_T3_mT4_P12ihipStream_tbEUlT_E1_NS1_11comp_targetILNS1_3genE8ELNS1_11target_archE1030ELNS1_3gpuE2ELNS1_3repE0EEENS1_30default_config_static_selectorELNS0_4arch9wavefront6targetE1EEEvSM_.numbered_sgpr, 0
	.set _ZN7rocprim17ROCPRIM_400000_NS6detail17trampoline_kernelINS0_14default_configENS1_22reduce_config_selectorIbEEZNS1_11reduce_implILb1ES3_N6hipcub16HIPCUB_304000_NS22TransformInputIteratorIb7NonZeroIdEPdlEEPllNS8_6detail34convert_binary_result_type_wrapperINS8_3SumESD_lEEEE10hipError_tPvRmT1_T2_T3_mT4_P12ihipStream_tbEUlT_E1_NS1_11comp_targetILNS1_3genE8ELNS1_11target_archE1030ELNS1_3gpuE2ELNS1_3repE0EEENS1_30default_config_static_selectorELNS0_4arch9wavefront6targetE1EEEvSM_.num_named_barrier, 0
	.set _ZN7rocprim17ROCPRIM_400000_NS6detail17trampoline_kernelINS0_14default_configENS1_22reduce_config_selectorIbEEZNS1_11reduce_implILb1ES3_N6hipcub16HIPCUB_304000_NS22TransformInputIteratorIb7NonZeroIdEPdlEEPllNS8_6detail34convert_binary_result_type_wrapperINS8_3SumESD_lEEEE10hipError_tPvRmT1_T2_T3_mT4_P12ihipStream_tbEUlT_E1_NS1_11comp_targetILNS1_3genE8ELNS1_11target_archE1030ELNS1_3gpuE2ELNS1_3repE0EEENS1_30default_config_static_selectorELNS0_4arch9wavefront6targetE1EEEvSM_.private_seg_size, 0
	.set _ZN7rocprim17ROCPRIM_400000_NS6detail17trampoline_kernelINS0_14default_configENS1_22reduce_config_selectorIbEEZNS1_11reduce_implILb1ES3_N6hipcub16HIPCUB_304000_NS22TransformInputIteratorIb7NonZeroIdEPdlEEPllNS8_6detail34convert_binary_result_type_wrapperINS8_3SumESD_lEEEE10hipError_tPvRmT1_T2_T3_mT4_P12ihipStream_tbEUlT_E1_NS1_11comp_targetILNS1_3genE8ELNS1_11target_archE1030ELNS1_3gpuE2ELNS1_3repE0EEENS1_30default_config_static_selectorELNS0_4arch9wavefront6targetE1EEEvSM_.uses_vcc, 0
	.set _ZN7rocprim17ROCPRIM_400000_NS6detail17trampoline_kernelINS0_14default_configENS1_22reduce_config_selectorIbEEZNS1_11reduce_implILb1ES3_N6hipcub16HIPCUB_304000_NS22TransformInputIteratorIb7NonZeroIdEPdlEEPllNS8_6detail34convert_binary_result_type_wrapperINS8_3SumESD_lEEEE10hipError_tPvRmT1_T2_T3_mT4_P12ihipStream_tbEUlT_E1_NS1_11comp_targetILNS1_3genE8ELNS1_11target_archE1030ELNS1_3gpuE2ELNS1_3repE0EEENS1_30default_config_static_selectorELNS0_4arch9wavefront6targetE1EEEvSM_.uses_flat_scratch, 0
	.set _ZN7rocprim17ROCPRIM_400000_NS6detail17trampoline_kernelINS0_14default_configENS1_22reduce_config_selectorIbEEZNS1_11reduce_implILb1ES3_N6hipcub16HIPCUB_304000_NS22TransformInputIteratorIb7NonZeroIdEPdlEEPllNS8_6detail34convert_binary_result_type_wrapperINS8_3SumESD_lEEEE10hipError_tPvRmT1_T2_T3_mT4_P12ihipStream_tbEUlT_E1_NS1_11comp_targetILNS1_3genE8ELNS1_11target_archE1030ELNS1_3gpuE2ELNS1_3repE0EEENS1_30default_config_static_selectorELNS0_4arch9wavefront6targetE1EEEvSM_.has_dyn_sized_stack, 0
	.set _ZN7rocprim17ROCPRIM_400000_NS6detail17trampoline_kernelINS0_14default_configENS1_22reduce_config_selectorIbEEZNS1_11reduce_implILb1ES3_N6hipcub16HIPCUB_304000_NS22TransformInputIteratorIb7NonZeroIdEPdlEEPllNS8_6detail34convert_binary_result_type_wrapperINS8_3SumESD_lEEEE10hipError_tPvRmT1_T2_T3_mT4_P12ihipStream_tbEUlT_E1_NS1_11comp_targetILNS1_3genE8ELNS1_11target_archE1030ELNS1_3gpuE2ELNS1_3repE0EEENS1_30default_config_static_selectorELNS0_4arch9wavefront6targetE1EEEvSM_.has_recursion, 0
	.set _ZN7rocprim17ROCPRIM_400000_NS6detail17trampoline_kernelINS0_14default_configENS1_22reduce_config_selectorIbEEZNS1_11reduce_implILb1ES3_N6hipcub16HIPCUB_304000_NS22TransformInputIteratorIb7NonZeroIdEPdlEEPllNS8_6detail34convert_binary_result_type_wrapperINS8_3SumESD_lEEEE10hipError_tPvRmT1_T2_T3_mT4_P12ihipStream_tbEUlT_E1_NS1_11comp_targetILNS1_3genE8ELNS1_11target_archE1030ELNS1_3gpuE2ELNS1_3repE0EEENS1_30default_config_static_selectorELNS0_4arch9wavefront6targetE1EEEvSM_.has_indirect_call, 0
	.section	.AMDGPU.csdata,"",@progbits
; Kernel info:
; codeLenInByte = 0
; TotalNumSgprs: 6
; NumVgprs: 0
; NumAgprs: 0
; TotalNumVgprs: 0
; ScratchSize: 0
; MemoryBound: 0
; FloatMode: 240
; IeeeMode: 1
; LDSByteSize: 0 bytes/workgroup (compile time only)
; SGPRBlocks: 0
; VGPRBlocks: 0
; NumSGPRsForWavesPerEU: 6
; NumVGPRsForWavesPerEU: 1
; AccumOffset: 4
; Occupancy: 8
; WaveLimiterHint : 0
; COMPUTE_PGM_RSRC2:SCRATCH_EN: 0
; COMPUTE_PGM_RSRC2:USER_SGPR: 2
; COMPUTE_PGM_RSRC2:TRAP_HANDLER: 0
; COMPUTE_PGM_RSRC2:TGID_X_EN: 1
; COMPUTE_PGM_RSRC2:TGID_Y_EN: 0
; COMPUTE_PGM_RSRC2:TGID_Z_EN: 0
; COMPUTE_PGM_RSRC2:TIDIG_COMP_CNT: 0
; COMPUTE_PGM_RSRC3_GFX90A:ACCUM_OFFSET: 0
; COMPUTE_PGM_RSRC3_GFX90A:TG_SPLIT: 0
	.section	.text._ZN7rocprim17ROCPRIM_400000_NS6detail17trampoline_kernelINS0_14default_configENS1_25partition_config_selectorILNS1_17partition_subalgoE5ElNS0_10empty_typeEbEEZZNS1_14partition_implILS5_5ELb0ES3_mN6hipcub16HIPCUB_304000_NS21CountingInputIteratorIllEEPS6_NSA_22TransformInputIteratorIb7NonZeroIdEPdlEENS0_5tupleIJPlS6_EEENSJ_IJSD_SD_EEES6_SK_JS6_EEE10hipError_tPvRmT3_T4_T5_T6_T7_T9_mT8_P12ihipStream_tbDpT10_ENKUlT_T0_E_clISt17integral_constantIbLb0EES16_EEDaS11_S12_EUlS11_E_NS1_11comp_targetILNS1_3genE0ELNS1_11target_archE4294967295ELNS1_3gpuE0ELNS1_3repE0EEENS1_30default_config_static_selectorELNS0_4arch9wavefront6targetE1EEEvT1_,"axG",@progbits,_ZN7rocprim17ROCPRIM_400000_NS6detail17trampoline_kernelINS0_14default_configENS1_25partition_config_selectorILNS1_17partition_subalgoE5ElNS0_10empty_typeEbEEZZNS1_14partition_implILS5_5ELb0ES3_mN6hipcub16HIPCUB_304000_NS21CountingInputIteratorIllEEPS6_NSA_22TransformInputIteratorIb7NonZeroIdEPdlEENS0_5tupleIJPlS6_EEENSJ_IJSD_SD_EEES6_SK_JS6_EEE10hipError_tPvRmT3_T4_T5_T6_T7_T9_mT8_P12ihipStream_tbDpT10_ENKUlT_T0_E_clISt17integral_constantIbLb0EES16_EEDaS11_S12_EUlS11_E_NS1_11comp_targetILNS1_3genE0ELNS1_11target_archE4294967295ELNS1_3gpuE0ELNS1_3repE0EEENS1_30default_config_static_selectorELNS0_4arch9wavefront6targetE1EEEvT1_,comdat
	.protected	_ZN7rocprim17ROCPRIM_400000_NS6detail17trampoline_kernelINS0_14default_configENS1_25partition_config_selectorILNS1_17partition_subalgoE5ElNS0_10empty_typeEbEEZZNS1_14partition_implILS5_5ELb0ES3_mN6hipcub16HIPCUB_304000_NS21CountingInputIteratorIllEEPS6_NSA_22TransformInputIteratorIb7NonZeroIdEPdlEENS0_5tupleIJPlS6_EEENSJ_IJSD_SD_EEES6_SK_JS6_EEE10hipError_tPvRmT3_T4_T5_T6_T7_T9_mT8_P12ihipStream_tbDpT10_ENKUlT_T0_E_clISt17integral_constantIbLb0EES16_EEDaS11_S12_EUlS11_E_NS1_11comp_targetILNS1_3genE0ELNS1_11target_archE4294967295ELNS1_3gpuE0ELNS1_3repE0EEENS1_30default_config_static_selectorELNS0_4arch9wavefront6targetE1EEEvT1_ ; -- Begin function _ZN7rocprim17ROCPRIM_400000_NS6detail17trampoline_kernelINS0_14default_configENS1_25partition_config_selectorILNS1_17partition_subalgoE5ElNS0_10empty_typeEbEEZZNS1_14partition_implILS5_5ELb0ES3_mN6hipcub16HIPCUB_304000_NS21CountingInputIteratorIllEEPS6_NSA_22TransformInputIteratorIb7NonZeroIdEPdlEENS0_5tupleIJPlS6_EEENSJ_IJSD_SD_EEES6_SK_JS6_EEE10hipError_tPvRmT3_T4_T5_T6_T7_T9_mT8_P12ihipStream_tbDpT10_ENKUlT_T0_E_clISt17integral_constantIbLb0EES16_EEDaS11_S12_EUlS11_E_NS1_11comp_targetILNS1_3genE0ELNS1_11target_archE4294967295ELNS1_3gpuE0ELNS1_3repE0EEENS1_30default_config_static_selectorELNS0_4arch9wavefront6targetE1EEEvT1_
	.globl	_ZN7rocprim17ROCPRIM_400000_NS6detail17trampoline_kernelINS0_14default_configENS1_25partition_config_selectorILNS1_17partition_subalgoE5ElNS0_10empty_typeEbEEZZNS1_14partition_implILS5_5ELb0ES3_mN6hipcub16HIPCUB_304000_NS21CountingInputIteratorIllEEPS6_NSA_22TransformInputIteratorIb7NonZeroIdEPdlEENS0_5tupleIJPlS6_EEENSJ_IJSD_SD_EEES6_SK_JS6_EEE10hipError_tPvRmT3_T4_T5_T6_T7_T9_mT8_P12ihipStream_tbDpT10_ENKUlT_T0_E_clISt17integral_constantIbLb0EES16_EEDaS11_S12_EUlS11_E_NS1_11comp_targetILNS1_3genE0ELNS1_11target_archE4294967295ELNS1_3gpuE0ELNS1_3repE0EEENS1_30default_config_static_selectorELNS0_4arch9wavefront6targetE1EEEvT1_
	.p2align	8
	.type	_ZN7rocprim17ROCPRIM_400000_NS6detail17trampoline_kernelINS0_14default_configENS1_25partition_config_selectorILNS1_17partition_subalgoE5ElNS0_10empty_typeEbEEZZNS1_14partition_implILS5_5ELb0ES3_mN6hipcub16HIPCUB_304000_NS21CountingInputIteratorIllEEPS6_NSA_22TransformInputIteratorIb7NonZeroIdEPdlEENS0_5tupleIJPlS6_EEENSJ_IJSD_SD_EEES6_SK_JS6_EEE10hipError_tPvRmT3_T4_T5_T6_T7_T9_mT8_P12ihipStream_tbDpT10_ENKUlT_T0_E_clISt17integral_constantIbLb0EES16_EEDaS11_S12_EUlS11_E_NS1_11comp_targetILNS1_3genE0ELNS1_11target_archE4294967295ELNS1_3gpuE0ELNS1_3repE0EEENS1_30default_config_static_selectorELNS0_4arch9wavefront6targetE1EEEvT1_,@function
_ZN7rocprim17ROCPRIM_400000_NS6detail17trampoline_kernelINS0_14default_configENS1_25partition_config_selectorILNS1_17partition_subalgoE5ElNS0_10empty_typeEbEEZZNS1_14partition_implILS5_5ELb0ES3_mN6hipcub16HIPCUB_304000_NS21CountingInputIteratorIllEEPS6_NSA_22TransformInputIteratorIb7NonZeroIdEPdlEENS0_5tupleIJPlS6_EEENSJ_IJSD_SD_EEES6_SK_JS6_EEE10hipError_tPvRmT3_T4_T5_T6_T7_T9_mT8_P12ihipStream_tbDpT10_ENKUlT_T0_E_clISt17integral_constantIbLb0EES16_EEDaS11_S12_EUlS11_E_NS1_11comp_targetILNS1_3genE0ELNS1_11target_archE4294967295ELNS1_3gpuE0ELNS1_3repE0EEENS1_30default_config_static_selectorELNS0_4arch9wavefront6targetE1EEEvT1_: ; @_ZN7rocprim17ROCPRIM_400000_NS6detail17trampoline_kernelINS0_14default_configENS1_25partition_config_selectorILNS1_17partition_subalgoE5ElNS0_10empty_typeEbEEZZNS1_14partition_implILS5_5ELb0ES3_mN6hipcub16HIPCUB_304000_NS21CountingInputIteratorIllEEPS6_NSA_22TransformInputIteratorIb7NonZeroIdEPdlEENS0_5tupleIJPlS6_EEENSJ_IJSD_SD_EEES6_SK_JS6_EEE10hipError_tPvRmT3_T4_T5_T6_T7_T9_mT8_P12ihipStream_tbDpT10_ENKUlT_T0_E_clISt17integral_constantIbLb0EES16_EEDaS11_S12_EUlS11_E_NS1_11comp_targetILNS1_3genE0ELNS1_11target_archE4294967295ELNS1_3gpuE0ELNS1_3repE0EEENS1_30default_config_static_selectorELNS0_4arch9wavefront6targetE1EEEvT1_
; %bb.0:
	s_load_dwordx4 s[4:7], s[0:1], 0x8
	s_load_dwordx2 s[20:21], s[0:1], 0x58
	s_load_dwordx4 s[16:19], s[0:1], 0x48
	s_load_dwordx2 s[10:11], s[0:1], 0x20
	s_load_dword s3, s[0:1], 0x70
	s_waitcnt lgkmcnt(0)
	s_add_u32 s12, s6, s4
	s_addc_u32 s13, s7, s5
	s_load_dwordx2 s[14:15], s[18:19], 0x0
	s_mul_i32 s8, s2, 0x380
	s_mul_i32 s4, s3, 0x380
	s_add_i32 s18, s3, -1
	s_add_i32 s3, s4, s6
	s_sub_i32 s3, s20, s3
	s_add_u32 s4, s6, s4
	s_addc_u32 s5, s7, 0
	v_mov_b64_e32 v[2:3], s[4:5]
	s_cmp_eq_u32 s2, s18
	v_cmp_le_u64_e32 vcc, s[20:21], v[2:3]
	s_cselect_b64 s[18:19], -1, 0
	s_and_b64 s[20:21], s[18:19], vcc
	s_xor_b64 s[20:21], s[20:21], -1
	s_mov_b32 s9, 0
	s_mov_b64 s[4:5], -1
	s_and_b64 vcc, exec, s[20:21]
	s_cbranch_vccz .LBB321_2
; %bb.1:
	s_add_u32 s4, s12, s8
	v_mov_b32_e32 v1, 0
	s_addc_u32 s5, s13, 0
	v_lshl_add_u64 v[2:3], s[4:5], 0, v[0:1]
	s_mov_b64 s[4:5], 0x80
	v_lshl_add_u64 v[4:5], v[2:3], 0, s[4:5]
	s_mov_b64 s[4:5], 0x100
	;; [unrolled: 2-line block ×6, first 2 shown]
	v_lshlrev_b32_e32 v1, 3, v0
	v_lshl_add_u64 v[14:15], v[2:3], 0, s[4:5]
	ds_write2st64_b64 v1, v[2:3], v[4:5] offset1:2
	ds_write2st64_b64 v1, v[6:7], v[8:9] offset0:4 offset1:6
	ds_write2st64_b64 v1, v[10:11], v[12:13] offset0:8 offset1:10
	ds_write_b64 v1, v[14:15] offset:6144
	s_waitcnt lgkmcnt(0)
	s_barrier
	s_mov_b64 s[4:5], 0
.LBB321_2:
	s_addk_i32 s3, 0x380
	s_andn2_b64 vcc, exec, s[4:5]
	v_cmp_gt_u32_e64 s[4:5], s3, v0
	s_cbranch_vccnz .LBB321_4
; %bb.3:
	s_add_u32 s12, s12, s8
	v_mov_b32_e32 v1, 0
	s_addc_u32 s13, s13, 0
	v_or_b32_e32 v4, 0x80, v0
	v_mov_b32_e32 v5, v1
	v_lshl_add_u64 v[6:7], s[12:13], 0, v[4:5]
	v_cmp_gt_u32_e32 vcc, s3, v4
	v_lshl_add_u64 v[2:3], s[12:13], 0, v[0:1]
	v_cndmask_b32_e64 v3, 0, v3, s[4:5]
	v_cndmask_b32_e32 v5, 0, v7, vcc
	v_cndmask_b32_e32 v4, 0, v6, vcc
	v_or_b32_e32 v6, 0x100, v0
	v_mov_b32_e32 v7, v1
	v_lshl_add_u64 v[8:9], s[12:13], 0, v[6:7]
	v_cmp_gt_u32_e32 vcc, s3, v6
	v_cndmask_b32_e64 v2, 0, v2, s[4:5]
	s_nop 0
	v_cndmask_b32_e32 v7, 0, v9, vcc
	v_cndmask_b32_e32 v6, 0, v8, vcc
	v_or_b32_e32 v8, 0x180, v0
	v_mov_b32_e32 v9, v1
	v_lshl_add_u64 v[10:11], s[12:13], 0, v[8:9]
	v_cmp_gt_u32_e32 vcc, s3, v8
	s_nop 1
	v_cndmask_b32_e32 v9, 0, v11, vcc
	v_cndmask_b32_e32 v8, 0, v10, vcc
	v_or_b32_e32 v10, 0x200, v0
	v_mov_b32_e32 v11, v1
	v_lshl_add_u64 v[12:13], s[12:13], 0, v[10:11]
	v_cmp_gt_u32_e32 vcc, s3, v10
	;; [unrolled: 7-line block ×4, first 2 shown]
	v_lshlrev_b32_e32 v1, 3, v0
	s_nop 0
	v_cndmask_b32_e32 v15, 0, v17, vcc
	v_cndmask_b32_e32 v14, 0, v16, vcc
	ds_write2st64_b64 v1, v[2:3], v[4:5] offset1:2
	ds_write2st64_b64 v1, v[6:7], v[8:9] offset0:4 offset1:6
	ds_write2st64_b64 v1, v[10:11], v[12:13] offset0:8 offset1:10
	ds_write_b64 v1, v[14:15] offset:6144
	s_waitcnt lgkmcnt(0)
	s_barrier
.LBB321_4:
	v_mul_u32_u24_e32 v1, 7, v0
	v_lshlrev_b32_e32 v3, 3, v1
	s_waitcnt lgkmcnt(0)
	ds_read2_b64 v[66:69], v3 offset1:1
	ds_read2_b64 v[62:65], v3 offset0:2 offset1:3
	ds_read2_b64 v[58:61], v3 offset0:4 offset1:5
	ds_read_b64 v[10:11], v3 offset:48
	s_lshl_b64 s[4:5], s[6:7], 3
	s_add_u32 s6, s10, s4
	s_addc_u32 s7, s11, s5
	s_lshl_b64 s[4:5], s[8:9], 3
	s_add_u32 s4, s6, s4
	s_addc_u32 s5, s7, s5
	s_mov_b64 s[6:7], -1
	s_and_b64 vcc, exec, s[20:21]
	s_waitcnt lgkmcnt(0)
	s_barrier
	s_cbranch_vccz .LBB321_6
; %bb.5:
	v_lshlrev_b32_e32 v4, 3, v0
	global_load_dwordx2 v[6:7], v4, s[4:5]
	global_load_dwordx2 v[8:9], v4, s[4:5] offset:1024
	v_mov_b32_e32 v5, 0
	global_load_dwordx2 v[12:13], v4, s[4:5] offset:2048
	global_load_dwordx2 v[14:15], v4, s[4:5] offset:3072
	s_movk_i32 s6, 0x1000
	v_lshl_add_u64 v[4:5], s[4:5], 0, v[4:5]
	v_add_co_u32_e32 v4, vcc, s6, v4
	s_mov_b64 s[6:7], 0
	s_nop 0
	v_addc_co_u32_e32 v5, vcc, 0, v5, vcc
	global_load_dwordx2 v[16:17], v[4:5], off
	global_load_dwordx2 v[18:19], v[4:5], off offset:1024
	global_load_dwordx2 v[20:21], v[4:5], off offset:2048
	s_waitcnt vmcnt(6)
	v_cmp_neq_f64_e32 vcc, 0, v[6:7]
	s_nop 1
	v_cndmask_b32_e64 v1, 0, 1, vcc
	s_waitcnt vmcnt(5)
	v_cmp_neq_f64_e32 vcc, 0, v[8:9]
	s_nop 1
	v_cndmask_b32_e64 v2, 0, 1, vcc
	;; [unrolled: 4-line block ×4, first 2 shown]
	s_waitcnt vmcnt(2)
	v_cmp_neq_f64_e32 vcc, 0, v[16:17]
	ds_write_b8 v0, v1
	ds_write_b8 v0, v2 offset:128
	ds_write_b8 v0, v4 offset:256
	;; [unrolled: 1-line block ×3, first 2 shown]
	v_cndmask_b32_e64 v1, 0, 1, vcc
	s_waitcnt vmcnt(1)
	v_cmp_neq_f64_e32 vcc, 0, v[18:19]
	s_nop 1
	v_cndmask_b32_e64 v2, 0, 1, vcc
	s_waitcnt vmcnt(0)
	v_cmp_neq_f64_e32 vcc, 0, v[20:21]
	s_nop 1
	v_cndmask_b32_e64 v4, 0, 1, vcc
	ds_write_b8 v0, v1 offset:512
	ds_write_b8 v0, v2 offset:640
	;; [unrolled: 1-line block ×3, first 2 shown]
	s_waitcnt lgkmcnt(0)
	s_barrier
.LBB321_6:
	s_load_dwordx2 s[22:23], s[0:1], 0x68
	s_andn2_b64 vcc, exec, s[6:7]
	s_cbranch_vccnz .LBB321_22
; %bb.7:
	v_mov_b32_e32 v2, 0
	v_cmp_gt_u32_e32 vcc, s3, v0
	s_mov_b32 s8, 0
	v_mov_b32_e32 v1, v2
	v_mov_b32_e32 v5, v2
	s_and_saveexec_b64 s[6:7], vcc
	s_cbranch_execz .LBB321_9
; %bb.8:
	v_lshlrev_b32_e32 v1, 3, v0
	global_load_dwordx2 v[4:5], v1, s[4:5]
	v_mov_b32_e32 v1, s8
	s_waitcnt vmcnt(0)
	v_cmp_neq_f64_e32 vcc, 0, v[4:5]
	s_nop 1
	v_cndmask_b32_e64 v2, 0, 1, vcc
	v_mov_b32_e32 v5, v2
.LBB321_9:
	s_or_b64 exec, exec, s[6:7]
	v_or_b32_e32 v4, 0x80, v0
	v_cmp_gt_u32_e32 vcc, s3, v4
	s_and_saveexec_b64 s[6:7], vcc
	s_cbranch_execz .LBB321_11
; %bb.10:
	v_lshlrev_b32_e32 v4, 3, v0
	global_load_dwordx2 v[6:7], v4, s[4:5] offset:1024
	v_lshrrev_b32_e32 v4, 24, v2
	v_mov_b32_e32 v9, 8
	v_lshrrev_b32_e32 v8, 16, v2
	s_movk_i32 s8, 0xff
	v_lshlrev_b16_e32 v4, 8, v4
	v_lshrrev_b32_sdwa v9, v9, v1 dst_sel:BYTE_1 dst_unused:UNUSED_PAD src0_sel:DWORD src1_sel:DWORD
	v_bfe_u32 v12, v1, 16, 8
	v_bitop3_b16 v4, v8, v4, s8 bitop3:0xec
	v_bitop3_b16 v1, v1, v9, s8 bitop3:0xec
	v_lshlrev_b32_e32 v4, 16, v4
	v_and_b32_e32 v1, 0xffff, v1
	v_lshl_or_b32 v1, v12, 16, v1
	s_waitcnt vmcnt(0)
	v_cmp_neq_f64_e32 vcc, 0, v[6:7]
	s_nop 1
	v_cndmask_b32_e64 v6, 0, 1, vcc
	v_lshlrev_b16_e32 v6, 8, v6
	v_bitop3_b16 v2, v2, v6, s8 bitop3:0xec
	v_or_b32_sdwa v2, v2, v4 dst_sel:DWORD dst_unused:UNUSED_PAD src0_sel:WORD_0 src1_sel:DWORD
.LBB321_11:
	s_or_b64 exec, exec, s[6:7]
	v_or_b32_e32 v4, 0x100, v0
	v_cmp_gt_u32_e32 vcc, s3, v4
	s_and_saveexec_b64 s[6:7], vcc
	s_cbranch_execz .LBB321_13
; %bb.12:
	v_lshlrev_b32_e32 v4, 3, v0
	global_load_dwordx2 v[6:7], v4, s[4:5] offset:2048
	v_mov_b32_e32 v8, 8
	v_lshrrev_b32_e32 v4, 24, v2
	s_movk_i32 s9, 0xff
	v_lshrrev_b32_sdwa v8, v8, v1 dst_sel:BYTE_1 dst_unused:UNUSED_PAD src0_sel:DWORD src1_sel:DWORD
	s_mov_b32 s8, 0xc0c0104
	v_bfe_u32 v9, v1, 16, 8
	v_lshlrev_b16_e32 v4, 8, v4
	v_bitop3_b16 v1, v1, v8, s9 bitop3:0xec
	v_perm_b32 v2, v2, v2, s8
	v_and_b32_e32 v1, 0xffff, v1
	v_lshl_or_b32 v1, v9, 16, v1
	s_waitcnt vmcnt(0)
	v_cmp_neq_f64_e32 vcc, 0, v[6:7]
	s_nop 1
	v_cndmask_b32_e64 v6, 0, 1, vcc
	v_or_b32_sdwa v4, v6, v4 dst_sel:WORD_1 dst_unused:UNUSED_PAD src0_sel:DWORD src1_sel:DWORD
	s_nop 0
	v_or_b32_e32 v2, v2, v4
.LBB321_13:
	s_or_b64 exec, exec, s[6:7]
	v_or_b32_e32 v4, 0x180, v0
	v_cmp_gt_u32_e32 vcc, s3, v4
	s_and_saveexec_b64 s[6:7], vcc
	s_cbranch_execz .LBB321_15
; %bb.14:
	v_lshlrev_b32_e32 v4, 3, v0
	global_load_dwordx2 v[6:7], v4, s[4:5] offset:3072
	v_mov_b32_e32 v8, 8
	v_lshrrev_b32_e32 v4, 16, v2
	s_movk_i32 s8, 0xff
	v_lshrrev_b32_sdwa v8, v8, v1 dst_sel:BYTE_1 dst_unused:UNUSED_PAD src0_sel:DWORD src1_sel:DWORD
	s_mov_b32 s9, 0xc0c0104
	v_bfe_u32 v9, v1, 16, 8
	v_bitop3_b16 v1, v1, v8, s8 bitop3:0xec
	v_perm_b32 v2, v2, v2, s9
	v_and_b32_e32 v1, 0xffff, v1
	v_lshl_or_b32 v1, v9, 16, v1
	s_waitcnt vmcnt(0)
	v_cmp_neq_f64_e32 vcc, 0, v[6:7]
	s_nop 1
	v_cndmask_b32_e64 v6, 0, 1, vcc
	v_lshlrev_b16_e32 v6, 8, v6
	v_bitop3_b16 v4, v4, v6, s8 bitop3:0xec
	v_lshlrev_b32_e32 v4, 16, v4
	v_or_b32_e32 v2, v2, v4
.LBB321_15:
	s_or_b64 exec, exec, s[6:7]
	v_or_b32_e32 v4, 0x200, v0
	v_cmp_gt_u32_e32 vcc, s3, v4
	s_and_saveexec_b64 s[6:7], vcc
	s_cbranch_execz .LBB321_17
; %bb.16:
	v_lshlrev_b32_e32 v4, 3, v4
	global_load_dwordx2 v[6:7], v4, s[4:5]
	v_mov_b32_e32 v4, 8
	v_bfe_u32 v8, v1, 16, 8
	v_lshrrev_b32_sdwa v1, v4, v1 dst_sel:BYTE_1 dst_unused:UNUSED_PAD src0_sel:DWORD src1_sel:DWORD
	s_mov_b32 s8, 0x3020104
	v_perm_b32 v2, v2, v2, s8
	s_waitcnt vmcnt(0)
	v_cmp_neq_f64_e32 vcc, 0, v[6:7]
	s_nop 1
	v_cndmask_b32_e64 v4, 0, 1, vcc
	v_or_b32_e32 v1, v4, v1
	v_and_b32_e32 v1, 0xffff, v1
	v_lshl_or_b32 v1, v8, 16, v1
.LBB321_17:
	s_or_b64 exec, exec, s[6:7]
	v_or_b32_e32 v4, 0x280, v0
	v_cmp_gt_u32_e32 vcc, s3, v4
	s_and_saveexec_b64 s[6:7], vcc
	s_cbranch_execz .LBB321_19
; %bb.18:
	v_lshlrev_b32_e32 v4, 3, v4
	global_load_dwordx2 v[6:7], v4, s[4:5]
	s_movk_i32 s8, 0xff
	v_bfe_u32 v4, v1, 16, 8
	s_mov_b32 s9, 0x3020104
	v_perm_b32 v2, v2, v2, s9
	s_waitcnt vmcnt(0)
	v_cmp_neq_f64_e32 vcc, 0, v[6:7]
	s_nop 1
	v_cndmask_b32_e64 v6, 0, 1, vcc
	v_lshlrev_b16_e32 v6, 8, v6
	v_bitop3_b16 v1, v1, v6, s8 bitop3:0xec
	v_and_b32_e32 v1, 0xffff, v1
	v_lshl_or_b32 v1, v4, 16, v1
.LBB321_19:
	s_or_b64 exec, exec, s[6:7]
	v_or_b32_e32 v4, 0x300, v0
	v_cmp_gt_u32_e32 vcc, s3, v4
	s_and_saveexec_b64 s[6:7], vcc
	s_cbranch_execz .LBB321_21
; %bb.20:
	v_lshlrev_b32_e32 v4, 3, v4
	global_load_dwordx2 v[6:7], v4, s[4:5]
	v_mov_b32_e32 v4, 8
	s_movk_i32 s3, 0xff
	v_lshrrev_b32_sdwa v4, v4, v1 dst_sel:BYTE_1 dst_unused:UNUSED_PAD src0_sel:DWORD src1_sel:DWORD
	s_mov_b32 s4, 0x3020104
	v_bitop3_b16 v1, v1, v4, s3 bitop3:0xec
	v_and_b32_e32 v1, 0xffff, v1
	v_perm_b32 v2, v2, v2, s4
	s_waitcnt vmcnt(0)
	v_cmp_neq_f64_e32 vcc, 0, v[6:7]
	s_nop 1
	v_cndmask_b32_e64 v4, 0, 1, vcc
	v_lshl_or_b32 v1, v4, 16, v1
.LBB321_21:
	s_or_b64 exec, exec, s[6:7]
	v_lshrrev_b32_e32 v4, 8, v2
	ds_write_b8 v0, v5
	ds_write_b8 v0, v4 offset:128
	ds_write_b8_d16_hi v0, v2 offset:256
	v_lshrrev_b32_e32 v2, 24, v2
	ds_write_b8 v0, v2 offset:384
	ds_write_b8 v0, v1 offset:512
	v_lshrrev_b32_e32 v2, 8, v1
	ds_write_b8 v0, v2 offset:640
	ds_write_b8_d16_hi v0, v1 offset:768
	s_waitcnt lgkmcnt(0)
	s_barrier
.LBB321_22:
	s_movk_i32 s3, 0xffcf
	v_mad_i32_i24 v1, v0, s3, v3
	s_waitcnt lgkmcnt(0)
	ds_read_u8 v2, v1
	ds_read_u8 v3, v1 offset:1
	ds_read_u8 v4, v1 offset:2
	;; [unrolled: 1-line block ×6, first 2 shown]
	s_waitcnt lgkmcnt(6)
	v_and_b32_e32 v24, 1, v2
	v_mov_b32_e32 v25, 0
	s_waitcnt lgkmcnt(5)
	v_and_b32_e32 v22, 1, v3
	s_waitcnt lgkmcnt(4)
	v_and_b32_e32 v20, 1, v4
	;; [unrolled: 2-line block ×3, first 2 shown]
	v_mov_b32_e32 v19, v25
	v_add3_u32 v2, v22, v24, v20
	v_mov_b32_e32 v3, v25
	s_waitcnt lgkmcnt(2)
	v_and_b32_e32 v16, 1, v6
	v_mov_b32_e32 v17, v25
	v_lshl_add_u64 v[2:3], v[2:3], 0, v[18:19]
	s_waitcnt lgkmcnt(1)
	v_and_b32_e32 v14, 1, v7
	v_mov_b32_e32 v15, v25
	v_lshl_add_u64 v[2:3], v[2:3], 0, v[16:17]
	;; [unrolled: 4-line block ×3, first 2 shown]
	v_lshl_add_u64 v[26:27], v[2:3], 0, v[12:13]
	v_mbcnt_lo_u32_b32 v2, -1, 0
	v_mbcnt_hi_u32_b32 v13, -1, v2
	v_and_b32_e32 v39, 15, v13
	s_cmp_lg_u32 s2, 0
	v_mov_b32_e32 v23, v25
	v_mov_b32_e32 v21, v25
	v_cmp_eq_u32_e64 s[4:5], 0, v39
	v_cmp_lt_u32_e64 s[12:13], 1, v39
	v_cmp_lt_u32_e64 s[10:11], 3, v39
	;; [unrolled: 1-line block ×3, first 2 shown]
	v_and_b32_e32 v38, 16, v13
	v_cmp_eq_u32_e64 s[6:7], 0, v13
	v_cmp_ne_u32_e32 vcc, 0, v13
	s_barrier
	s_cbranch_scc0 .LBB321_50
; %bb.23:
	v_mov_b32_dpp v2, v26 row_shr:1 row_mask:0xf bank_mask:0xf
	v_mov_b32_e32 v3, v25
	v_mov_b32_dpp v5, v25 row_shr:1 row_mask:0xf bank_mask:0xf
	v_mov_b32_e32 v4, v25
	v_lshl_add_u64 v[2:3], v[26:27], 0, v[2:3]
	v_lshl_add_u64 v[4:5], v[4:5], 0, v[2:3]
	v_cndmask_b32_e64 v6, v5, 0, s[4:5]
	v_cndmask_b32_e64 v7, v2, v26, s[4:5]
	v_cndmask_b32_e64 v3, v5, v27, s[4:5]
	v_cndmask_b32_e64 v2, v4, v26, s[4:5]
	v_mov_b32_dpp v4, v7 row_shr:2 row_mask:0xf bank_mask:0xf
	v_mov_b32_dpp v5, v6 row_shr:2 row_mask:0xf bank_mask:0xf
	v_lshl_add_u64 v[4:5], v[4:5], 0, v[2:3]
	v_cndmask_b32_e64 v6, v6, v5, s[12:13]
	v_cndmask_b32_e64 v7, v7, v4, s[12:13]
	v_cndmask_b32_e64 v3, v3, v5, s[12:13]
	v_cndmask_b32_e64 v2, v2, v4, s[12:13]
	v_mov_b32_dpp v4, v7 row_shr:4 row_mask:0xf bank_mask:0xf
	v_mov_b32_dpp v5, v6 row_shr:4 row_mask:0xf bank_mask:0xf
	v_lshl_add_u64 v[4:5], v[4:5], 0, v[2:3]
	v_cndmask_b32_e64 v6, v6, v5, s[10:11]
	v_cndmask_b32_e64 v7, v7, v4, s[10:11]
	v_cndmask_b32_e64 v3, v3, v5, s[10:11]
	v_cndmask_b32_e64 v2, v2, v4, s[10:11]
	v_mov_b32_dpp v4, v7 row_shr:8 row_mask:0xf bank_mask:0xf
	v_mov_b32_dpp v5, v6 row_shr:8 row_mask:0xf bank_mask:0xf
	v_lshl_add_u64 v[4:5], v[4:5], 0, v[2:3]
	v_cndmask_b32_e64 v8, v6, v5, s[8:9]
	v_cndmask_b32_e64 v9, v7, v4, s[8:9]
	;; [unrolled: 1-line block ×4, first 2 shown]
	v_mov_b32_dpp v2, v9 row_bcast:15 row_mask:0xf bank_mask:0xf
	v_mov_b32_dpp v3, v8 row_bcast:15 row_mask:0xf bank_mask:0xf
	v_lshl_add_u64 v[6:7], v[2:3], 0, v[4:5]
	v_cmp_eq_u32_e64 s[8:9], 0, v38
	s_nop 1
	v_cndmask_b32_e64 v2, v7, v8, s[8:9]
	v_cndmask_b32_e64 v3, v6, v9, s[8:9]
	s_nop 0
	v_mov_b32_dpp v9, v2 row_bcast:31 row_mask:0xf bank_mask:0xf
	v_mov_b32_dpp v8, v3 row_bcast:31 row_mask:0xf bank_mask:0xf
	v_mov_b64_e32 v[2:3], v[26:27]
	s_and_saveexec_b64 s[10:11], vcc
; %bb.24:
	v_cmp_lt_u32_e32 vcc, 31, v13
	v_cndmask_b32_e64 v3, v7, v5, s[8:9]
	v_cndmask_b32_e64 v2, v6, v4, s[8:9]
	v_cndmask_b32_e32 v5, 0, v9, vcc
	v_cndmask_b32_e32 v4, 0, v8, vcc
	v_lshl_add_u64 v[2:3], v[4:5], 0, v[2:3]
; %bb.25:
	s_or_b64 exec, exec, s[10:11]
	v_or_b32_e32 v5, 63, v0
	v_lshrrev_b32_e32 v4, 6, v0
	v_cmp_eq_u32_e32 vcc, v0, v5
	s_and_saveexec_b64 s[8:9], vcc
; %bb.26:
	v_lshlrev_b32_e32 v5, 3, v4
	ds_write_b64 v5, v[2:3]
; %bb.27:
	s_or_b64 exec, exec, s[8:9]
	v_cmp_gt_u32_e32 vcc, 2, v0
	s_waitcnt lgkmcnt(0)
	s_barrier
	s_and_saveexec_b64 s[8:9], vcc
	s_cbranch_execz .LBB321_29
; %bb.28:
	v_lshlrev_b32_e32 v5, 3, v0
	ds_read_b64 v[6:7], v5
	v_and_b32_e32 v8, 1, v13
	v_cmp_eq_u32_e32 vcc, 1, v8
	s_waitcnt lgkmcnt(0)
	v_mov_b32_dpp v28, v6 row_shr:1 row_mask:0xf bank_mask:0xf
	v_mov_b32_dpp v9, v7 row_shr:1 row_mask:0xf bank_mask:0xf
	v_cndmask_b32_e32 v9, 0, v9, vcc
	v_cndmask_b32_e32 v8, 0, v28, vcc
	v_lshl_add_u64 v[6:7], v[8:9], 0, v[6:7]
	ds_write_b64 v5, v[6:7]
.LBB321_29:
	s_or_b64 exec, exec, s[8:9]
	v_cmp_gt_u32_e32 vcc, 64, v0
	v_cmp_lt_u32_e64 s[8:9], 63, v0
	s_waitcnt lgkmcnt(0)
	s_barrier
                                        ; implicit-def: $vgpr28_vgpr29
	s_and_saveexec_b64 s[10:11], s[8:9]
	s_cbranch_execz .LBB321_31
; %bb.30:
	v_lshl_add_u32 v4, v4, 3, -8
	ds_read_b64 v[28:29], v4
	s_waitcnt lgkmcnt(0)
	v_lshl_add_u64 v[2:3], v[28:29], 0, v[2:3]
.LBB321_31:
	s_or_b64 exec, exec, s[10:11]
	v_add_u32_e32 v4, -1, v13
	v_and_b32_e32 v5, 64, v13
	v_cmp_lt_i32_e64 s[8:9], v4, v5
	s_nop 1
	v_cndmask_b32_e64 v4, v4, v13, s[8:9]
	v_lshlrev_b32_e32 v4, 2, v4
	ds_bpermute_b32 v41, v4, v2
	ds_bpermute_b32 v40, v4, v3
	s_and_saveexec_b64 s[24:25], vcc
	s_cbranch_execz .LBB321_55
; %bb.32:
	v_mov_b32_e32 v5, 0
	ds_read_b64 v[2:3], v5 offset:8
	s_and_saveexec_b64 s[8:9], s[6:7]
	s_cbranch_execz .LBB321_34
; %bb.33:
	s_add_i32 s10, s2, 64
	s_mov_b32 s11, 0
	s_lshl_b64 s[10:11], s[10:11], 4
	s_add_u32 s10, s22, s10
	s_addc_u32 s11, s23, s11
	v_mov_b32_e32 v4, 1
	v_mov_b64_e32 v[6:7], s[10:11]
	s_waitcnt lgkmcnt(0)
	;;#ASMSTART
	global_store_dwordx4 v[6:7], v[2:5] off sc1	
s_waitcnt vmcnt(0)
	;;#ASMEND
.LBB321_34:
	s_or_b64 exec, exec, s[8:9]
	v_xad_u32 v30, v13, -1, s2
	v_add_u32_e32 v4, 64, v30
	v_lshl_add_u64 v[32:33], v[4:5], 4, s[22:23]
	;;#ASMSTART
	global_load_dwordx4 v[6:9], v[32:33] off sc1	
s_waitcnt vmcnt(0)
	;;#ASMEND
	s_nop 0
	v_cmp_eq_u16_sdwa s[10:11], v8, v5 src0_sel:BYTE_0 src1_sel:DWORD
	s_and_saveexec_b64 s[8:9], s[10:11]
	s_cbranch_execz .LBB321_38
; %bb.35:
	s_mov_b64 s[10:11], 0
	v_mov_b32_e32 v4, 0
.LBB321_36:                             ; =>This Inner Loop Header: Depth=1
	;;#ASMSTART
	global_load_dwordx4 v[6:9], v[32:33] off sc1	
s_waitcnt vmcnt(0)
	;;#ASMEND
	s_nop 0
	v_cmp_ne_u16_sdwa s[26:27], v8, v4 src0_sel:BYTE_0 src1_sel:DWORD
	s_or_b64 s[10:11], s[26:27], s[10:11]
	s_andn2_b64 exec, exec, s[10:11]
	s_cbranch_execnz .LBB321_36
; %bb.37:
	s_or_b64 exec, exec, s[10:11]
.LBB321_38:
	s_or_b64 exec, exec, s[8:9]
	v_mov_b32_e32 v42, 2
	v_cmp_eq_u16_sdwa s[8:9], v8, v42 src0_sel:BYTE_0 src1_sel:DWORD
	v_lshlrev_b64 v[32:33], v13, -1
	v_and_b32_e32 v43, 63, v13
	v_and_b32_e32 v4, s9, v33
	v_or_b32_e32 v4, 0x80000000, v4
	v_and_b32_e32 v5, s8, v32
	v_ffbl_b32_e32 v4, v4
	v_add_u32_e32 v4, 32, v4
	v_ffbl_b32_e32 v5, v5
	v_cmp_ne_u32_e32 vcc, 63, v43
	v_min_u32_e32 v9, v5, v4
	v_mov_b32_e32 v31, 0
	v_addc_co_u32_e32 v4, vcc, 0, v13, vcc
	v_lshlrev_b32_e32 v44, 2, v4
	ds_bpermute_b32 v4, v44, v6
	ds_bpermute_b32 v35, v44, v7
	v_mov_b32_e32 v5, v31
	v_mov_b32_e32 v34, v31
	v_cmp_lt_u32_e64 s[8:9], v43, v9
	s_waitcnt lgkmcnt(1)
	v_lshl_add_u64 v[4:5], v[6:7], 0, v[4:5]
	v_cmp_gt_u32_e32 vcc, 62, v43
	s_waitcnt lgkmcnt(0)
	v_lshl_add_u64 v[34:35], v[34:35], 0, v[4:5]
	v_cndmask_b32_e64 v47, v6, v4, s[8:9]
	v_cndmask_b32_e64 v4, 0, 2, vcc
	v_cndmask_b32_e64 v5, v7, v35, s[8:9]
	v_add_lshl_u32 v45, v4, v13, 2
	ds_bpermute_b32 v36, v45, v47
	ds_bpermute_b32 v37, v45, v5
	v_cndmask_b32_e64 v4, v6, v34, s[8:9]
	v_add_u32_e32 v46, 2, v43
	v_cmp_gt_u32_e32 vcc, v46, v9
	v_cmp_gt_u32_e64 s[10:11], 60, v43
	s_waitcnt lgkmcnt(0)
	v_lshl_add_u64 v[34:35], v[36:37], 0, v[4:5]
	v_cndmask_b32_e32 v5, v35, v5, vcc
	v_cndmask_b32_e64 v35, 0, 4, s[10:11]
	v_cndmask_b32_e32 v49, v34, v47, vcc
	v_add_lshl_u32 v47, v35, v13, 2
	ds_bpermute_b32 v36, v47, v49
	ds_bpermute_b32 v37, v47, v5
	v_cndmask_b32_e32 v4, v34, v4, vcc
	v_add_u32_e32 v48, 4, v43
	v_cmp_gt_u32_e32 vcc, v48, v9
	v_cmp_gt_u32_e64 s[10:11], 56, v43
	s_waitcnt lgkmcnt(0)
	v_lshl_add_u64 v[34:35], v[36:37], 0, v[4:5]
	v_cndmask_b32_e32 v5, v35, v5, vcc
	v_cndmask_b32_e64 v35, 0, 8, s[10:11]
	v_cndmask_b32_e32 v51, v34, v49, vcc
	v_add_lshl_u32 v49, v35, v13, 2
	ds_bpermute_b32 v36, v49, v51
	ds_bpermute_b32 v37, v49, v5
	v_cndmask_b32_e32 v4, v34, v4, vcc
	;; [unrolled: 12-line block ×3, first 2 shown]
	v_add_u32_e32 v52, 16, v43
	v_cmp_gt_u32_e32 vcc, v52, v9
	v_add_u32_e32 v54, 32, v43
	s_waitcnt lgkmcnt(0)
	v_lshl_add_u64 v[34:35], v[36:37], 0, v[4:5]
	v_cndmask_b32_e32 v36, v34, v53, vcc
	v_mov_b32_e32 v53, 0x80
	v_cndmask_b32_e32 v37, v35, v5, vcc
	v_lshl_or_b32 v53, v13, 2, v53
	ds_bpermute_b32 v36, v53, v36
	ds_bpermute_b32 v37, v53, v37
	s_and_saveexec_b64 s[10:11], s[8:9]
	s_cbranch_execz .LBB321_40
; %bb.39:
	v_cndmask_b32_e32 v5, v35, v5, vcc
	v_cndmask_b32_e32 v4, v34, v4, vcc
	v_cmp_le_u32_e32 vcc, v54, v9
	s_waitcnt lgkmcnt(0)
	s_nop 0
	v_cndmask_b32_e32 v7, 0, v37, vcc
	v_cndmask_b32_e32 v6, 0, v36, vcc
	v_lshl_add_u64 v[6:7], v[6:7], 0, v[4:5]
.LBB321_40:
	s_or_b64 exec, exec, s[10:11]
	s_branch .LBB321_43
.LBB321_41:                             ;   in Loop: Header=BB321_43 Depth=1
	s_or_b64 exec, exec, s[10:11]
	v_subrev_u32_e32 v30, 64, v30
	v_lshl_add_u64 v[6:7], v[6:7], 0, v[4:5]
	s_mov_b64 s[8:9], 0
.LBB321_42:                             ;   in Loop: Header=BB321_43 Depth=1
	s_and_b64 vcc, exec, s[8:9]
	s_cbranch_vccnz .LBB321_51
.LBB321_43:                             ; =>This Loop Header: Depth=1
                                        ;     Child Loop BB321_46 Depth 2
	v_cmp_ne_u16_sdwa s[8:9], v8, v42 src0_sel:BYTE_0 src1_sel:DWORD
	v_mov_b64_e32 v[4:5], v[6:7]
	s_cmp_lg_u64 s[8:9], exec
	s_mov_b64 s[8:9], -1
                                        ; implicit-def: $vgpr6_vgpr7
	s_cbranch_scc1 .LBB321_42
; %bb.44:                               ;   in Loop: Header=BB321_43 Depth=1
	v_lshl_add_u64 v[34:35], v[30:31], 4, s[22:23]
	;;#ASMSTART
	global_load_dwordx4 v[6:9], v[34:35] off sc1	
s_waitcnt vmcnt(0)
	;;#ASMEND
	s_nop 0
	v_cmp_eq_u16_sdwa s[10:11], v8, v31 src0_sel:BYTE_0 src1_sel:DWORD
	s_and_saveexec_b64 s[8:9], s[10:11]
	s_cbranch_execz .LBB321_48
; %bb.45:                               ;   in Loop: Header=BB321_43 Depth=1
	s_mov_b64 s[10:11], 0
.LBB321_46:                             ;   Parent Loop BB321_43 Depth=1
                                        ; =>  This Inner Loop Header: Depth=2
	;;#ASMSTART
	global_load_dwordx4 v[6:9], v[34:35] off sc1	
s_waitcnt vmcnt(0)
	;;#ASMEND
	s_nop 0
	v_cmp_ne_u16_sdwa s[26:27], v8, v31 src0_sel:BYTE_0 src1_sel:DWORD
	s_or_b64 s[10:11], s[26:27], s[10:11]
	s_andn2_b64 exec, exec, s[10:11]
	s_cbranch_execnz .LBB321_46
; %bb.47:                               ;   in Loop: Header=BB321_43 Depth=1
	s_or_b64 exec, exec, s[10:11]
.LBB321_48:                             ;   in Loop: Header=BB321_43 Depth=1
	s_or_b64 exec, exec, s[8:9]
	v_cmp_eq_u16_sdwa s[8:9], v8, v42 src0_sel:BYTE_0 src1_sel:DWORD
	s_waitcnt lgkmcnt(0)
	ds_bpermute_b32 v37, v44, v7
	v_mov_b32_e32 v36, v31
	v_and_b32_e32 v34, s8, v32
	v_and_b32_e32 v9, s9, v33
	v_ffbl_b32_e32 v35, v34
	ds_bpermute_b32 v34, v44, v6
	v_or_b32_e32 v9, 0x80000000, v9
	v_ffbl_b32_e32 v9, v9
	v_add_u32_e32 v9, 32, v9
	v_min_u32_e32 v9, v35, v9
	v_mov_b32_e32 v35, v31
	s_waitcnt lgkmcnt(0)
	v_lshl_add_u64 v[34:35], v[6:7], 0, v[34:35]
	v_lshl_add_u64 v[36:37], v[36:37], 0, v[34:35]
	v_cmp_lt_u32_e64 s[8:9], v43, v9
	v_cmp_gt_u32_e32 vcc, v46, v9
	s_nop 0
	v_cndmask_b32_e64 v55, v6, v34, s[8:9]
	v_cndmask_b32_e64 v35, v7, v37, s[8:9]
	ds_bpermute_b32 v56, v45, v55
	ds_bpermute_b32 v57, v45, v35
	v_cndmask_b32_e64 v34, v6, v36, s[8:9]
	s_waitcnt lgkmcnt(0)
	v_lshl_add_u64 v[36:37], v[56:57], 0, v[34:35]
	v_cndmask_b32_e32 v55, v36, v55, vcc
	v_cndmask_b32_e32 v35, v37, v35, vcc
	ds_bpermute_b32 v56, v47, v55
	ds_bpermute_b32 v57, v47, v35
	v_cndmask_b32_e32 v34, v36, v34, vcc
	v_cmp_gt_u32_e32 vcc, v48, v9
	s_waitcnt lgkmcnt(0)
	v_lshl_add_u64 v[36:37], v[56:57], 0, v[34:35]
	v_cndmask_b32_e32 v55, v36, v55, vcc
	v_cndmask_b32_e32 v35, v37, v35, vcc
	ds_bpermute_b32 v56, v49, v55
	ds_bpermute_b32 v57, v49, v35
	v_cndmask_b32_e32 v34, v36, v34, vcc
	v_cmp_gt_u32_e32 vcc, v50, v9
	;; [unrolled: 8-line block ×3, first 2 shown]
	s_waitcnt lgkmcnt(0)
	v_lshl_add_u64 v[36:37], v[56:57], 0, v[34:35]
	v_cndmask_b32_e32 v56, v37, v35, vcc
	v_cndmask_b32_e32 v55, v36, v55, vcc
	ds_bpermute_b32 v55, v53, v55
	ds_bpermute_b32 v56, v53, v56
	s_and_saveexec_b64 s[10:11], s[8:9]
	s_cbranch_execz .LBB321_41
; %bb.49:                               ;   in Loop: Header=BB321_43 Depth=1
	v_cndmask_b32_e32 v7, v37, v35, vcc
	v_cndmask_b32_e32 v6, v36, v34, vcc
	v_cmp_le_u32_e32 vcc, v54, v9
	s_waitcnt lgkmcnt(0)
	s_nop 0
	v_cndmask_b32_e32 v35, 0, v56, vcc
	v_cndmask_b32_e32 v34, 0, v55, vcc
	v_lshl_add_u64 v[6:7], v[34:35], 0, v[6:7]
	s_branch .LBB321_41
.LBB321_50:
                                        ; implicit-def: $vgpr6_vgpr7
                                        ; implicit-def: $vgpr8_vgpr9
                                        ; implicit-def: $vgpr28_vgpr29
                                        ; implicit-def: $vgpr30_vgpr31
                                        ; implicit-def: $vgpr32_vgpr33
                                        ; implicit-def: $vgpr34_vgpr35
                                        ; implicit-def: $vgpr36_vgpr37
                                        ; implicit-def: $vgpr4_vgpr5
	s_load_dwordx2 s[6:7], s[0:1], 0x30
	s_cbranch_execnz .LBB321_56
	s_branch .LBB321_67
.LBB321_51:
	s_and_saveexec_b64 s[8:9], s[6:7]
	s_cbranch_execz .LBB321_53
; %bb.52:
	s_add_i32 s2, s2, 64
	s_mov_b32 s3, 0
	s_lshl_b64 s[2:3], s[2:3], 4
	s_add_u32 s2, s22, s2
	s_addc_u32 s3, s23, s3
	v_lshl_add_u64 v[6:7], v[4:5], 0, v[2:3]
	v_mov_b32_e32 v8, 2
	v_mov_b32_e32 v9, 0
	v_mov_b64_e32 v[30:31], s[2:3]
	;;#ASMSTART
	global_store_dwordx4 v[30:31], v[6:9] off sc1	
s_waitcnt vmcnt(0)
	;;#ASMEND
	ds_write_b128 v9, v[2:5] offset:7168
.LBB321_53:
	s_or_b64 exec, exec, s[8:9]
	v_cmp_eq_u32_e32 vcc, 0, v0
	s_and_b64 exec, exec, vcc
; %bb.54:
	v_mov_b32_e32 v2, 0
	ds_write_b64 v2, v[4:5] offset:8
.LBB321_55:
	s_or_b64 exec, exec, s[24:25]
	v_mov_b32_e32 v6, 0
	s_waitcnt lgkmcnt(0)
	s_barrier
	ds_read_b64 v[2:3], v6 offset:8
	v_cndmask_b32_e64 v4, v41, v28, s[6:7]
	v_cndmask_b32_e64 v5, v40, v29, s[6:7]
	v_cmp_ne_u32_e32 vcc, 0, v0
	s_waitcnt lgkmcnt(0)
	s_barrier
	v_cndmask_b32_e32 v5, 0, v5, vcc
	v_cndmask_b32_e32 v4, 0, v4, vcc
	v_lshl_add_u64 v[36:37], v[2:3], 0, v[4:5]
	v_lshl_add_u64 v[34:35], v[36:37], 0, v[24:25]
	;; [unrolled: 1-line block ×3, first 2 shown]
	ds_read_b128 v[2:5], v6 offset:7168
	v_lshl_add_u64 v[30:31], v[32:33], 0, v[20:21]
	v_lshl_add_u64 v[28:29], v[30:31], 0, v[18:19]
	;; [unrolled: 1-line block ×4, first 2 shown]
	s_load_dwordx2 s[6:7], s[0:1], 0x30
	s_branch .LBB321_67
.LBB321_56:
	s_waitcnt lgkmcnt(0)
	v_mov_b32_e32 v4, 0
	v_mov_b32_dpp v2, v26 row_shr:1 row_mask:0xf bank_mask:0xf
	v_mov_b32_e32 v3, v4
	v_mov_b32_dpp v5, v4 row_shr:1 row_mask:0xf bank_mask:0xf
	v_lshl_add_u64 v[2:3], v[26:27], 0, v[2:3]
	v_lshl_add_u64 v[4:5], v[4:5], 0, v[2:3]
	v_cndmask_b32_e64 v6, v5, 0, s[4:5]
	v_cndmask_b32_e64 v7, v2, v26, s[4:5]
	;; [unrolled: 1-line block ×4, first 2 shown]
	v_mov_b32_dpp v4, v7 row_shr:2 row_mask:0xf bank_mask:0xf
	v_mov_b32_dpp v5, v6 row_shr:2 row_mask:0xf bank_mask:0xf
	v_lshl_add_u64 v[4:5], v[4:5], 0, v[2:3]
	v_cndmask_b32_e64 v6, v6, v5, s[12:13]
	v_cndmask_b32_e64 v7, v7, v4, s[12:13]
	;; [unrolled: 1-line block ×4, first 2 shown]
	v_mov_b32_dpp v4, v7 row_shr:4 row_mask:0xf bank_mask:0xf
	v_mov_b32_dpp v5, v6 row_shr:4 row_mask:0xf bank_mask:0xf
	v_lshl_add_u64 v[4:5], v[4:5], 0, v[2:3]
	v_cmp_lt_u32_e32 vcc, 3, v39
	v_cmp_eq_u32_e64 s[0:1], 0, v38
	v_cmp_ne_u32_e64 s[2:3], 0, v13
	v_cndmask_b32_e32 v6, v6, v5, vcc
	v_cndmask_b32_e32 v7, v7, v4, vcc
	;; [unrolled: 1-line block ×4, first 2 shown]
	v_mov_b32_dpp v4, v7 row_shr:8 row_mask:0xf bank_mask:0xf
	v_mov_b32_dpp v5, v6 row_shr:8 row_mask:0xf bank_mask:0xf
	v_lshl_add_u64 v[4:5], v[4:5], 0, v[2:3]
	v_cmp_lt_u32_e32 vcc, 7, v39
	s_nop 1
	v_cndmask_b32_e32 v6, v6, v5, vcc
	v_cndmask_b32_e32 v7, v7, v4, vcc
	;; [unrolled: 1-line block ×4, first 2 shown]
	v_mov_b32_dpp v4, v7 row_bcast:15 row_mask:0xf bank_mask:0xf
	v_mov_b32_dpp v5, v6 row_bcast:15 row_mask:0xf bank_mask:0xf
	v_lshl_add_u64 v[4:5], v[4:5], 0, v[2:3]
	v_cndmask_b32_e64 v8, v5, v6, s[0:1]
	v_cndmask_b32_e64 v6, v4, v7, s[0:1]
	v_cmp_eq_u32_e32 vcc, 0, v13
	v_mov_b32_dpp v7, v8 row_bcast:31 row_mask:0xf bank_mask:0xf
	v_mov_b32_dpp v6, v6 row_bcast:31 row_mask:0xf bank_mask:0xf
	s_and_saveexec_b64 s[4:5], s[2:3]
; %bb.57:
	v_cndmask_b32_e64 v3, v5, v3, s[0:1]
	v_cndmask_b32_e64 v2, v4, v2, s[0:1]
	v_cmp_lt_u32_e64 s[0:1], 31, v13
	s_nop 1
	v_cndmask_b32_e64 v5, 0, v7, s[0:1]
	v_cndmask_b32_e64 v4, 0, v6, s[0:1]
	v_lshl_add_u64 v[26:27], v[4:5], 0, v[2:3]
; %bb.58:
	s_or_b64 exec, exec, s[4:5]
	v_or_b32_e32 v3, 63, v0
	v_lshrrev_b32_e32 v2, 6, v0
	v_cmp_eq_u32_e64 s[0:1], v0, v3
	s_and_saveexec_b64 s[2:3], s[0:1]
; %bb.59:
	v_lshlrev_b32_e32 v3, 3, v2
	ds_write_b64 v3, v[26:27]
; %bb.60:
	s_or_b64 exec, exec, s[2:3]
	v_cmp_gt_u32_e64 s[0:1], 2, v0
	s_waitcnt lgkmcnt(0)
	s_barrier
	s_and_saveexec_b64 s[2:3], s[0:1]
	s_cbranch_execz .LBB321_62
; %bb.61:
	v_add_u32_e32 v1, v1, v0
	ds_read_b64 v[4:5], v1
	v_and_b32_e32 v3, 1, v13
	v_cmp_eq_u32_e64 s[0:1], 1, v3
	s_waitcnt lgkmcnt(0)
	v_mov_b32_dpp v6, v4 row_shr:1 row_mask:0xf bank_mask:0xf
	v_mov_b32_dpp v7, v5 row_shr:1 row_mask:0xf bank_mask:0xf
	v_cndmask_b32_e64 v7, 0, v7, s[0:1]
	v_cndmask_b32_e64 v6, 0, v6, s[0:1]
	v_lshl_add_u64 v[4:5], v[6:7], 0, v[4:5]
	ds_write_b64 v1, v[4:5]
.LBB321_62:
	s_or_b64 exec, exec, s[2:3]
	v_cmp_lt_u32_e64 s[0:1], 63, v0
	v_mov_b64_e32 v[6:7], 0
	s_waitcnt lgkmcnt(0)
	s_barrier
	s_and_saveexec_b64 s[2:3], s[0:1]
; %bb.63:
	v_lshl_add_u32 v1, v2, 3, -8
	ds_read_b64 v[6:7], v1
; %bb.64:
	s_or_b64 exec, exec, s[2:3]
	v_add_u32_e32 v1, -1, v13
	v_and_b32_e32 v4, 64, v13
	v_cmp_lt_i32_e64 s[0:1], v1, v4
	s_waitcnt lgkmcnt(0)
	v_lshl_add_u64 v[2:3], v[6:7], 0, v[26:27]
	v_mov_b32_e32 v5, 0
	v_cndmask_b32_e64 v1, v1, v13, s[0:1]
	v_lshlrev_b32_e32 v4, 2, v1
	ds_bpermute_b32 v1, v4, v2
	ds_bpermute_b32 v8, v4, v3
	ds_read_b64 v[2:3], v5 offset:8
	v_cmp_eq_u32_e64 s[0:1], 0, v0
	s_and_saveexec_b64 s[2:3], s[0:1]
	s_cbranch_execz .LBB321_66
; %bb.65:
	s_add_u32 s4, s22, 0x400
	s_addc_u32 s5, s23, 0
	v_mov_b32_e32 v4, 2
	v_mov_b64_e32 v[26:27], s[4:5]
	s_waitcnt lgkmcnt(0)
	;;#ASMSTART
	global_store_dwordx4 v[26:27], v[2:5] off sc1	
s_waitcnt vmcnt(0)
	;;#ASMEND
.LBB321_66:
	s_or_b64 exec, exec, s[2:3]
	s_waitcnt lgkmcnt(2)
	v_cndmask_b32_e32 v1, v1, v6, vcc
	s_waitcnt lgkmcnt(1)
	v_cndmask_b32_e32 v4, v8, v7, vcc
	v_cndmask_b32_e64 v37, v4, 0, s[0:1]
	v_cndmask_b32_e64 v36, v1, 0, s[0:1]
	v_lshl_add_u64 v[34:35], v[36:37], 0, v[24:25]
	v_lshl_add_u64 v[32:33], v[34:35], 0, v[22:23]
	;; [unrolled: 1-line block ×6, first 2 shown]
	s_waitcnt lgkmcnt(0)
	s_barrier
	v_mov_b64_e32 v[4:5], 0
.LBB321_67:
	s_mov_b64 s[0:1], 0x81
	s_waitcnt lgkmcnt(0)
	v_cmp_gt_u64_e32 vcc, s[0:1], v[2:3]
	s_mov_b64 s[2:3], -1
	v_lshl_add_u64 v[26:27], v[4:5], 0, v[2:3]
	v_cmp_eq_u32_e64 s[0:1], 1, v24
	s_cbranch_vccnz .LBB321_71
; %bb.68:
	s_and_b64 vcc, exec, s[2:3]
	s_cbranch_vccnz .LBB321_86
.LBB321_69:
	v_cmp_eq_u32_e32 vcc, 0, v0
	s_and_b64 s[0:1], vcc, s[18:19]
	s_and_saveexec_b64 s[2:3], s[0:1]
	s_cbranch_execnz .LBB321_97
.LBB321_70:
	s_endpgm
.LBB321_71:
	v_cmp_lt_u64_e32 vcc, v[36:37], v[26:27]
	s_or_b64 s[2:3], s[20:21], vcc
	s_and_b64 s[2:3], s[2:3], s[0:1]
	s_and_saveexec_b64 s[0:1], s[2:3]
	s_cbranch_execz .LBB321_73
; %bb.72:
	s_lshl_b64 s[2:3], s[14:15], 3
	s_add_u32 s2, s6, s2
	s_addc_u32 s3, s7, s3
	v_lshl_add_u64 v[38:39], v[36:37], 3, s[2:3]
	global_store_dwordx2 v[38:39], v[66:67], off
.LBB321_73:
	s_or_b64 exec, exec, s[0:1]
	v_cmp_lt_u64_e32 vcc, v[34:35], v[26:27]
	s_or_b64 s[0:1], s[20:21], vcc
	v_cmp_eq_u32_e32 vcc, 1, v22
	s_and_b64 s[2:3], s[0:1], vcc
	s_and_saveexec_b64 s[0:1], s[2:3]
	s_cbranch_execz .LBB321_75
; %bb.74:
	s_lshl_b64 s[2:3], s[14:15], 3
	s_add_u32 s2, s6, s2
	s_addc_u32 s3, s7, s3
	v_lshl_add_u64 v[38:39], v[34:35], 3, s[2:3]
	global_store_dwordx2 v[38:39], v[68:69], off
.LBB321_75:
	s_or_b64 exec, exec, s[0:1]
	v_cmp_lt_u64_e32 vcc, v[32:33], v[26:27]
	s_or_b64 s[0:1], s[20:21], vcc
	v_cmp_eq_u32_e32 vcc, 1, v20
	s_and_b64 s[2:3], s[0:1], vcc
	;; [unrolled: 14-line block ×6, first 2 shown]
	s_and_saveexec_b64 s[0:1], s[2:3]
	s_cbranch_execz .LBB321_85
; %bb.84:
	s_lshl_b64 s[2:3], s[14:15], 3
	s_add_u32 s2, s6, s2
	s_addc_u32 s3, s7, s3
	v_lshl_add_u64 v[38:39], v[6:7], 3, s[2:3]
	global_store_dwordx2 v[38:39], v[10:11], off
.LBB321_85:
	s_or_b64 exec, exec, s[0:1]
	s_branch .LBB321_69
.LBB321_86:
	v_cmp_eq_u32_e32 vcc, 1, v24
	s_and_saveexec_b64 s[0:1], vcc
	s_cbranch_execnz .LBB321_98
; %bb.87:
	s_or_b64 exec, exec, s[0:1]
	v_cmp_eq_u32_e32 vcc, 1, v22
	s_and_saveexec_b64 s[0:1], vcc
	s_cbranch_execnz .LBB321_99
.LBB321_88:
	s_or_b64 exec, exec, s[0:1]
	v_cmp_eq_u32_e32 vcc, 1, v20
	s_and_saveexec_b64 s[0:1], vcc
	s_cbranch_execnz .LBB321_100
.LBB321_89:
	s_or_b64 exec, exec, s[0:1]
	v_cmp_eq_u32_e32 vcc, 1, v18
	s_and_saveexec_b64 s[0:1], vcc
	s_cbranch_execnz .LBB321_101
.LBB321_90:
	s_or_b64 exec, exec, s[0:1]
	v_cmp_eq_u32_e32 vcc, 1, v16
	s_and_saveexec_b64 s[0:1], vcc
	s_cbranch_execnz .LBB321_102
.LBB321_91:
	s_or_b64 exec, exec, s[0:1]
	v_cmp_eq_u32_e32 vcc, 1, v14
	s_and_saveexec_b64 s[0:1], vcc
	s_cbranch_execnz .LBB321_103
.LBB321_92:
	s_or_b64 exec, exec, s[0:1]
	v_cmp_eq_u32_e32 vcc, 1, v12
	s_and_saveexec_b64 s[0:1], vcc
.LBB321_93:
	v_sub_u32_e32 v1, v6, v4
	v_lshlrev_b32_e32 v1, 3, v1
	ds_write_b64 v1, v[10:11]
.LBB321_94:
	s_or_b64 exec, exec, s[0:1]
	v_mov_b32_e32 v7, 0
	v_lshlrev_b64 v[4:5], 3, v[4:5]
	v_mov_b32_e32 v1, v7
	v_lshl_add_u64 v[4:5], s[6:7], 0, v[4:5]
	s_lshl_b64 s[0:1], s[14:15], 3
	v_lshl_add_u64 v[4:5], v[4:5], 0, s[0:1]
	v_or_b32_e32 v6, 0x80, v0
	s_mov_b64 s[0:1], 0
	v_mov_b64_e32 v[8:9], v[0:1]
	s_waitcnt lgkmcnt(0)
	s_barrier
.LBB321_95:                             ; =>This Inner Loop Header: Depth=1
	v_lshlrev_b32_e32 v1, 3, v8
	ds_read_b64 v[12:13], v1
	v_cmp_le_u64_e32 vcc, v[2:3], v[6:7]
	v_lshl_add_u64 v[10:11], v[8:9], 3, v[4:5]
	v_mov_b64_e32 v[8:9], v[6:7]
	v_add_u32_e32 v6, 0x80, v6
	s_or_b64 s[0:1], vcc, s[0:1]
	s_waitcnt lgkmcnt(0)
	global_store_dwordx2 v[10:11], v[12:13], off
	s_andn2_b64 exec, exec, s[0:1]
	s_cbranch_execnz .LBB321_95
; %bb.96:
	s_or_b64 exec, exec, s[0:1]
	v_cmp_eq_u32_e32 vcc, 0, v0
	s_and_b64 s[0:1], vcc, s[18:19]
	s_and_saveexec_b64 s[2:3], s[0:1]
	s_cbranch_execz .LBB321_70
.LBB321_97:
	v_mov_b32_e32 v2, 0
	v_lshl_add_u64 v[0:1], v[26:27], 0, s[14:15]
	global_store_dwordx2 v2, v[0:1], s[16:17]
	s_endpgm
.LBB321_98:
	v_sub_u32_e32 v1, v36, v4
	v_lshlrev_b32_e32 v1, 3, v1
	ds_write_b64 v1, v[66:67]
	s_or_b64 exec, exec, s[0:1]
	v_cmp_eq_u32_e32 vcc, 1, v22
	s_and_saveexec_b64 s[0:1], vcc
	s_cbranch_execz .LBB321_88
.LBB321_99:
	v_sub_u32_e32 v1, v34, v4
	v_lshlrev_b32_e32 v1, 3, v1
	ds_write_b64 v1, v[68:69]
	s_or_b64 exec, exec, s[0:1]
	v_cmp_eq_u32_e32 vcc, 1, v20
	s_and_saveexec_b64 s[0:1], vcc
	s_cbranch_execz .LBB321_89
.LBB321_100:
	v_sub_u32_e32 v1, v32, v4
	v_lshlrev_b32_e32 v1, 3, v1
	ds_write_b64 v1, v[62:63]
	s_or_b64 exec, exec, s[0:1]
	v_cmp_eq_u32_e32 vcc, 1, v18
	s_and_saveexec_b64 s[0:1], vcc
	s_cbranch_execz .LBB321_90
.LBB321_101:
	v_sub_u32_e32 v1, v30, v4
	v_lshlrev_b32_e32 v1, 3, v1
	ds_write_b64 v1, v[64:65]
	s_or_b64 exec, exec, s[0:1]
	v_cmp_eq_u32_e32 vcc, 1, v16
	s_and_saveexec_b64 s[0:1], vcc
	s_cbranch_execz .LBB321_91
.LBB321_102:
	v_sub_u32_e32 v1, v28, v4
	v_lshlrev_b32_e32 v1, 3, v1
	ds_write_b64 v1, v[58:59]
	s_or_b64 exec, exec, s[0:1]
	v_cmp_eq_u32_e32 vcc, 1, v14
	s_and_saveexec_b64 s[0:1], vcc
	s_cbranch_execz .LBB321_92
.LBB321_103:
	v_sub_u32_e32 v1, v8, v4
	v_lshlrev_b32_e32 v1, 3, v1
	ds_write_b64 v1, v[60:61]
	s_or_b64 exec, exec, s[0:1]
	v_cmp_eq_u32_e32 vcc, 1, v12
	s_and_saveexec_b64 s[0:1], vcc
	s_cbranch_execnz .LBB321_93
	s_branch .LBB321_94
	.section	.rodata,"a",@progbits
	.p2align	6, 0x0
	.amdhsa_kernel _ZN7rocprim17ROCPRIM_400000_NS6detail17trampoline_kernelINS0_14default_configENS1_25partition_config_selectorILNS1_17partition_subalgoE5ElNS0_10empty_typeEbEEZZNS1_14partition_implILS5_5ELb0ES3_mN6hipcub16HIPCUB_304000_NS21CountingInputIteratorIllEEPS6_NSA_22TransformInputIteratorIb7NonZeroIdEPdlEENS0_5tupleIJPlS6_EEENSJ_IJSD_SD_EEES6_SK_JS6_EEE10hipError_tPvRmT3_T4_T5_T6_T7_T9_mT8_P12ihipStream_tbDpT10_ENKUlT_T0_E_clISt17integral_constantIbLb0EES16_EEDaS11_S12_EUlS11_E_NS1_11comp_targetILNS1_3genE0ELNS1_11target_archE4294967295ELNS1_3gpuE0ELNS1_3repE0EEENS1_30default_config_static_selectorELNS0_4arch9wavefront6targetE1EEEvT1_
		.amdhsa_group_segment_fixed_size 7184
		.amdhsa_private_segment_fixed_size 0
		.amdhsa_kernarg_size 120
		.amdhsa_user_sgpr_count 2
		.amdhsa_user_sgpr_dispatch_ptr 0
		.amdhsa_user_sgpr_queue_ptr 0
		.amdhsa_user_sgpr_kernarg_segment_ptr 1
		.amdhsa_user_sgpr_dispatch_id 0
		.amdhsa_user_sgpr_kernarg_preload_length 0
		.amdhsa_user_sgpr_kernarg_preload_offset 0
		.amdhsa_user_sgpr_private_segment_size 0
		.amdhsa_uses_dynamic_stack 0
		.amdhsa_enable_private_segment 0
		.amdhsa_system_sgpr_workgroup_id_x 1
		.amdhsa_system_sgpr_workgroup_id_y 0
		.amdhsa_system_sgpr_workgroup_id_z 0
		.amdhsa_system_sgpr_workgroup_info 0
		.amdhsa_system_vgpr_workitem_id 0
		.amdhsa_next_free_vgpr 70
		.amdhsa_next_free_sgpr 28
		.amdhsa_accum_offset 72
		.amdhsa_reserve_vcc 1
		.amdhsa_float_round_mode_32 0
		.amdhsa_float_round_mode_16_64 0
		.amdhsa_float_denorm_mode_32 3
		.amdhsa_float_denorm_mode_16_64 3
		.amdhsa_dx10_clamp 1
		.amdhsa_ieee_mode 1
		.amdhsa_fp16_overflow 0
		.amdhsa_tg_split 0
		.amdhsa_exception_fp_ieee_invalid_op 0
		.amdhsa_exception_fp_denorm_src 0
		.amdhsa_exception_fp_ieee_div_zero 0
		.amdhsa_exception_fp_ieee_overflow 0
		.amdhsa_exception_fp_ieee_underflow 0
		.amdhsa_exception_fp_ieee_inexact 0
		.amdhsa_exception_int_div_zero 0
	.end_amdhsa_kernel
	.section	.text._ZN7rocprim17ROCPRIM_400000_NS6detail17trampoline_kernelINS0_14default_configENS1_25partition_config_selectorILNS1_17partition_subalgoE5ElNS0_10empty_typeEbEEZZNS1_14partition_implILS5_5ELb0ES3_mN6hipcub16HIPCUB_304000_NS21CountingInputIteratorIllEEPS6_NSA_22TransformInputIteratorIb7NonZeroIdEPdlEENS0_5tupleIJPlS6_EEENSJ_IJSD_SD_EEES6_SK_JS6_EEE10hipError_tPvRmT3_T4_T5_T6_T7_T9_mT8_P12ihipStream_tbDpT10_ENKUlT_T0_E_clISt17integral_constantIbLb0EES16_EEDaS11_S12_EUlS11_E_NS1_11comp_targetILNS1_3genE0ELNS1_11target_archE4294967295ELNS1_3gpuE0ELNS1_3repE0EEENS1_30default_config_static_selectorELNS0_4arch9wavefront6targetE1EEEvT1_,"axG",@progbits,_ZN7rocprim17ROCPRIM_400000_NS6detail17trampoline_kernelINS0_14default_configENS1_25partition_config_selectorILNS1_17partition_subalgoE5ElNS0_10empty_typeEbEEZZNS1_14partition_implILS5_5ELb0ES3_mN6hipcub16HIPCUB_304000_NS21CountingInputIteratorIllEEPS6_NSA_22TransformInputIteratorIb7NonZeroIdEPdlEENS0_5tupleIJPlS6_EEENSJ_IJSD_SD_EEES6_SK_JS6_EEE10hipError_tPvRmT3_T4_T5_T6_T7_T9_mT8_P12ihipStream_tbDpT10_ENKUlT_T0_E_clISt17integral_constantIbLb0EES16_EEDaS11_S12_EUlS11_E_NS1_11comp_targetILNS1_3genE0ELNS1_11target_archE4294967295ELNS1_3gpuE0ELNS1_3repE0EEENS1_30default_config_static_selectorELNS0_4arch9wavefront6targetE1EEEvT1_,comdat
.Lfunc_end321:
	.size	_ZN7rocprim17ROCPRIM_400000_NS6detail17trampoline_kernelINS0_14default_configENS1_25partition_config_selectorILNS1_17partition_subalgoE5ElNS0_10empty_typeEbEEZZNS1_14partition_implILS5_5ELb0ES3_mN6hipcub16HIPCUB_304000_NS21CountingInputIteratorIllEEPS6_NSA_22TransformInputIteratorIb7NonZeroIdEPdlEENS0_5tupleIJPlS6_EEENSJ_IJSD_SD_EEES6_SK_JS6_EEE10hipError_tPvRmT3_T4_T5_T6_T7_T9_mT8_P12ihipStream_tbDpT10_ENKUlT_T0_E_clISt17integral_constantIbLb0EES16_EEDaS11_S12_EUlS11_E_NS1_11comp_targetILNS1_3genE0ELNS1_11target_archE4294967295ELNS1_3gpuE0ELNS1_3repE0EEENS1_30default_config_static_selectorELNS0_4arch9wavefront6targetE1EEEvT1_, .Lfunc_end321-_ZN7rocprim17ROCPRIM_400000_NS6detail17trampoline_kernelINS0_14default_configENS1_25partition_config_selectorILNS1_17partition_subalgoE5ElNS0_10empty_typeEbEEZZNS1_14partition_implILS5_5ELb0ES3_mN6hipcub16HIPCUB_304000_NS21CountingInputIteratorIllEEPS6_NSA_22TransformInputIteratorIb7NonZeroIdEPdlEENS0_5tupleIJPlS6_EEENSJ_IJSD_SD_EEES6_SK_JS6_EEE10hipError_tPvRmT3_T4_T5_T6_T7_T9_mT8_P12ihipStream_tbDpT10_ENKUlT_T0_E_clISt17integral_constantIbLb0EES16_EEDaS11_S12_EUlS11_E_NS1_11comp_targetILNS1_3genE0ELNS1_11target_archE4294967295ELNS1_3gpuE0ELNS1_3repE0EEENS1_30default_config_static_selectorELNS0_4arch9wavefront6targetE1EEEvT1_
                                        ; -- End function
	.set _ZN7rocprim17ROCPRIM_400000_NS6detail17trampoline_kernelINS0_14default_configENS1_25partition_config_selectorILNS1_17partition_subalgoE5ElNS0_10empty_typeEbEEZZNS1_14partition_implILS5_5ELb0ES3_mN6hipcub16HIPCUB_304000_NS21CountingInputIteratorIllEEPS6_NSA_22TransformInputIteratorIb7NonZeroIdEPdlEENS0_5tupleIJPlS6_EEENSJ_IJSD_SD_EEES6_SK_JS6_EEE10hipError_tPvRmT3_T4_T5_T6_T7_T9_mT8_P12ihipStream_tbDpT10_ENKUlT_T0_E_clISt17integral_constantIbLb0EES16_EEDaS11_S12_EUlS11_E_NS1_11comp_targetILNS1_3genE0ELNS1_11target_archE4294967295ELNS1_3gpuE0ELNS1_3repE0EEENS1_30default_config_static_selectorELNS0_4arch9wavefront6targetE1EEEvT1_.num_vgpr, 70
	.set _ZN7rocprim17ROCPRIM_400000_NS6detail17trampoline_kernelINS0_14default_configENS1_25partition_config_selectorILNS1_17partition_subalgoE5ElNS0_10empty_typeEbEEZZNS1_14partition_implILS5_5ELb0ES3_mN6hipcub16HIPCUB_304000_NS21CountingInputIteratorIllEEPS6_NSA_22TransformInputIteratorIb7NonZeroIdEPdlEENS0_5tupleIJPlS6_EEENSJ_IJSD_SD_EEES6_SK_JS6_EEE10hipError_tPvRmT3_T4_T5_T6_T7_T9_mT8_P12ihipStream_tbDpT10_ENKUlT_T0_E_clISt17integral_constantIbLb0EES16_EEDaS11_S12_EUlS11_E_NS1_11comp_targetILNS1_3genE0ELNS1_11target_archE4294967295ELNS1_3gpuE0ELNS1_3repE0EEENS1_30default_config_static_selectorELNS0_4arch9wavefront6targetE1EEEvT1_.num_agpr, 0
	.set _ZN7rocprim17ROCPRIM_400000_NS6detail17trampoline_kernelINS0_14default_configENS1_25partition_config_selectorILNS1_17partition_subalgoE5ElNS0_10empty_typeEbEEZZNS1_14partition_implILS5_5ELb0ES3_mN6hipcub16HIPCUB_304000_NS21CountingInputIteratorIllEEPS6_NSA_22TransformInputIteratorIb7NonZeroIdEPdlEENS0_5tupleIJPlS6_EEENSJ_IJSD_SD_EEES6_SK_JS6_EEE10hipError_tPvRmT3_T4_T5_T6_T7_T9_mT8_P12ihipStream_tbDpT10_ENKUlT_T0_E_clISt17integral_constantIbLb0EES16_EEDaS11_S12_EUlS11_E_NS1_11comp_targetILNS1_3genE0ELNS1_11target_archE4294967295ELNS1_3gpuE0ELNS1_3repE0EEENS1_30default_config_static_selectorELNS0_4arch9wavefront6targetE1EEEvT1_.numbered_sgpr, 28
	.set _ZN7rocprim17ROCPRIM_400000_NS6detail17trampoline_kernelINS0_14default_configENS1_25partition_config_selectorILNS1_17partition_subalgoE5ElNS0_10empty_typeEbEEZZNS1_14partition_implILS5_5ELb0ES3_mN6hipcub16HIPCUB_304000_NS21CountingInputIteratorIllEEPS6_NSA_22TransformInputIteratorIb7NonZeroIdEPdlEENS0_5tupleIJPlS6_EEENSJ_IJSD_SD_EEES6_SK_JS6_EEE10hipError_tPvRmT3_T4_T5_T6_T7_T9_mT8_P12ihipStream_tbDpT10_ENKUlT_T0_E_clISt17integral_constantIbLb0EES16_EEDaS11_S12_EUlS11_E_NS1_11comp_targetILNS1_3genE0ELNS1_11target_archE4294967295ELNS1_3gpuE0ELNS1_3repE0EEENS1_30default_config_static_selectorELNS0_4arch9wavefront6targetE1EEEvT1_.num_named_barrier, 0
	.set _ZN7rocprim17ROCPRIM_400000_NS6detail17trampoline_kernelINS0_14default_configENS1_25partition_config_selectorILNS1_17partition_subalgoE5ElNS0_10empty_typeEbEEZZNS1_14partition_implILS5_5ELb0ES3_mN6hipcub16HIPCUB_304000_NS21CountingInputIteratorIllEEPS6_NSA_22TransformInputIteratorIb7NonZeroIdEPdlEENS0_5tupleIJPlS6_EEENSJ_IJSD_SD_EEES6_SK_JS6_EEE10hipError_tPvRmT3_T4_T5_T6_T7_T9_mT8_P12ihipStream_tbDpT10_ENKUlT_T0_E_clISt17integral_constantIbLb0EES16_EEDaS11_S12_EUlS11_E_NS1_11comp_targetILNS1_3genE0ELNS1_11target_archE4294967295ELNS1_3gpuE0ELNS1_3repE0EEENS1_30default_config_static_selectorELNS0_4arch9wavefront6targetE1EEEvT1_.private_seg_size, 0
	.set _ZN7rocprim17ROCPRIM_400000_NS6detail17trampoline_kernelINS0_14default_configENS1_25partition_config_selectorILNS1_17partition_subalgoE5ElNS0_10empty_typeEbEEZZNS1_14partition_implILS5_5ELb0ES3_mN6hipcub16HIPCUB_304000_NS21CountingInputIteratorIllEEPS6_NSA_22TransformInputIteratorIb7NonZeroIdEPdlEENS0_5tupleIJPlS6_EEENSJ_IJSD_SD_EEES6_SK_JS6_EEE10hipError_tPvRmT3_T4_T5_T6_T7_T9_mT8_P12ihipStream_tbDpT10_ENKUlT_T0_E_clISt17integral_constantIbLb0EES16_EEDaS11_S12_EUlS11_E_NS1_11comp_targetILNS1_3genE0ELNS1_11target_archE4294967295ELNS1_3gpuE0ELNS1_3repE0EEENS1_30default_config_static_selectorELNS0_4arch9wavefront6targetE1EEEvT1_.uses_vcc, 1
	.set _ZN7rocprim17ROCPRIM_400000_NS6detail17trampoline_kernelINS0_14default_configENS1_25partition_config_selectorILNS1_17partition_subalgoE5ElNS0_10empty_typeEbEEZZNS1_14partition_implILS5_5ELb0ES3_mN6hipcub16HIPCUB_304000_NS21CountingInputIteratorIllEEPS6_NSA_22TransformInputIteratorIb7NonZeroIdEPdlEENS0_5tupleIJPlS6_EEENSJ_IJSD_SD_EEES6_SK_JS6_EEE10hipError_tPvRmT3_T4_T5_T6_T7_T9_mT8_P12ihipStream_tbDpT10_ENKUlT_T0_E_clISt17integral_constantIbLb0EES16_EEDaS11_S12_EUlS11_E_NS1_11comp_targetILNS1_3genE0ELNS1_11target_archE4294967295ELNS1_3gpuE0ELNS1_3repE0EEENS1_30default_config_static_selectorELNS0_4arch9wavefront6targetE1EEEvT1_.uses_flat_scratch, 0
	.set _ZN7rocprim17ROCPRIM_400000_NS6detail17trampoline_kernelINS0_14default_configENS1_25partition_config_selectorILNS1_17partition_subalgoE5ElNS0_10empty_typeEbEEZZNS1_14partition_implILS5_5ELb0ES3_mN6hipcub16HIPCUB_304000_NS21CountingInputIteratorIllEEPS6_NSA_22TransformInputIteratorIb7NonZeroIdEPdlEENS0_5tupleIJPlS6_EEENSJ_IJSD_SD_EEES6_SK_JS6_EEE10hipError_tPvRmT3_T4_T5_T6_T7_T9_mT8_P12ihipStream_tbDpT10_ENKUlT_T0_E_clISt17integral_constantIbLb0EES16_EEDaS11_S12_EUlS11_E_NS1_11comp_targetILNS1_3genE0ELNS1_11target_archE4294967295ELNS1_3gpuE0ELNS1_3repE0EEENS1_30default_config_static_selectorELNS0_4arch9wavefront6targetE1EEEvT1_.has_dyn_sized_stack, 0
	.set _ZN7rocprim17ROCPRIM_400000_NS6detail17trampoline_kernelINS0_14default_configENS1_25partition_config_selectorILNS1_17partition_subalgoE5ElNS0_10empty_typeEbEEZZNS1_14partition_implILS5_5ELb0ES3_mN6hipcub16HIPCUB_304000_NS21CountingInputIteratorIllEEPS6_NSA_22TransformInputIteratorIb7NonZeroIdEPdlEENS0_5tupleIJPlS6_EEENSJ_IJSD_SD_EEES6_SK_JS6_EEE10hipError_tPvRmT3_T4_T5_T6_T7_T9_mT8_P12ihipStream_tbDpT10_ENKUlT_T0_E_clISt17integral_constantIbLb0EES16_EEDaS11_S12_EUlS11_E_NS1_11comp_targetILNS1_3genE0ELNS1_11target_archE4294967295ELNS1_3gpuE0ELNS1_3repE0EEENS1_30default_config_static_selectorELNS0_4arch9wavefront6targetE1EEEvT1_.has_recursion, 0
	.set _ZN7rocprim17ROCPRIM_400000_NS6detail17trampoline_kernelINS0_14default_configENS1_25partition_config_selectorILNS1_17partition_subalgoE5ElNS0_10empty_typeEbEEZZNS1_14partition_implILS5_5ELb0ES3_mN6hipcub16HIPCUB_304000_NS21CountingInputIteratorIllEEPS6_NSA_22TransformInputIteratorIb7NonZeroIdEPdlEENS0_5tupleIJPlS6_EEENSJ_IJSD_SD_EEES6_SK_JS6_EEE10hipError_tPvRmT3_T4_T5_T6_T7_T9_mT8_P12ihipStream_tbDpT10_ENKUlT_T0_E_clISt17integral_constantIbLb0EES16_EEDaS11_S12_EUlS11_E_NS1_11comp_targetILNS1_3genE0ELNS1_11target_archE4294967295ELNS1_3gpuE0ELNS1_3repE0EEENS1_30default_config_static_selectorELNS0_4arch9wavefront6targetE1EEEvT1_.has_indirect_call, 0
	.section	.AMDGPU.csdata,"",@progbits
; Kernel info:
; codeLenInByte = 6084
; TotalNumSgprs: 34
; NumVgprs: 70
; NumAgprs: 0
; TotalNumVgprs: 70
; ScratchSize: 0
; MemoryBound: 0
; FloatMode: 240
; IeeeMode: 1
; LDSByteSize: 7184 bytes/workgroup (compile time only)
; SGPRBlocks: 4
; VGPRBlocks: 8
; NumSGPRsForWavesPerEU: 34
; NumVGPRsForWavesPerEU: 70
; AccumOffset: 72
; Occupancy: 7
; WaveLimiterHint : 1
; COMPUTE_PGM_RSRC2:SCRATCH_EN: 0
; COMPUTE_PGM_RSRC2:USER_SGPR: 2
; COMPUTE_PGM_RSRC2:TRAP_HANDLER: 0
; COMPUTE_PGM_RSRC2:TGID_X_EN: 1
; COMPUTE_PGM_RSRC2:TGID_Y_EN: 0
; COMPUTE_PGM_RSRC2:TGID_Z_EN: 0
; COMPUTE_PGM_RSRC2:TIDIG_COMP_CNT: 0
; COMPUTE_PGM_RSRC3_GFX90A:ACCUM_OFFSET: 17
; COMPUTE_PGM_RSRC3_GFX90A:TG_SPLIT: 0
	.section	.text._ZN7rocprim17ROCPRIM_400000_NS6detail17trampoline_kernelINS0_14default_configENS1_25partition_config_selectorILNS1_17partition_subalgoE5ElNS0_10empty_typeEbEEZZNS1_14partition_implILS5_5ELb0ES3_mN6hipcub16HIPCUB_304000_NS21CountingInputIteratorIllEEPS6_NSA_22TransformInputIteratorIb7NonZeroIdEPdlEENS0_5tupleIJPlS6_EEENSJ_IJSD_SD_EEES6_SK_JS6_EEE10hipError_tPvRmT3_T4_T5_T6_T7_T9_mT8_P12ihipStream_tbDpT10_ENKUlT_T0_E_clISt17integral_constantIbLb0EES16_EEDaS11_S12_EUlS11_E_NS1_11comp_targetILNS1_3genE5ELNS1_11target_archE942ELNS1_3gpuE9ELNS1_3repE0EEENS1_30default_config_static_selectorELNS0_4arch9wavefront6targetE1EEEvT1_,"axG",@progbits,_ZN7rocprim17ROCPRIM_400000_NS6detail17trampoline_kernelINS0_14default_configENS1_25partition_config_selectorILNS1_17partition_subalgoE5ElNS0_10empty_typeEbEEZZNS1_14partition_implILS5_5ELb0ES3_mN6hipcub16HIPCUB_304000_NS21CountingInputIteratorIllEEPS6_NSA_22TransformInputIteratorIb7NonZeroIdEPdlEENS0_5tupleIJPlS6_EEENSJ_IJSD_SD_EEES6_SK_JS6_EEE10hipError_tPvRmT3_T4_T5_T6_T7_T9_mT8_P12ihipStream_tbDpT10_ENKUlT_T0_E_clISt17integral_constantIbLb0EES16_EEDaS11_S12_EUlS11_E_NS1_11comp_targetILNS1_3genE5ELNS1_11target_archE942ELNS1_3gpuE9ELNS1_3repE0EEENS1_30default_config_static_selectorELNS0_4arch9wavefront6targetE1EEEvT1_,comdat
	.protected	_ZN7rocprim17ROCPRIM_400000_NS6detail17trampoline_kernelINS0_14default_configENS1_25partition_config_selectorILNS1_17partition_subalgoE5ElNS0_10empty_typeEbEEZZNS1_14partition_implILS5_5ELb0ES3_mN6hipcub16HIPCUB_304000_NS21CountingInputIteratorIllEEPS6_NSA_22TransformInputIteratorIb7NonZeroIdEPdlEENS0_5tupleIJPlS6_EEENSJ_IJSD_SD_EEES6_SK_JS6_EEE10hipError_tPvRmT3_T4_T5_T6_T7_T9_mT8_P12ihipStream_tbDpT10_ENKUlT_T0_E_clISt17integral_constantIbLb0EES16_EEDaS11_S12_EUlS11_E_NS1_11comp_targetILNS1_3genE5ELNS1_11target_archE942ELNS1_3gpuE9ELNS1_3repE0EEENS1_30default_config_static_selectorELNS0_4arch9wavefront6targetE1EEEvT1_ ; -- Begin function _ZN7rocprim17ROCPRIM_400000_NS6detail17trampoline_kernelINS0_14default_configENS1_25partition_config_selectorILNS1_17partition_subalgoE5ElNS0_10empty_typeEbEEZZNS1_14partition_implILS5_5ELb0ES3_mN6hipcub16HIPCUB_304000_NS21CountingInputIteratorIllEEPS6_NSA_22TransformInputIteratorIb7NonZeroIdEPdlEENS0_5tupleIJPlS6_EEENSJ_IJSD_SD_EEES6_SK_JS6_EEE10hipError_tPvRmT3_T4_T5_T6_T7_T9_mT8_P12ihipStream_tbDpT10_ENKUlT_T0_E_clISt17integral_constantIbLb0EES16_EEDaS11_S12_EUlS11_E_NS1_11comp_targetILNS1_3genE5ELNS1_11target_archE942ELNS1_3gpuE9ELNS1_3repE0EEENS1_30default_config_static_selectorELNS0_4arch9wavefront6targetE1EEEvT1_
	.globl	_ZN7rocprim17ROCPRIM_400000_NS6detail17trampoline_kernelINS0_14default_configENS1_25partition_config_selectorILNS1_17partition_subalgoE5ElNS0_10empty_typeEbEEZZNS1_14partition_implILS5_5ELb0ES3_mN6hipcub16HIPCUB_304000_NS21CountingInputIteratorIllEEPS6_NSA_22TransformInputIteratorIb7NonZeroIdEPdlEENS0_5tupleIJPlS6_EEENSJ_IJSD_SD_EEES6_SK_JS6_EEE10hipError_tPvRmT3_T4_T5_T6_T7_T9_mT8_P12ihipStream_tbDpT10_ENKUlT_T0_E_clISt17integral_constantIbLb0EES16_EEDaS11_S12_EUlS11_E_NS1_11comp_targetILNS1_3genE5ELNS1_11target_archE942ELNS1_3gpuE9ELNS1_3repE0EEENS1_30default_config_static_selectorELNS0_4arch9wavefront6targetE1EEEvT1_
	.p2align	8
	.type	_ZN7rocprim17ROCPRIM_400000_NS6detail17trampoline_kernelINS0_14default_configENS1_25partition_config_selectorILNS1_17partition_subalgoE5ElNS0_10empty_typeEbEEZZNS1_14partition_implILS5_5ELb0ES3_mN6hipcub16HIPCUB_304000_NS21CountingInputIteratorIllEEPS6_NSA_22TransformInputIteratorIb7NonZeroIdEPdlEENS0_5tupleIJPlS6_EEENSJ_IJSD_SD_EEES6_SK_JS6_EEE10hipError_tPvRmT3_T4_T5_T6_T7_T9_mT8_P12ihipStream_tbDpT10_ENKUlT_T0_E_clISt17integral_constantIbLb0EES16_EEDaS11_S12_EUlS11_E_NS1_11comp_targetILNS1_3genE5ELNS1_11target_archE942ELNS1_3gpuE9ELNS1_3repE0EEENS1_30default_config_static_selectorELNS0_4arch9wavefront6targetE1EEEvT1_,@function
_ZN7rocprim17ROCPRIM_400000_NS6detail17trampoline_kernelINS0_14default_configENS1_25partition_config_selectorILNS1_17partition_subalgoE5ElNS0_10empty_typeEbEEZZNS1_14partition_implILS5_5ELb0ES3_mN6hipcub16HIPCUB_304000_NS21CountingInputIteratorIllEEPS6_NSA_22TransformInputIteratorIb7NonZeroIdEPdlEENS0_5tupleIJPlS6_EEENSJ_IJSD_SD_EEES6_SK_JS6_EEE10hipError_tPvRmT3_T4_T5_T6_T7_T9_mT8_P12ihipStream_tbDpT10_ENKUlT_T0_E_clISt17integral_constantIbLb0EES16_EEDaS11_S12_EUlS11_E_NS1_11comp_targetILNS1_3genE5ELNS1_11target_archE942ELNS1_3gpuE9ELNS1_3repE0EEENS1_30default_config_static_selectorELNS0_4arch9wavefront6targetE1EEEvT1_: ; @_ZN7rocprim17ROCPRIM_400000_NS6detail17trampoline_kernelINS0_14default_configENS1_25partition_config_selectorILNS1_17partition_subalgoE5ElNS0_10empty_typeEbEEZZNS1_14partition_implILS5_5ELb0ES3_mN6hipcub16HIPCUB_304000_NS21CountingInputIteratorIllEEPS6_NSA_22TransformInputIteratorIb7NonZeroIdEPdlEENS0_5tupleIJPlS6_EEENSJ_IJSD_SD_EEES6_SK_JS6_EEE10hipError_tPvRmT3_T4_T5_T6_T7_T9_mT8_P12ihipStream_tbDpT10_ENKUlT_T0_E_clISt17integral_constantIbLb0EES16_EEDaS11_S12_EUlS11_E_NS1_11comp_targetILNS1_3genE5ELNS1_11target_archE942ELNS1_3gpuE9ELNS1_3repE0EEENS1_30default_config_static_selectorELNS0_4arch9wavefront6targetE1EEEvT1_
; %bb.0:
	.section	.rodata,"a",@progbits
	.p2align	6, 0x0
	.amdhsa_kernel _ZN7rocprim17ROCPRIM_400000_NS6detail17trampoline_kernelINS0_14default_configENS1_25partition_config_selectorILNS1_17partition_subalgoE5ElNS0_10empty_typeEbEEZZNS1_14partition_implILS5_5ELb0ES3_mN6hipcub16HIPCUB_304000_NS21CountingInputIteratorIllEEPS6_NSA_22TransformInputIteratorIb7NonZeroIdEPdlEENS0_5tupleIJPlS6_EEENSJ_IJSD_SD_EEES6_SK_JS6_EEE10hipError_tPvRmT3_T4_T5_T6_T7_T9_mT8_P12ihipStream_tbDpT10_ENKUlT_T0_E_clISt17integral_constantIbLb0EES16_EEDaS11_S12_EUlS11_E_NS1_11comp_targetILNS1_3genE5ELNS1_11target_archE942ELNS1_3gpuE9ELNS1_3repE0EEENS1_30default_config_static_selectorELNS0_4arch9wavefront6targetE1EEEvT1_
		.amdhsa_group_segment_fixed_size 0
		.amdhsa_private_segment_fixed_size 0
		.amdhsa_kernarg_size 120
		.amdhsa_user_sgpr_count 2
		.amdhsa_user_sgpr_dispatch_ptr 0
		.amdhsa_user_sgpr_queue_ptr 0
		.amdhsa_user_sgpr_kernarg_segment_ptr 1
		.amdhsa_user_sgpr_dispatch_id 0
		.amdhsa_user_sgpr_kernarg_preload_length 0
		.amdhsa_user_sgpr_kernarg_preload_offset 0
		.amdhsa_user_sgpr_private_segment_size 0
		.amdhsa_uses_dynamic_stack 0
		.amdhsa_enable_private_segment 0
		.amdhsa_system_sgpr_workgroup_id_x 1
		.amdhsa_system_sgpr_workgroup_id_y 0
		.amdhsa_system_sgpr_workgroup_id_z 0
		.amdhsa_system_sgpr_workgroup_info 0
		.amdhsa_system_vgpr_workitem_id 0
		.amdhsa_next_free_vgpr 1
		.amdhsa_next_free_sgpr 0
		.amdhsa_accum_offset 4
		.amdhsa_reserve_vcc 0
		.amdhsa_float_round_mode_32 0
		.amdhsa_float_round_mode_16_64 0
		.amdhsa_float_denorm_mode_32 3
		.amdhsa_float_denorm_mode_16_64 3
		.amdhsa_dx10_clamp 1
		.amdhsa_ieee_mode 1
		.amdhsa_fp16_overflow 0
		.amdhsa_tg_split 0
		.amdhsa_exception_fp_ieee_invalid_op 0
		.amdhsa_exception_fp_denorm_src 0
		.amdhsa_exception_fp_ieee_div_zero 0
		.amdhsa_exception_fp_ieee_overflow 0
		.amdhsa_exception_fp_ieee_underflow 0
		.amdhsa_exception_fp_ieee_inexact 0
		.amdhsa_exception_int_div_zero 0
	.end_amdhsa_kernel
	.section	.text._ZN7rocprim17ROCPRIM_400000_NS6detail17trampoline_kernelINS0_14default_configENS1_25partition_config_selectorILNS1_17partition_subalgoE5ElNS0_10empty_typeEbEEZZNS1_14partition_implILS5_5ELb0ES3_mN6hipcub16HIPCUB_304000_NS21CountingInputIteratorIllEEPS6_NSA_22TransformInputIteratorIb7NonZeroIdEPdlEENS0_5tupleIJPlS6_EEENSJ_IJSD_SD_EEES6_SK_JS6_EEE10hipError_tPvRmT3_T4_T5_T6_T7_T9_mT8_P12ihipStream_tbDpT10_ENKUlT_T0_E_clISt17integral_constantIbLb0EES16_EEDaS11_S12_EUlS11_E_NS1_11comp_targetILNS1_3genE5ELNS1_11target_archE942ELNS1_3gpuE9ELNS1_3repE0EEENS1_30default_config_static_selectorELNS0_4arch9wavefront6targetE1EEEvT1_,"axG",@progbits,_ZN7rocprim17ROCPRIM_400000_NS6detail17trampoline_kernelINS0_14default_configENS1_25partition_config_selectorILNS1_17partition_subalgoE5ElNS0_10empty_typeEbEEZZNS1_14partition_implILS5_5ELb0ES3_mN6hipcub16HIPCUB_304000_NS21CountingInputIteratorIllEEPS6_NSA_22TransformInputIteratorIb7NonZeroIdEPdlEENS0_5tupleIJPlS6_EEENSJ_IJSD_SD_EEES6_SK_JS6_EEE10hipError_tPvRmT3_T4_T5_T6_T7_T9_mT8_P12ihipStream_tbDpT10_ENKUlT_T0_E_clISt17integral_constantIbLb0EES16_EEDaS11_S12_EUlS11_E_NS1_11comp_targetILNS1_3genE5ELNS1_11target_archE942ELNS1_3gpuE9ELNS1_3repE0EEENS1_30default_config_static_selectorELNS0_4arch9wavefront6targetE1EEEvT1_,comdat
.Lfunc_end322:
	.size	_ZN7rocprim17ROCPRIM_400000_NS6detail17trampoline_kernelINS0_14default_configENS1_25partition_config_selectorILNS1_17partition_subalgoE5ElNS0_10empty_typeEbEEZZNS1_14partition_implILS5_5ELb0ES3_mN6hipcub16HIPCUB_304000_NS21CountingInputIteratorIllEEPS6_NSA_22TransformInputIteratorIb7NonZeroIdEPdlEENS0_5tupleIJPlS6_EEENSJ_IJSD_SD_EEES6_SK_JS6_EEE10hipError_tPvRmT3_T4_T5_T6_T7_T9_mT8_P12ihipStream_tbDpT10_ENKUlT_T0_E_clISt17integral_constantIbLb0EES16_EEDaS11_S12_EUlS11_E_NS1_11comp_targetILNS1_3genE5ELNS1_11target_archE942ELNS1_3gpuE9ELNS1_3repE0EEENS1_30default_config_static_selectorELNS0_4arch9wavefront6targetE1EEEvT1_, .Lfunc_end322-_ZN7rocprim17ROCPRIM_400000_NS6detail17trampoline_kernelINS0_14default_configENS1_25partition_config_selectorILNS1_17partition_subalgoE5ElNS0_10empty_typeEbEEZZNS1_14partition_implILS5_5ELb0ES3_mN6hipcub16HIPCUB_304000_NS21CountingInputIteratorIllEEPS6_NSA_22TransformInputIteratorIb7NonZeroIdEPdlEENS0_5tupleIJPlS6_EEENSJ_IJSD_SD_EEES6_SK_JS6_EEE10hipError_tPvRmT3_T4_T5_T6_T7_T9_mT8_P12ihipStream_tbDpT10_ENKUlT_T0_E_clISt17integral_constantIbLb0EES16_EEDaS11_S12_EUlS11_E_NS1_11comp_targetILNS1_3genE5ELNS1_11target_archE942ELNS1_3gpuE9ELNS1_3repE0EEENS1_30default_config_static_selectorELNS0_4arch9wavefront6targetE1EEEvT1_
                                        ; -- End function
	.set _ZN7rocprim17ROCPRIM_400000_NS6detail17trampoline_kernelINS0_14default_configENS1_25partition_config_selectorILNS1_17partition_subalgoE5ElNS0_10empty_typeEbEEZZNS1_14partition_implILS5_5ELb0ES3_mN6hipcub16HIPCUB_304000_NS21CountingInputIteratorIllEEPS6_NSA_22TransformInputIteratorIb7NonZeroIdEPdlEENS0_5tupleIJPlS6_EEENSJ_IJSD_SD_EEES6_SK_JS6_EEE10hipError_tPvRmT3_T4_T5_T6_T7_T9_mT8_P12ihipStream_tbDpT10_ENKUlT_T0_E_clISt17integral_constantIbLb0EES16_EEDaS11_S12_EUlS11_E_NS1_11comp_targetILNS1_3genE5ELNS1_11target_archE942ELNS1_3gpuE9ELNS1_3repE0EEENS1_30default_config_static_selectorELNS0_4arch9wavefront6targetE1EEEvT1_.num_vgpr, 0
	.set _ZN7rocprim17ROCPRIM_400000_NS6detail17trampoline_kernelINS0_14default_configENS1_25partition_config_selectorILNS1_17partition_subalgoE5ElNS0_10empty_typeEbEEZZNS1_14partition_implILS5_5ELb0ES3_mN6hipcub16HIPCUB_304000_NS21CountingInputIteratorIllEEPS6_NSA_22TransformInputIteratorIb7NonZeroIdEPdlEENS0_5tupleIJPlS6_EEENSJ_IJSD_SD_EEES6_SK_JS6_EEE10hipError_tPvRmT3_T4_T5_T6_T7_T9_mT8_P12ihipStream_tbDpT10_ENKUlT_T0_E_clISt17integral_constantIbLb0EES16_EEDaS11_S12_EUlS11_E_NS1_11comp_targetILNS1_3genE5ELNS1_11target_archE942ELNS1_3gpuE9ELNS1_3repE0EEENS1_30default_config_static_selectorELNS0_4arch9wavefront6targetE1EEEvT1_.num_agpr, 0
	.set _ZN7rocprim17ROCPRIM_400000_NS6detail17trampoline_kernelINS0_14default_configENS1_25partition_config_selectorILNS1_17partition_subalgoE5ElNS0_10empty_typeEbEEZZNS1_14partition_implILS5_5ELb0ES3_mN6hipcub16HIPCUB_304000_NS21CountingInputIteratorIllEEPS6_NSA_22TransformInputIteratorIb7NonZeroIdEPdlEENS0_5tupleIJPlS6_EEENSJ_IJSD_SD_EEES6_SK_JS6_EEE10hipError_tPvRmT3_T4_T5_T6_T7_T9_mT8_P12ihipStream_tbDpT10_ENKUlT_T0_E_clISt17integral_constantIbLb0EES16_EEDaS11_S12_EUlS11_E_NS1_11comp_targetILNS1_3genE5ELNS1_11target_archE942ELNS1_3gpuE9ELNS1_3repE0EEENS1_30default_config_static_selectorELNS0_4arch9wavefront6targetE1EEEvT1_.numbered_sgpr, 0
	.set _ZN7rocprim17ROCPRIM_400000_NS6detail17trampoline_kernelINS0_14default_configENS1_25partition_config_selectorILNS1_17partition_subalgoE5ElNS0_10empty_typeEbEEZZNS1_14partition_implILS5_5ELb0ES3_mN6hipcub16HIPCUB_304000_NS21CountingInputIteratorIllEEPS6_NSA_22TransformInputIteratorIb7NonZeroIdEPdlEENS0_5tupleIJPlS6_EEENSJ_IJSD_SD_EEES6_SK_JS6_EEE10hipError_tPvRmT3_T4_T5_T6_T7_T9_mT8_P12ihipStream_tbDpT10_ENKUlT_T0_E_clISt17integral_constantIbLb0EES16_EEDaS11_S12_EUlS11_E_NS1_11comp_targetILNS1_3genE5ELNS1_11target_archE942ELNS1_3gpuE9ELNS1_3repE0EEENS1_30default_config_static_selectorELNS0_4arch9wavefront6targetE1EEEvT1_.num_named_barrier, 0
	.set _ZN7rocprim17ROCPRIM_400000_NS6detail17trampoline_kernelINS0_14default_configENS1_25partition_config_selectorILNS1_17partition_subalgoE5ElNS0_10empty_typeEbEEZZNS1_14partition_implILS5_5ELb0ES3_mN6hipcub16HIPCUB_304000_NS21CountingInputIteratorIllEEPS6_NSA_22TransformInputIteratorIb7NonZeroIdEPdlEENS0_5tupleIJPlS6_EEENSJ_IJSD_SD_EEES6_SK_JS6_EEE10hipError_tPvRmT3_T4_T5_T6_T7_T9_mT8_P12ihipStream_tbDpT10_ENKUlT_T0_E_clISt17integral_constantIbLb0EES16_EEDaS11_S12_EUlS11_E_NS1_11comp_targetILNS1_3genE5ELNS1_11target_archE942ELNS1_3gpuE9ELNS1_3repE0EEENS1_30default_config_static_selectorELNS0_4arch9wavefront6targetE1EEEvT1_.private_seg_size, 0
	.set _ZN7rocprim17ROCPRIM_400000_NS6detail17trampoline_kernelINS0_14default_configENS1_25partition_config_selectorILNS1_17partition_subalgoE5ElNS0_10empty_typeEbEEZZNS1_14partition_implILS5_5ELb0ES3_mN6hipcub16HIPCUB_304000_NS21CountingInputIteratorIllEEPS6_NSA_22TransformInputIteratorIb7NonZeroIdEPdlEENS0_5tupleIJPlS6_EEENSJ_IJSD_SD_EEES6_SK_JS6_EEE10hipError_tPvRmT3_T4_T5_T6_T7_T9_mT8_P12ihipStream_tbDpT10_ENKUlT_T0_E_clISt17integral_constantIbLb0EES16_EEDaS11_S12_EUlS11_E_NS1_11comp_targetILNS1_3genE5ELNS1_11target_archE942ELNS1_3gpuE9ELNS1_3repE0EEENS1_30default_config_static_selectorELNS0_4arch9wavefront6targetE1EEEvT1_.uses_vcc, 0
	.set _ZN7rocprim17ROCPRIM_400000_NS6detail17trampoline_kernelINS0_14default_configENS1_25partition_config_selectorILNS1_17partition_subalgoE5ElNS0_10empty_typeEbEEZZNS1_14partition_implILS5_5ELb0ES3_mN6hipcub16HIPCUB_304000_NS21CountingInputIteratorIllEEPS6_NSA_22TransformInputIteratorIb7NonZeroIdEPdlEENS0_5tupleIJPlS6_EEENSJ_IJSD_SD_EEES6_SK_JS6_EEE10hipError_tPvRmT3_T4_T5_T6_T7_T9_mT8_P12ihipStream_tbDpT10_ENKUlT_T0_E_clISt17integral_constantIbLb0EES16_EEDaS11_S12_EUlS11_E_NS1_11comp_targetILNS1_3genE5ELNS1_11target_archE942ELNS1_3gpuE9ELNS1_3repE0EEENS1_30default_config_static_selectorELNS0_4arch9wavefront6targetE1EEEvT1_.uses_flat_scratch, 0
	.set _ZN7rocprim17ROCPRIM_400000_NS6detail17trampoline_kernelINS0_14default_configENS1_25partition_config_selectorILNS1_17partition_subalgoE5ElNS0_10empty_typeEbEEZZNS1_14partition_implILS5_5ELb0ES3_mN6hipcub16HIPCUB_304000_NS21CountingInputIteratorIllEEPS6_NSA_22TransformInputIteratorIb7NonZeroIdEPdlEENS0_5tupleIJPlS6_EEENSJ_IJSD_SD_EEES6_SK_JS6_EEE10hipError_tPvRmT3_T4_T5_T6_T7_T9_mT8_P12ihipStream_tbDpT10_ENKUlT_T0_E_clISt17integral_constantIbLb0EES16_EEDaS11_S12_EUlS11_E_NS1_11comp_targetILNS1_3genE5ELNS1_11target_archE942ELNS1_3gpuE9ELNS1_3repE0EEENS1_30default_config_static_selectorELNS0_4arch9wavefront6targetE1EEEvT1_.has_dyn_sized_stack, 0
	.set _ZN7rocprim17ROCPRIM_400000_NS6detail17trampoline_kernelINS0_14default_configENS1_25partition_config_selectorILNS1_17partition_subalgoE5ElNS0_10empty_typeEbEEZZNS1_14partition_implILS5_5ELb0ES3_mN6hipcub16HIPCUB_304000_NS21CountingInputIteratorIllEEPS6_NSA_22TransformInputIteratorIb7NonZeroIdEPdlEENS0_5tupleIJPlS6_EEENSJ_IJSD_SD_EEES6_SK_JS6_EEE10hipError_tPvRmT3_T4_T5_T6_T7_T9_mT8_P12ihipStream_tbDpT10_ENKUlT_T0_E_clISt17integral_constantIbLb0EES16_EEDaS11_S12_EUlS11_E_NS1_11comp_targetILNS1_3genE5ELNS1_11target_archE942ELNS1_3gpuE9ELNS1_3repE0EEENS1_30default_config_static_selectorELNS0_4arch9wavefront6targetE1EEEvT1_.has_recursion, 0
	.set _ZN7rocprim17ROCPRIM_400000_NS6detail17trampoline_kernelINS0_14default_configENS1_25partition_config_selectorILNS1_17partition_subalgoE5ElNS0_10empty_typeEbEEZZNS1_14partition_implILS5_5ELb0ES3_mN6hipcub16HIPCUB_304000_NS21CountingInputIteratorIllEEPS6_NSA_22TransformInputIteratorIb7NonZeroIdEPdlEENS0_5tupleIJPlS6_EEENSJ_IJSD_SD_EEES6_SK_JS6_EEE10hipError_tPvRmT3_T4_T5_T6_T7_T9_mT8_P12ihipStream_tbDpT10_ENKUlT_T0_E_clISt17integral_constantIbLb0EES16_EEDaS11_S12_EUlS11_E_NS1_11comp_targetILNS1_3genE5ELNS1_11target_archE942ELNS1_3gpuE9ELNS1_3repE0EEENS1_30default_config_static_selectorELNS0_4arch9wavefront6targetE1EEEvT1_.has_indirect_call, 0
	.section	.AMDGPU.csdata,"",@progbits
; Kernel info:
; codeLenInByte = 0
; TotalNumSgprs: 6
; NumVgprs: 0
; NumAgprs: 0
; TotalNumVgprs: 0
; ScratchSize: 0
; MemoryBound: 0
; FloatMode: 240
; IeeeMode: 1
; LDSByteSize: 0 bytes/workgroup (compile time only)
; SGPRBlocks: 0
; VGPRBlocks: 0
; NumSGPRsForWavesPerEU: 6
; NumVGPRsForWavesPerEU: 1
; AccumOffset: 4
; Occupancy: 8
; WaveLimiterHint : 0
; COMPUTE_PGM_RSRC2:SCRATCH_EN: 0
; COMPUTE_PGM_RSRC2:USER_SGPR: 2
; COMPUTE_PGM_RSRC2:TRAP_HANDLER: 0
; COMPUTE_PGM_RSRC2:TGID_X_EN: 1
; COMPUTE_PGM_RSRC2:TGID_Y_EN: 0
; COMPUTE_PGM_RSRC2:TGID_Z_EN: 0
; COMPUTE_PGM_RSRC2:TIDIG_COMP_CNT: 0
; COMPUTE_PGM_RSRC3_GFX90A:ACCUM_OFFSET: 0
; COMPUTE_PGM_RSRC3_GFX90A:TG_SPLIT: 0
	.section	.text._ZN7rocprim17ROCPRIM_400000_NS6detail17trampoline_kernelINS0_14default_configENS1_25partition_config_selectorILNS1_17partition_subalgoE5ElNS0_10empty_typeEbEEZZNS1_14partition_implILS5_5ELb0ES3_mN6hipcub16HIPCUB_304000_NS21CountingInputIteratorIllEEPS6_NSA_22TransformInputIteratorIb7NonZeroIdEPdlEENS0_5tupleIJPlS6_EEENSJ_IJSD_SD_EEES6_SK_JS6_EEE10hipError_tPvRmT3_T4_T5_T6_T7_T9_mT8_P12ihipStream_tbDpT10_ENKUlT_T0_E_clISt17integral_constantIbLb0EES16_EEDaS11_S12_EUlS11_E_NS1_11comp_targetILNS1_3genE4ELNS1_11target_archE910ELNS1_3gpuE8ELNS1_3repE0EEENS1_30default_config_static_selectorELNS0_4arch9wavefront6targetE1EEEvT1_,"axG",@progbits,_ZN7rocprim17ROCPRIM_400000_NS6detail17trampoline_kernelINS0_14default_configENS1_25partition_config_selectorILNS1_17partition_subalgoE5ElNS0_10empty_typeEbEEZZNS1_14partition_implILS5_5ELb0ES3_mN6hipcub16HIPCUB_304000_NS21CountingInputIteratorIllEEPS6_NSA_22TransformInputIteratorIb7NonZeroIdEPdlEENS0_5tupleIJPlS6_EEENSJ_IJSD_SD_EEES6_SK_JS6_EEE10hipError_tPvRmT3_T4_T5_T6_T7_T9_mT8_P12ihipStream_tbDpT10_ENKUlT_T0_E_clISt17integral_constantIbLb0EES16_EEDaS11_S12_EUlS11_E_NS1_11comp_targetILNS1_3genE4ELNS1_11target_archE910ELNS1_3gpuE8ELNS1_3repE0EEENS1_30default_config_static_selectorELNS0_4arch9wavefront6targetE1EEEvT1_,comdat
	.protected	_ZN7rocprim17ROCPRIM_400000_NS6detail17trampoline_kernelINS0_14default_configENS1_25partition_config_selectorILNS1_17partition_subalgoE5ElNS0_10empty_typeEbEEZZNS1_14partition_implILS5_5ELb0ES3_mN6hipcub16HIPCUB_304000_NS21CountingInputIteratorIllEEPS6_NSA_22TransformInputIteratorIb7NonZeroIdEPdlEENS0_5tupleIJPlS6_EEENSJ_IJSD_SD_EEES6_SK_JS6_EEE10hipError_tPvRmT3_T4_T5_T6_T7_T9_mT8_P12ihipStream_tbDpT10_ENKUlT_T0_E_clISt17integral_constantIbLb0EES16_EEDaS11_S12_EUlS11_E_NS1_11comp_targetILNS1_3genE4ELNS1_11target_archE910ELNS1_3gpuE8ELNS1_3repE0EEENS1_30default_config_static_selectorELNS0_4arch9wavefront6targetE1EEEvT1_ ; -- Begin function _ZN7rocprim17ROCPRIM_400000_NS6detail17trampoline_kernelINS0_14default_configENS1_25partition_config_selectorILNS1_17partition_subalgoE5ElNS0_10empty_typeEbEEZZNS1_14partition_implILS5_5ELb0ES3_mN6hipcub16HIPCUB_304000_NS21CountingInputIteratorIllEEPS6_NSA_22TransformInputIteratorIb7NonZeroIdEPdlEENS0_5tupleIJPlS6_EEENSJ_IJSD_SD_EEES6_SK_JS6_EEE10hipError_tPvRmT3_T4_T5_T6_T7_T9_mT8_P12ihipStream_tbDpT10_ENKUlT_T0_E_clISt17integral_constantIbLb0EES16_EEDaS11_S12_EUlS11_E_NS1_11comp_targetILNS1_3genE4ELNS1_11target_archE910ELNS1_3gpuE8ELNS1_3repE0EEENS1_30default_config_static_selectorELNS0_4arch9wavefront6targetE1EEEvT1_
	.globl	_ZN7rocprim17ROCPRIM_400000_NS6detail17trampoline_kernelINS0_14default_configENS1_25partition_config_selectorILNS1_17partition_subalgoE5ElNS0_10empty_typeEbEEZZNS1_14partition_implILS5_5ELb0ES3_mN6hipcub16HIPCUB_304000_NS21CountingInputIteratorIllEEPS6_NSA_22TransformInputIteratorIb7NonZeroIdEPdlEENS0_5tupleIJPlS6_EEENSJ_IJSD_SD_EEES6_SK_JS6_EEE10hipError_tPvRmT3_T4_T5_T6_T7_T9_mT8_P12ihipStream_tbDpT10_ENKUlT_T0_E_clISt17integral_constantIbLb0EES16_EEDaS11_S12_EUlS11_E_NS1_11comp_targetILNS1_3genE4ELNS1_11target_archE910ELNS1_3gpuE8ELNS1_3repE0EEENS1_30default_config_static_selectorELNS0_4arch9wavefront6targetE1EEEvT1_
	.p2align	8
	.type	_ZN7rocprim17ROCPRIM_400000_NS6detail17trampoline_kernelINS0_14default_configENS1_25partition_config_selectorILNS1_17partition_subalgoE5ElNS0_10empty_typeEbEEZZNS1_14partition_implILS5_5ELb0ES3_mN6hipcub16HIPCUB_304000_NS21CountingInputIteratorIllEEPS6_NSA_22TransformInputIteratorIb7NonZeroIdEPdlEENS0_5tupleIJPlS6_EEENSJ_IJSD_SD_EEES6_SK_JS6_EEE10hipError_tPvRmT3_T4_T5_T6_T7_T9_mT8_P12ihipStream_tbDpT10_ENKUlT_T0_E_clISt17integral_constantIbLb0EES16_EEDaS11_S12_EUlS11_E_NS1_11comp_targetILNS1_3genE4ELNS1_11target_archE910ELNS1_3gpuE8ELNS1_3repE0EEENS1_30default_config_static_selectorELNS0_4arch9wavefront6targetE1EEEvT1_,@function
_ZN7rocprim17ROCPRIM_400000_NS6detail17trampoline_kernelINS0_14default_configENS1_25partition_config_selectorILNS1_17partition_subalgoE5ElNS0_10empty_typeEbEEZZNS1_14partition_implILS5_5ELb0ES3_mN6hipcub16HIPCUB_304000_NS21CountingInputIteratorIllEEPS6_NSA_22TransformInputIteratorIb7NonZeroIdEPdlEENS0_5tupleIJPlS6_EEENSJ_IJSD_SD_EEES6_SK_JS6_EEE10hipError_tPvRmT3_T4_T5_T6_T7_T9_mT8_P12ihipStream_tbDpT10_ENKUlT_T0_E_clISt17integral_constantIbLb0EES16_EEDaS11_S12_EUlS11_E_NS1_11comp_targetILNS1_3genE4ELNS1_11target_archE910ELNS1_3gpuE8ELNS1_3repE0EEENS1_30default_config_static_selectorELNS0_4arch9wavefront6targetE1EEEvT1_: ; @_ZN7rocprim17ROCPRIM_400000_NS6detail17trampoline_kernelINS0_14default_configENS1_25partition_config_selectorILNS1_17partition_subalgoE5ElNS0_10empty_typeEbEEZZNS1_14partition_implILS5_5ELb0ES3_mN6hipcub16HIPCUB_304000_NS21CountingInputIteratorIllEEPS6_NSA_22TransformInputIteratorIb7NonZeroIdEPdlEENS0_5tupleIJPlS6_EEENSJ_IJSD_SD_EEES6_SK_JS6_EEE10hipError_tPvRmT3_T4_T5_T6_T7_T9_mT8_P12ihipStream_tbDpT10_ENKUlT_T0_E_clISt17integral_constantIbLb0EES16_EEDaS11_S12_EUlS11_E_NS1_11comp_targetILNS1_3genE4ELNS1_11target_archE910ELNS1_3gpuE8ELNS1_3repE0EEENS1_30default_config_static_selectorELNS0_4arch9wavefront6targetE1EEEvT1_
; %bb.0:
	.section	.rodata,"a",@progbits
	.p2align	6, 0x0
	.amdhsa_kernel _ZN7rocprim17ROCPRIM_400000_NS6detail17trampoline_kernelINS0_14default_configENS1_25partition_config_selectorILNS1_17partition_subalgoE5ElNS0_10empty_typeEbEEZZNS1_14partition_implILS5_5ELb0ES3_mN6hipcub16HIPCUB_304000_NS21CountingInputIteratorIllEEPS6_NSA_22TransformInputIteratorIb7NonZeroIdEPdlEENS0_5tupleIJPlS6_EEENSJ_IJSD_SD_EEES6_SK_JS6_EEE10hipError_tPvRmT3_T4_T5_T6_T7_T9_mT8_P12ihipStream_tbDpT10_ENKUlT_T0_E_clISt17integral_constantIbLb0EES16_EEDaS11_S12_EUlS11_E_NS1_11comp_targetILNS1_3genE4ELNS1_11target_archE910ELNS1_3gpuE8ELNS1_3repE0EEENS1_30default_config_static_selectorELNS0_4arch9wavefront6targetE1EEEvT1_
		.amdhsa_group_segment_fixed_size 0
		.amdhsa_private_segment_fixed_size 0
		.amdhsa_kernarg_size 120
		.amdhsa_user_sgpr_count 2
		.amdhsa_user_sgpr_dispatch_ptr 0
		.amdhsa_user_sgpr_queue_ptr 0
		.amdhsa_user_sgpr_kernarg_segment_ptr 1
		.amdhsa_user_sgpr_dispatch_id 0
		.amdhsa_user_sgpr_kernarg_preload_length 0
		.amdhsa_user_sgpr_kernarg_preload_offset 0
		.amdhsa_user_sgpr_private_segment_size 0
		.amdhsa_uses_dynamic_stack 0
		.amdhsa_enable_private_segment 0
		.amdhsa_system_sgpr_workgroup_id_x 1
		.amdhsa_system_sgpr_workgroup_id_y 0
		.amdhsa_system_sgpr_workgroup_id_z 0
		.amdhsa_system_sgpr_workgroup_info 0
		.amdhsa_system_vgpr_workitem_id 0
		.amdhsa_next_free_vgpr 1
		.amdhsa_next_free_sgpr 0
		.amdhsa_accum_offset 4
		.amdhsa_reserve_vcc 0
		.amdhsa_float_round_mode_32 0
		.amdhsa_float_round_mode_16_64 0
		.amdhsa_float_denorm_mode_32 3
		.amdhsa_float_denorm_mode_16_64 3
		.amdhsa_dx10_clamp 1
		.amdhsa_ieee_mode 1
		.amdhsa_fp16_overflow 0
		.amdhsa_tg_split 0
		.amdhsa_exception_fp_ieee_invalid_op 0
		.amdhsa_exception_fp_denorm_src 0
		.amdhsa_exception_fp_ieee_div_zero 0
		.amdhsa_exception_fp_ieee_overflow 0
		.amdhsa_exception_fp_ieee_underflow 0
		.amdhsa_exception_fp_ieee_inexact 0
		.amdhsa_exception_int_div_zero 0
	.end_amdhsa_kernel
	.section	.text._ZN7rocprim17ROCPRIM_400000_NS6detail17trampoline_kernelINS0_14default_configENS1_25partition_config_selectorILNS1_17partition_subalgoE5ElNS0_10empty_typeEbEEZZNS1_14partition_implILS5_5ELb0ES3_mN6hipcub16HIPCUB_304000_NS21CountingInputIteratorIllEEPS6_NSA_22TransformInputIteratorIb7NonZeroIdEPdlEENS0_5tupleIJPlS6_EEENSJ_IJSD_SD_EEES6_SK_JS6_EEE10hipError_tPvRmT3_T4_T5_T6_T7_T9_mT8_P12ihipStream_tbDpT10_ENKUlT_T0_E_clISt17integral_constantIbLb0EES16_EEDaS11_S12_EUlS11_E_NS1_11comp_targetILNS1_3genE4ELNS1_11target_archE910ELNS1_3gpuE8ELNS1_3repE0EEENS1_30default_config_static_selectorELNS0_4arch9wavefront6targetE1EEEvT1_,"axG",@progbits,_ZN7rocprim17ROCPRIM_400000_NS6detail17trampoline_kernelINS0_14default_configENS1_25partition_config_selectorILNS1_17partition_subalgoE5ElNS0_10empty_typeEbEEZZNS1_14partition_implILS5_5ELb0ES3_mN6hipcub16HIPCUB_304000_NS21CountingInputIteratorIllEEPS6_NSA_22TransformInputIteratorIb7NonZeroIdEPdlEENS0_5tupleIJPlS6_EEENSJ_IJSD_SD_EEES6_SK_JS6_EEE10hipError_tPvRmT3_T4_T5_T6_T7_T9_mT8_P12ihipStream_tbDpT10_ENKUlT_T0_E_clISt17integral_constantIbLb0EES16_EEDaS11_S12_EUlS11_E_NS1_11comp_targetILNS1_3genE4ELNS1_11target_archE910ELNS1_3gpuE8ELNS1_3repE0EEENS1_30default_config_static_selectorELNS0_4arch9wavefront6targetE1EEEvT1_,comdat
.Lfunc_end323:
	.size	_ZN7rocprim17ROCPRIM_400000_NS6detail17trampoline_kernelINS0_14default_configENS1_25partition_config_selectorILNS1_17partition_subalgoE5ElNS0_10empty_typeEbEEZZNS1_14partition_implILS5_5ELb0ES3_mN6hipcub16HIPCUB_304000_NS21CountingInputIteratorIllEEPS6_NSA_22TransformInputIteratorIb7NonZeroIdEPdlEENS0_5tupleIJPlS6_EEENSJ_IJSD_SD_EEES6_SK_JS6_EEE10hipError_tPvRmT3_T4_T5_T6_T7_T9_mT8_P12ihipStream_tbDpT10_ENKUlT_T0_E_clISt17integral_constantIbLb0EES16_EEDaS11_S12_EUlS11_E_NS1_11comp_targetILNS1_3genE4ELNS1_11target_archE910ELNS1_3gpuE8ELNS1_3repE0EEENS1_30default_config_static_selectorELNS0_4arch9wavefront6targetE1EEEvT1_, .Lfunc_end323-_ZN7rocprim17ROCPRIM_400000_NS6detail17trampoline_kernelINS0_14default_configENS1_25partition_config_selectorILNS1_17partition_subalgoE5ElNS0_10empty_typeEbEEZZNS1_14partition_implILS5_5ELb0ES3_mN6hipcub16HIPCUB_304000_NS21CountingInputIteratorIllEEPS6_NSA_22TransformInputIteratorIb7NonZeroIdEPdlEENS0_5tupleIJPlS6_EEENSJ_IJSD_SD_EEES6_SK_JS6_EEE10hipError_tPvRmT3_T4_T5_T6_T7_T9_mT8_P12ihipStream_tbDpT10_ENKUlT_T0_E_clISt17integral_constantIbLb0EES16_EEDaS11_S12_EUlS11_E_NS1_11comp_targetILNS1_3genE4ELNS1_11target_archE910ELNS1_3gpuE8ELNS1_3repE0EEENS1_30default_config_static_selectorELNS0_4arch9wavefront6targetE1EEEvT1_
                                        ; -- End function
	.set _ZN7rocprim17ROCPRIM_400000_NS6detail17trampoline_kernelINS0_14default_configENS1_25partition_config_selectorILNS1_17partition_subalgoE5ElNS0_10empty_typeEbEEZZNS1_14partition_implILS5_5ELb0ES3_mN6hipcub16HIPCUB_304000_NS21CountingInputIteratorIllEEPS6_NSA_22TransformInputIteratorIb7NonZeroIdEPdlEENS0_5tupleIJPlS6_EEENSJ_IJSD_SD_EEES6_SK_JS6_EEE10hipError_tPvRmT3_T4_T5_T6_T7_T9_mT8_P12ihipStream_tbDpT10_ENKUlT_T0_E_clISt17integral_constantIbLb0EES16_EEDaS11_S12_EUlS11_E_NS1_11comp_targetILNS1_3genE4ELNS1_11target_archE910ELNS1_3gpuE8ELNS1_3repE0EEENS1_30default_config_static_selectorELNS0_4arch9wavefront6targetE1EEEvT1_.num_vgpr, 0
	.set _ZN7rocprim17ROCPRIM_400000_NS6detail17trampoline_kernelINS0_14default_configENS1_25partition_config_selectorILNS1_17partition_subalgoE5ElNS0_10empty_typeEbEEZZNS1_14partition_implILS5_5ELb0ES3_mN6hipcub16HIPCUB_304000_NS21CountingInputIteratorIllEEPS6_NSA_22TransformInputIteratorIb7NonZeroIdEPdlEENS0_5tupleIJPlS6_EEENSJ_IJSD_SD_EEES6_SK_JS6_EEE10hipError_tPvRmT3_T4_T5_T6_T7_T9_mT8_P12ihipStream_tbDpT10_ENKUlT_T0_E_clISt17integral_constantIbLb0EES16_EEDaS11_S12_EUlS11_E_NS1_11comp_targetILNS1_3genE4ELNS1_11target_archE910ELNS1_3gpuE8ELNS1_3repE0EEENS1_30default_config_static_selectorELNS0_4arch9wavefront6targetE1EEEvT1_.num_agpr, 0
	.set _ZN7rocprim17ROCPRIM_400000_NS6detail17trampoline_kernelINS0_14default_configENS1_25partition_config_selectorILNS1_17partition_subalgoE5ElNS0_10empty_typeEbEEZZNS1_14partition_implILS5_5ELb0ES3_mN6hipcub16HIPCUB_304000_NS21CountingInputIteratorIllEEPS6_NSA_22TransformInputIteratorIb7NonZeroIdEPdlEENS0_5tupleIJPlS6_EEENSJ_IJSD_SD_EEES6_SK_JS6_EEE10hipError_tPvRmT3_T4_T5_T6_T7_T9_mT8_P12ihipStream_tbDpT10_ENKUlT_T0_E_clISt17integral_constantIbLb0EES16_EEDaS11_S12_EUlS11_E_NS1_11comp_targetILNS1_3genE4ELNS1_11target_archE910ELNS1_3gpuE8ELNS1_3repE0EEENS1_30default_config_static_selectorELNS0_4arch9wavefront6targetE1EEEvT1_.numbered_sgpr, 0
	.set _ZN7rocprim17ROCPRIM_400000_NS6detail17trampoline_kernelINS0_14default_configENS1_25partition_config_selectorILNS1_17partition_subalgoE5ElNS0_10empty_typeEbEEZZNS1_14partition_implILS5_5ELb0ES3_mN6hipcub16HIPCUB_304000_NS21CountingInputIteratorIllEEPS6_NSA_22TransformInputIteratorIb7NonZeroIdEPdlEENS0_5tupleIJPlS6_EEENSJ_IJSD_SD_EEES6_SK_JS6_EEE10hipError_tPvRmT3_T4_T5_T6_T7_T9_mT8_P12ihipStream_tbDpT10_ENKUlT_T0_E_clISt17integral_constantIbLb0EES16_EEDaS11_S12_EUlS11_E_NS1_11comp_targetILNS1_3genE4ELNS1_11target_archE910ELNS1_3gpuE8ELNS1_3repE0EEENS1_30default_config_static_selectorELNS0_4arch9wavefront6targetE1EEEvT1_.num_named_barrier, 0
	.set _ZN7rocprim17ROCPRIM_400000_NS6detail17trampoline_kernelINS0_14default_configENS1_25partition_config_selectorILNS1_17partition_subalgoE5ElNS0_10empty_typeEbEEZZNS1_14partition_implILS5_5ELb0ES3_mN6hipcub16HIPCUB_304000_NS21CountingInputIteratorIllEEPS6_NSA_22TransformInputIteratorIb7NonZeroIdEPdlEENS0_5tupleIJPlS6_EEENSJ_IJSD_SD_EEES6_SK_JS6_EEE10hipError_tPvRmT3_T4_T5_T6_T7_T9_mT8_P12ihipStream_tbDpT10_ENKUlT_T0_E_clISt17integral_constantIbLb0EES16_EEDaS11_S12_EUlS11_E_NS1_11comp_targetILNS1_3genE4ELNS1_11target_archE910ELNS1_3gpuE8ELNS1_3repE0EEENS1_30default_config_static_selectorELNS0_4arch9wavefront6targetE1EEEvT1_.private_seg_size, 0
	.set _ZN7rocprim17ROCPRIM_400000_NS6detail17trampoline_kernelINS0_14default_configENS1_25partition_config_selectorILNS1_17partition_subalgoE5ElNS0_10empty_typeEbEEZZNS1_14partition_implILS5_5ELb0ES3_mN6hipcub16HIPCUB_304000_NS21CountingInputIteratorIllEEPS6_NSA_22TransformInputIteratorIb7NonZeroIdEPdlEENS0_5tupleIJPlS6_EEENSJ_IJSD_SD_EEES6_SK_JS6_EEE10hipError_tPvRmT3_T4_T5_T6_T7_T9_mT8_P12ihipStream_tbDpT10_ENKUlT_T0_E_clISt17integral_constantIbLb0EES16_EEDaS11_S12_EUlS11_E_NS1_11comp_targetILNS1_3genE4ELNS1_11target_archE910ELNS1_3gpuE8ELNS1_3repE0EEENS1_30default_config_static_selectorELNS0_4arch9wavefront6targetE1EEEvT1_.uses_vcc, 0
	.set _ZN7rocprim17ROCPRIM_400000_NS6detail17trampoline_kernelINS0_14default_configENS1_25partition_config_selectorILNS1_17partition_subalgoE5ElNS0_10empty_typeEbEEZZNS1_14partition_implILS5_5ELb0ES3_mN6hipcub16HIPCUB_304000_NS21CountingInputIteratorIllEEPS6_NSA_22TransformInputIteratorIb7NonZeroIdEPdlEENS0_5tupleIJPlS6_EEENSJ_IJSD_SD_EEES6_SK_JS6_EEE10hipError_tPvRmT3_T4_T5_T6_T7_T9_mT8_P12ihipStream_tbDpT10_ENKUlT_T0_E_clISt17integral_constantIbLb0EES16_EEDaS11_S12_EUlS11_E_NS1_11comp_targetILNS1_3genE4ELNS1_11target_archE910ELNS1_3gpuE8ELNS1_3repE0EEENS1_30default_config_static_selectorELNS0_4arch9wavefront6targetE1EEEvT1_.uses_flat_scratch, 0
	.set _ZN7rocprim17ROCPRIM_400000_NS6detail17trampoline_kernelINS0_14default_configENS1_25partition_config_selectorILNS1_17partition_subalgoE5ElNS0_10empty_typeEbEEZZNS1_14partition_implILS5_5ELb0ES3_mN6hipcub16HIPCUB_304000_NS21CountingInputIteratorIllEEPS6_NSA_22TransformInputIteratorIb7NonZeroIdEPdlEENS0_5tupleIJPlS6_EEENSJ_IJSD_SD_EEES6_SK_JS6_EEE10hipError_tPvRmT3_T4_T5_T6_T7_T9_mT8_P12ihipStream_tbDpT10_ENKUlT_T0_E_clISt17integral_constantIbLb0EES16_EEDaS11_S12_EUlS11_E_NS1_11comp_targetILNS1_3genE4ELNS1_11target_archE910ELNS1_3gpuE8ELNS1_3repE0EEENS1_30default_config_static_selectorELNS0_4arch9wavefront6targetE1EEEvT1_.has_dyn_sized_stack, 0
	.set _ZN7rocprim17ROCPRIM_400000_NS6detail17trampoline_kernelINS0_14default_configENS1_25partition_config_selectorILNS1_17partition_subalgoE5ElNS0_10empty_typeEbEEZZNS1_14partition_implILS5_5ELb0ES3_mN6hipcub16HIPCUB_304000_NS21CountingInputIteratorIllEEPS6_NSA_22TransformInputIteratorIb7NonZeroIdEPdlEENS0_5tupleIJPlS6_EEENSJ_IJSD_SD_EEES6_SK_JS6_EEE10hipError_tPvRmT3_T4_T5_T6_T7_T9_mT8_P12ihipStream_tbDpT10_ENKUlT_T0_E_clISt17integral_constantIbLb0EES16_EEDaS11_S12_EUlS11_E_NS1_11comp_targetILNS1_3genE4ELNS1_11target_archE910ELNS1_3gpuE8ELNS1_3repE0EEENS1_30default_config_static_selectorELNS0_4arch9wavefront6targetE1EEEvT1_.has_recursion, 0
	.set _ZN7rocprim17ROCPRIM_400000_NS6detail17trampoline_kernelINS0_14default_configENS1_25partition_config_selectorILNS1_17partition_subalgoE5ElNS0_10empty_typeEbEEZZNS1_14partition_implILS5_5ELb0ES3_mN6hipcub16HIPCUB_304000_NS21CountingInputIteratorIllEEPS6_NSA_22TransformInputIteratorIb7NonZeroIdEPdlEENS0_5tupleIJPlS6_EEENSJ_IJSD_SD_EEES6_SK_JS6_EEE10hipError_tPvRmT3_T4_T5_T6_T7_T9_mT8_P12ihipStream_tbDpT10_ENKUlT_T0_E_clISt17integral_constantIbLb0EES16_EEDaS11_S12_EUlS11_E_NS1_11comp_targetILNS1_3genE4ELNS1_11target_archE910ELNS1_3gpuE8ELNS1_3repE0EEENS1_30default_config_static_selectorELNS0_4arch9wavefront6targetE1EEEvT1_.has_indirect_call, 0
	.section	.AMDGPU.csdata,"",@progbits
; Kernel info:
; codeLenInByte = 0
; TotalNumSgprs: 6
; NumVgprs: 0
; NumAgprs: 0
; TotalNumVgprs: 0
; ScratchSize: 0
; MemoryBound: 0
; FloatMode: 240
; IeeeMode: 1
; LDSByteSize: 0 bytes/workgroup (compile time only)
; SGPRBlocks: 0
; VGPRBlocks: 0
; NumSGPRsForWavesPerEU: 6
; NumVGPRsForWavesPerEU: 1
; AccumOffset: 4
; Occupancy: 8
; WaveLimiterHint : 0
; COMPUTE_PGM_RSRC2:SCRATCH_EN: 0
; COMPUTE_PGM_RSRC2:USER_SGPR: 2
; COMPUTE_PGM_RSRC2:TRAP_HANDLER: 0
; COMPUTE_PGM_RSRC2:TGID_X_EN: 1
; COMPUTE_PGM_RSRC2:TGID_Y_EN: 0
; COMPUTE_PGM_RSRC2:TGID_Z_EN: 0
; COMPUTE_PGM_RSRC2:TIDIG_COMP_CNT: 0
; COMPUTE_PGM_RSRC3_GFX90A:ACCUM_OFFSET: 0
; COMPUTE_PGM_RSRC3_GFX90A:TG_SPLIT: 0
	.section	.text._ZN7rocprim17ROCPRIM_400000_NS6detail17trampoline_kernelINS0_14default_configENS1_25partition_config_selectorILNS1_17partition_subalgoE5ElNS0_10empty_typeEbEEZZNS1_14partition_implILS5_5ELb0ES3_mN6hipcub16HIPCUB_304000_NS21CountingInputIteratorIllEEPS6_NSA_22TransformInputIteratorIb7NonZeroIdEPdlEENS0_5tupleIJPlS6_EEENSJ_IJSD_SD_EEES6_SK_JS6_EEE10hipError_tPvRmT3_T4_T5_T6_T7_T9_mT8_P12ihipStream_tbDpT10_ENKUlT_T0_E_clISt17integral_constantIbLb0EES16_EEDaS11_S12_EUlS11_E_NS1_11comp_targetILNS1_3genE3ELNS1_11target_archE908ELNS1_3gpuE7ELNS1_3repE0EEENS1_30default_config_static_selectorELNS0_4arch9wavefront6targetE1EEEvT1_,"axG",@progbits,_ZN7rocprim17ROCPRIM_400000_NS6detail17trampoline_kernelINS0_14default_configENS1_25partition_config_selectorILNS1_17partition_subalgoE5ElNS0_10empty_typeEbEEZZNS1_14partition_implILS5_5ELb0ES3_mN6hipcub16HIPCUB_304000_NS21CountingInputIteratorIllEEPS6_NSA_22TransformInputIteratorIb7NonZeroIdEPdlEENS0_5tupleIJPlS6_EEENSJ_IJSD_SD_EEES6_SK_JS6_EEE10hipError_tPvRmT3_T4_T5_T6_T7_T9_mT8_P12ihipStream_tbDpT10_ENKUlT_T0_E_clISt17integral_constantIbLb0EES16_EEDaS11_S12_EUlS11_E_NS1_11comp_targetILNS1_3genE3ELNS1_11target_archE908ELNS1_3gpuE7ELNS1_3repE0EEENS1_30default_config_static_selectorELNS0_4arch9wavefront6targetE1EEEvT1_,comdat
	.protected	_ZN7rocprim17ROCPRIM_400000_NS6detail17trampoline_kernelINS0_14default_configENS1_25partition_config_selectorILNS1_17partition_subalgoE5ElNS0_10empty_typeEbEEZZNS1_14partition_implILS5_5ELb0ES3_mN6hipcub16HIPCUB_304000_NS21CountingInputIteratorIllEEPS6_NSA_22TransformInputIteratorIb7NonZeroIdEPdlEENS0_5tupleIJPlS6_EEENSJ_IJSD_SD_EEES6_SK_JS6_EEE10hipError_tPvRmT3_T4_T5_T6_T7_T9_mT8_P12ihipStream_tbDpT10_ENKUlT_T0_E_clISt17integral_constantIbLb0EES16_EEDaS11_S12_EUlS11_E_NS1_11comp_targetILNS1_3genE3ELNS1_11target_archE908ELNS1_3gpuE7ELNS1_3repE0EEENS1_30default_config_static_selectorELNS0_4arch9wavefront6targetE1EEEvT1_ ; -- Begin function _ZN7rocprim17ROCPRIM_400000_NS6detail17trampoline_kernelINS0_14default_configENS1_25partition_config_selectorILNS1_17partition_subalgoE5ElNS0_10empty_typeEbEEZZNS1_14partition_implILS5_5ELb0ES3_mN6hipcub16HIPCUB_304000_NS21CountingInputIteratorIllEEPS6_NSA_22TransformInputIteratorIb7NonZeroIdEPdlEENS0_5tupleIJPlS6_EEENSJ_IJSD_SD_EEES6_SK_JS6_EEE10hipError_tPvRmT3_T4_T5_T6_T7_T9_mT8_P12ihipStream_tbDpT10_ENKUlT_T0_E_clISt17integral_constantIbLb0EES16_EEDaS11_S12_EUlS11_E_NS1_11comp_targetILNS1_3genE3ELNS1_11target_archE908ELNS1_3gpuE7ELNS1_3repE0EEENS1_30default_config_static_selectorELNS0_4arch9wavefront6targetE1EEEvT1_
	.globl	_ZN7rocprim17ROCPRIM_400000_NS6detail17trampoline_kernelINS0_14default_configENS1_25partition_config_selectorILNS1_17partition_subalgoE5ElNS0_10empty_typeEbEEZZNS1_14partition_implILS5_5ELb0ES3_mN6hipcub16HIPCUB_304000_NS21CountingInputIteratorIllEEPS6_NSA_22TransformInputIteratorIb7NonZeroIdEPdlEENS0_5tupleIJPlS6_EEENSJ_IJSD_SD_EEES6_SK_JS6_EEE10hipError_tPvRmT3_T4_T5_T6_T7_T9_mT8_P12ihipStream_tbDpT10_ENKUlT_T0_E_clISt17integral_constantIbLb0EES16_EEDaS11_S12_EUlS11_E_NS1_11comp_targetILNS1_3genE3ELNS1_11target_archE908ELNS1_3gpuE7ELNS1_3repE0EEENS1_30default_config_static_selectorELNS0_4arch9wavefront6targetE1EEEvT1_
	.p2align	8
	.type	_ZN7rocprim17ROCPRIM_400000_NS6detail17trampoline_kernelINS0_14default_configENS1_25partition_config_selectorILNS1_17partition_subalgoE5ElNS0_10empty_typeEbEEZZNS1_14partition_implILS5_5ELb0ES3_mN6hipcub16HIPCUB_304000_NS21CountingInputIteratorIllEEPS6_NSA_22TransformInputIteratorIb7NonZeroIdEPdlEENS0_5tupleIJPlS6_EEENSJ_IJSD_SD_EEES6_SK_JS6_EEE10hipError_tPvRmT3_T4_T5_T6_T7_T9_mT8_P12ihipStream_tbDpT10_ENKUlT_T0_E_clISt17integral_constantIbLb0EES16_EEDaS11_S12_EUlS11_E_NS1_11comp_targetILNS1_3genE3ELNS1_11target_archE908ELNS1_3gpuE7ELNS1_3repE0EEENS1_30default_config_static_selectorELNS0_4arch9wavefront6targetE1EEEvT1_,@function
_ZN7rocprim17ROCPRIM_400000_NS6detail17trampoline_kernelINS0_14default_configENS1_25partition_config_selectorILNS1_17partition_subalgoE5ElNS0_10empty_typeEbEEZZNS1_14partition_implILS5_5ELb0ES3_mN6hipcub16HIPCUB_304000_NS21CountingInputIteratorIllEEPS6_NSA_22TransformInputIteratorIb7NonZeroIdEPdlEENS0_5tupleIJPlS6_EEENSJ_IJSD_SD_EEES6_SK_JS6_EEE10hipError_tPvRmT3_T4_T5_T6_T7_T9_mT8_P12ihipStream_tbDpT10_ENKUlT_T0_E_clISt17integral_constantIbLb0EES16_EEDaS11_S12_EUlS11_E_NS1_11comp_targetILNS1_3genE3ELNS1_11target_archE908ELNS1_3gpuE7ELNS1_3repE0EEENS1_30default_config_static_selectorELNS0_4arch9wavefront6targetE1EEEvT1_: ; @_ZN7rocprim17ROCPRIM_400000_NS6detail17trampoline_kernelINS0_14default_configENS1_25partition_config_selectorILNS1_17partition_subalgoE5ElNS0_10empty_typeEbEEZZNS1_14partition_implILS5_5ELb0ES3_mN6hipcub16HIPCUB_304000_NS21CountingInputIteratorIllEEPS6_NSA_22TransformInputIteratorIb7NonZeroIdEPdlEENS0_5tupleIJPlS6_EEENSJ_IJSD_SD_EEES6_SK_JS6_EEE10hipError_tPvRmT3_T4_T5_T6_T7_T9_mT8_P12ihipStream_tbDpT10_ENKUlT_T0_E_clISt17integral_constantIbLb0EES16_EEDaS11_S12_EUlS11_E_NS1_11comp_targetILNS1_3genE3ELNS1_11target_archE908ELNS1_3gpuE7ELNS1_3repE0EEENS1_30default_config_static_selectorELNS0_4arch9wavefront6targetE1EEEvT1_
; %bb.0:
	.section	.rodata,"a",@progbits
	.p2align	6, 0x0
	.amdhsa_kernel _ZN7rocprim17ROCPRIM_400000_NS6detail17trampoline_kernelINS0_14default_configENS1_25partition_config_selectorILNS1_17partition_subalgoE5ElNS0_10empty_typeEbEEZZNS1_14partition_implILS5_5ELb0ES3_mN6hipcub16HIPCUB_304000_NS21CountingInputIteratorIllEEPS6_NSA_22TransformInputIteratorIb7NonZeroIdEPdlEENS0_5tupleIJPlS6_EEENSJ_IJSD_SD_EEES6_SK_JS6_EEE10hipError_tPvRmT3_T4_T5_T6_T7_T9_mT8_P12ihipStream_tbDpT10_ENKUlT_T0_E_clISt17integral_constantIbLb0EES16_EEDaS11_S12_EUlS11_E_NS1_11comp_targetILNS1_3genE3ELNS1_11target_archE908ELNS1_3gpuE7ELNS1_3repE0EEENS1_30default_config_static_selectorELNS0_4arch9wavefront6targetE1EEEvT1_
		.amdhsa_group_segment_fixed_size 0
		.amdhsa_private_segment_fixed_size 0
		.amdhsa_kernarg_size 120
		.amdhsa_user_sgpr_count 2
		.amdhsa_user_sgpr_dispatch_ptr 0
		.amdhsa_user_sgpr_queue_ptr 0
		.amdhsa_user_sgpr_kernarg_segment_ptr 1
		.amdhsa_user_sgpr_dispatch_id 0
		.amdhsa_user_sgpr_kernarg_preload_length 0
		.amdhsa_user_sgpr_kernarg_preload_offset 0
		.amdhsa_user_sgpr_private_segment_size 0
		.amdhsa_uses_dynamic_stack 0
		.amdhsa_enable_private_segment 0
		.amdhsa_system_sgpr_workgroup_id_x 1
		.amdhsa_system_sgpr_workgroup_id_y 0
		.amdhsa_system_sgpr_workgroup_id_z 0
		.amdhsa_system_sgpr_workgroup_info 0
		.amdhsa_system_vgpr_workitem_id 0
		.amdhsa_next_free_vgpr 1
		.amdhsa_next_free_sgpr 0
		.amdhsa_accum_offset 4
		.amdhsa_reserve_vcc 0
		.amdhsa_float_round_mode_32 0
		.amdhsa_float_round_mode_16_64 0
		.amdhsa_float_denorm_mode_32 3
		.amdhsa_float_denorm_mode_16_64 3
		.amdhsa_dx10_clamp 1
		.amdhsa_ieee_mode 1
		.amdhsa_fp16_overflow 0
		.amdhsa_tg_split 0
		.amdhsa_exception_fp_ieee_invalid_op 0
		.amdhsa_exception_fp_denorm_src 0
		.amdhsa_exception_fp_ieee_div_zero 0
		.amdhsa_exception_fp_ieee_overflow 0
		.amdhsa_exception_fp_ieee_underflow 0
		.amdhsa_exception_fp_ieee_inexact 0
		.amdhsa_exception_int_div_zero 0
	.end_amdhsa_kernel
	.section	.text._ZN7rocprim17ROCPRIM_400000_NS6detail17trampoline_kernelINS0_14default_configENS1_25partition_config_selectorILNS1_17partition_subalgoE5ElNS0_10empty_typeEbEEZZNS1_14partition_implILS5_5ELb0ES3_mN6hipcub16HIPCUB_304000_NS21CountingInputIteratorIllEEPS6_NSA_22TransformInputIteratorIb7NonZeroIdEPdlEENS0_5tupleIJPlS6_EEENSJ_IJSD_SD_EEES6_SK_JS6_EEE10hipError_tPvRmT3_T4_T5_T6_T7_T9_mT8_P12ihipStream_tbDpT10_ENKUlT_T0_E_clISt17integral_constantIbLb0EES16_EEDaS11_S12_EUlS11_E_NS1_11comp_targetILNS1_3genE3ELNS1_11target_archE908ELNS1_3gpuE7ELNS1_3repE0EEENS1_30default_config_static_selectorELNS0_4arch9wavefront6targetE1EEEvT1_,"axG",@progbits,_ZN7rocprim17ROCPRIM_400000_NS6detail17trampoline_kernelINS0_14default_configENS1_25partition_config_selectorILNS1_17partition_subalgoE5ElNS0_10empty_typeEbEEZZNS1_14partition_implILS5_5ELb0ES3_mN6hipcub16HIPCUB_304000_NS21CountingInputIteratorIllEEPS6_NSA_22TransformInputIteratorIb7NonZeroIdEPdlEENS0_5tupleIJPlS6_EEENSJ_IJSD_SD_EEES6_SK_JS6_EEE10hipError_tPvRmT3_T4_T5_T6_T7_T9_mT8_P12ihipStream_tbDpT10_ENKUlT_T0_E_clISt17integral_constantIbLb0EES16_EEDaS11_S12_EUlS11_E_NS1_11comp_targetILNS1_3genE3ELNS1_11target_archE908ELNS1_3gpuE7ELNS1_3repE0EEENS1_30default_config_static_selectorELNS0_4arch9wavefront6targetE1EEEvT1_,comdat
.Lfunc_end324:
	.size	_ZN7rocprim17ROCPRIM_400000_NS6detail17trampoline_kernelINS0_14default_configENS1_25partition_config_selectorILNS1_17partition_subalgoE5ElNS0_10empty_typeEbEEZZNS1_14partition_implILS5_5ELb0ES3_mN6hipcub16HIPCUB_304000_NS21CountingInputIteratorIllEEPS6_NSA_22TransformInputIteratorIb7NonZeroIdEPdlEENS0_5tupleIJPlS6_EEENSJ_IJSD_SD_EEES6_SK_JS6_EEE10hipError_tPvRmT3_T4_T5_T6_T7_T9_mT8_P12ihipStream_tbDpT10_ENKUlT_T0_E_clISt17integral_constantIbLb0EES16_EEDaS11_S12_EUlS11_E_NS1_11comp_targetILNS1_3genE3ELNS1_11target_archE908ELNS1_3gpuE7ELNS1_3repE0EEENS1_30default_config_static_selectorELNS0_4arch9wavefront6targetE1EEEvT1_, .Lfunc_end324-_ZN7rocprim17ROCPRIM_400000_NS6detail17trampoline_kernelINS0_14default_configENS1_25partition_config_selectorILNS1_17partition_subalgoE5ElNS0_10empty_typeEbEEZZNS1_14partition_implILS5_5ELb0ES3_mN6hipcub16HIPCUB_304000_NS21CountingInputIteratorIllEEPS6_NSA_22TransformInputIteratorIb7NonZeroIdEPdlEENS0_5tupleIJPlS6_EEENSJ_IJSD_SD_EEES6_SK_JS6_EEE10hipError_tPvRmT3_T4_T5_T6_T7_T9_mT8_P12ihipStream_tbDpT10_ENKUlT_T0_E_clISt17integral_constantIbLb0EES16_EEDaS11_S12_EUlS11_E_NS1_11comp_targetILNS1_3genE3ELNS1_11target_archE908ELNS1_3gpuE7ELNS1_3repE0EEENS1_30default_config_static_selectorELNS0_4arch9wavefront6targetE1EEEvT1_
                                        ; -- End function
	.set _ZN7rocprim17ROCPRIM_400000_NS6detail17trampoline_kernelINS0_14default_configENS1_25partition_config_selectorILNS1_17partition_subalgoE5ElNS0_10empty_typeEbEEZZNS1_14partition_implILS5_5ELb0ES3_mN6hipcub16HIPCUB_304000_NS21CountingInputIteratorIllEEPS6_NSA_22TransformInputIteratorIb7NonZeroIdEPdlEENS0_5tupleIJPlS6_EEENSJ_IJSD_SD_EEES6_SK_JS6_EEE10hipError_tPvRmT3_T4_T5_T6_T7_T9_mT8_P12ihipStream_tbDpT10_ENKUlT_T0_E_clISt17integral_constantIbLb0EES16_EEDaS11_S12_EUlS11_E_NS1_11comp_targetILNS1_3genE3ELNS1_11target_archE908ELNS1_3gpuE7ELNS1_3repE0EEENS1_30default_config_static_selectorELNS0_4arch9wavefront6targetE1EEEvT1_.num_vgpr, 0
	.set _ZN7rocprim17ROCPRIM_400000_NS6detail17trampoline_kernelINS0_14default_configENS1_25partition_config_selectorILNS1_17partition_subalgoE5ElNS0_10empty_typeEbEEZZNS1_14partition_implILS5_5ELb0ES3_mN6hipcub16HIPCUB_304000_NS21CountingInputIteratorIllEEPS6_NSA_22TransformInputIteratorIb7NonZeroIdEPdlEENS0_5tupleIJPlS6_EEENSJ_IJSD_SD_EEES6_SK_JS6_EEE10hipError_tPvRmT3_T4_T5_T6_T7_T9_mT8_P12ihipStream_tbDpT10_ENKUlT_T0_E_clISt17integral_constantIbLb0EES16_EEDaS11_S12_EUlS11_E_NS1_11comp_targetILNS1_3genE3ELNS1_11target_archE908ELNS1_3gpuE7ELNS1_3repE0EEENS1_30default_config_static_selectorELNS0_4arch9wavefront6targetE1EEEvT1_.num_agpr, 0
	.set _ZN7rocprim17ROCPRIM_400000_NS6detail17trampoline_kernelINS0_14default_configENS1_25partition_config_selectorILNS1_17partition_subalgoE5ElNS0_10empty_typeEbEEZZNS1_14partition_implILS5_5ELb0ES3_mN6hipcub16HIPCUB_304000_NS21CountingInputIteratorIllEEPS6_NSA_22TransformInputIteratorIb7NonZeroIdEPdlEENS0_5tupleIJPlS6_EEENSJ_IJSD_SD_EEES6_SK_JS6_EEE10hipError_tPvRmT3_T4_T5_T6_T7_T9_mT8_P12ihipStream_tbDpT10_ENKUlT_T0_E_clISt17integral_constantIbLb0EES16_EEDaS11_S12_EUlS11_E_NS1_11comp_targetILNS1_3genE3ELNS1_11target_archE908ELNS1_3gpuE7ELNS1_3repE0EEENS1_30default_config_static_selectorELNS0_4arch9wavefront6targetE1EEEvT1_.numbered_sgpr, 0
	.set _ZN7rocprim17ROCPRIM_400000_NS6detail17trampoline_kernelINS0_14default_configENS1_25partition_config_selectorILNS1_17partition_subalgoE5ElNS0_10empty_typeEbEEZZNS1_14partition_implILS5_5ELb0ES3_mN6hipcub16HIPCUB_304000_NS21CountingInputIteratorIllEEPS6_NSA_22TransformInputIteratorIb7NonZeroIdEPdlEENS0_5tupleIJPlS6_EEENSJ_IJSD_SD_EEES6_SK_JS6_EEE10hipError_tPvRmT3_T4_T5_T6_T7_T9_mT8_P12ihipStream_tbDpT10_ENKUlT_T0_E_clISt17integral_constantIbLb0EES16_EEDaS11_S12_EUlS11_E_NS1_11comp_targetILNS1_3genE3ELNS1_11target_archE908ELNS1_3gpuE7ELNS1_3repE0EEENS1_30default_config_static_selectorELNS0_4arch9wavefront6targetE1EEEvT1_.num_named_barrier, 0
	.set _ZN7rocprim17ROCPRIM_400000_NS6detail17trampoline_kernelINS0_14default_configENS1_25partition_config_selectorILNS1_17partition_subalgoE5ElNS0_10empty_typeEbEEZZNS1_14partition_implILS5_5ELb0ES3_mN6hipcub16HIPCUB_304000_NS21CountingInputIteratorIllEEPS6_NSA_22TransformInputIteratorIb7NonZeroIdEPdlEENS0_5tupleIJPlS6_EEENSJ_IJSD_SD_EEES6_SK_JS6_EEE10hipError_tPvRmT3_T4_T5_T6_T7_T9_mT8_P12ihipStream_tbDpT10_ENKUlT_T0_E_clISt17integral_constantIbLb0EES16_EEDaS11_S12_EUlS11_E_NS1_11comp_targetILNS1_3genE3ELNS1_11target_archE908ELNS1_3gpuE7ELNS1_3repE0EEENS1_30default_config_static_selectorELNS0_4arch9wavefront6targetE1EEEvT1_.private_seg_size, 0
	.set _ZN7rocprim17ROCPRIM_400000_NS6detail17trampoline_kernelINS0_14default_configENS1_25partition_config_selectorILNS1_17partition_subalgoE5ElNS0_10empty_typeEbEEZZNS1_14partition_implILS5_5ELb0ES3_mN6hipcub16HIPCUB_304000_NS21CountingInputIteratorIllEEPS6_NSA_22TransformInputIteratorIb7NonZeroIdEPdlEENS0_5tupleIJPlS6_EEENSJ_IJSD_SD_EEES6_SK_JS6_EEE10hipError_tPvRmT3_T4_T5_T6_T7_T9_mT8_P12ihipStream_tbDpT10_ENKUlT_T0_E_clISt17integral_constantIbLb0EES16_EEDaS11_S12_EUlS11_E_NS1_11comp_targetILNS1_3genE3ELNS1_11target_archE908ELNS1_3gpuE7ELNS1_3repE0EEENS1_30default_config_static_selectorELNS0_4arch9wavefront6targetE1EEEvT1_.uses_vcc, 0
	.set _ZN7rocprim17ROCPRIM_400000_NS6detail17trampoline_kernelINS0_14default_configENS1_25partition_config_selectorILNS1_17partition_subalgoE5ElNS0_10empty_typeEbEEZZNS1_14partition_implILS5_5ELb0ES3_mN6hipcub16HIPCUB_304000_NS21CountingInputIteratorIllEEPS6_NSA_22TransformInputIteratorIb7NonZeroIdEPdlEENS0_5tupleIJPlS6_EEENSJ_IJSD_SD_EEES6_SK_JS6_EEE10hipError_tPvRmT3_T4_T5_T6_T7_T9_mT8_P12ihipStream_tbDpT10_ENKUlT_T0_E_clISt17integral_constantIbLb0EES16_EEDaS11_S12_EUlS11_E_NS1_11comp_targetILNS1_3genE3ELNS1_11target_archE908ELNS1_3gpuE7ELNS1_3repE0EEENS1_30default_config_static_selectorELNS0_4arch9wavefront6targetE1EEEvT1_.uses_flat_scratch, 0
	.set _ZN7rocprim17ROCPRIM_400000_NS6detail17trampoline_kernelINS0_14default_configENS1_25partition_config_selectorILNS1_17partition_subalgoE5ElNS0_10empty_typeEbEEZZNS1_14partition_implILS5_5ELb0ES3_mN6hipcub16HIPCUB_304000_NS21CountingInputIteratorIllEEPS6_NSA_22TransformInputIteratorIb7NonZeroIdEPdlEENS0_5tupleIJPlS6_EEENSJ_IJSD_SD_EEES6_SK_JS6_EEE10hipError_tPvRmT3_T4_T5_T6_T7_T9_mT8_P12ihipStream_tbDpT10_ENKUlT_T0_E_clISt17integral_constantIbLb0EES16_EEDaS11_S12_EUlS11_E_NS1_11comp_targetILNS1_3genE3ELNS1_11target_archE908ELNS1_3gpuE7ELNS1_3repE0EEENS1_30default_config_static_selectorELNS0_4arch9wavefront6targetE1EEEvT1_.has_dyn_sized_stack, 0
	.set _ZN7rocprim17ROCPRIM_400000_NS6detail17trampoline_kernelINS0_14default_configENS1_25partition_config_selectorILNS1_17partition_subalgoE5ElNS0_10empty_typeEbEEZZNS1_14partition_implILS5_5ELb0ES3_mN6hipcub16HIPCUB_304000_NS21CountingInputIteratorIllEEPS6_NSA_22TransformInputIteratorIb7NonZeroIdEPdlEENS0_5tupleIJPlS6_EEENSJ_IJSD_SD_EEES6_SK_JS6_EEE10hipError_tPvRmT3_T4_T5_T6_T7_T9_mT8_P12ihipStream_tbDpT10_ENKUlT_T0_E_clISt17integral_constantIbLb0EES16_EEDaS11_S12_EUlS11_E_NS1_11comp_targetILNS1_3genE3ELNS1_11target_archE908ELNS1_3gpuE7ELNS1_3repE0EEENS1_30default_config_static_selectorELNS0_4arch9wavefront6targetE1EEEvT1_.has_recursion, 0
	.set _ZN7rocprim17ROCPRIM_400000_NS6detail17trampoline_kernelINS0_14default_configENS1_25partition_config_selectorILNS1_17partition_subalgoE5ElNS0_10empty_typeEbEEZZNS1_14partition_implILS5_5ELb0ES3_mN6hipcub16HIPCUB_304000_NS21CountingInputIteratorIllEEPS6_NSA_22TransformInputIteratorIb7NonZeroIdEPdlEENS0_5tupleIJPlS6_EEENSJ_IJSD_SD_EEES6_SK_JS6_EEE10hipError_tPvRmT3_T4_T5_T6_T7_T9_mT8_P12ihipStream_tbDpT10_ENKUlT_T0_E_clISt17integral_constantIbLb0EES16_EEDaS11_S12_EUlS11_E_NS1_11comp_targetILNS1_3genE3ELNS1_11target_archE908ELNS1_3gpuE7ELNS1_3repE0EEENS1_30default_config_static_selectorELNS0_4arch9wavefront6targetE1EEEvT1_.has_indirect_call, 0
	.section	.AMDGPU.csdata,"",@progbits
; Kernel info:
; codeLenInByte = 0
; TotalNumSgprs: 6
; NumVgprs: 0
; NumAgprs: 0
; TotalNumVgprs: 0
; ScratchSize: 0
; MemoryBound: 0
; FloatMode: 240
; IeeeMode: 1
; LDSByteSize: 0 bytes/workgroup (compile time only)
; SGPRBlocks: 0
; VGPRBlocks: 0
; NumSGPRsForWavesPerEU: 6
; NumVGPRsForWavesPerEU: 1
; AccumOffset: 4
; Occupancy: 8
; WaveLimiterHint : 0
; COMPUTE_PGM_RSRC2:SCRATCH_EN: 0
; COMPUTE_PGM_RSRC2:USER_SGPR: 2
; COMPUTE_PGM_RSRC2:TRAP_HANDLER: 0
; COMPUTE_PGM_RSRC2:TGID_X_EN: 1
; COMPUTE_PGM_RSRC2:TGID_Y_EN: 0
; COMPUTE_PGM_RSRC2:TGID_Z_EN: 0
; COMPUTE_PGM_RSRC2:TIDIG_COMP_CNT: 0
; COMPUTE_PGM_RSRC3_GFX90A:ACCUM_OFFSET: 0
; COMPUTE_PGM_RSRC3_GFX90A:TG_SPLIT: 0
	.section	.text._ZN7rocprim17ROCPRIM_400000_NS6detail17trampoline_kernelINS0_14default_configENS1_25partition_config_selectorILNS1_17partition_subalgoE5ElNS0_10empty_typeEbEEZZNS1_14partition_implILS5_5ELb0ES3_mN6hipcub16HIPCUB_304000_NS21CountingInputIteratorIllEEPS6_NSA_22TransformInputIteratorIb7NonZeroIdEPdlEENS0_5tupleIJPlS6_EEENSJ_IJSD_SD_EEES6_SK_JS6_EEE10hipError_tPvRmT3_T4_T5_T6_T7_T9_mT8_P12ihipStream_tbDpT10_ENKUlT_T0_E_clISt17integral_constantIbLb0EES16_EEDaS11_S12_EUlS11_E_NS1_11comp_targetILNS1_3genE2ELNS1_11target_archE906ELNS1_3gpuE6ELNS1_3repE0EEENS1_30default_config_static_selectorELNS0_4arch9wavefront6targetE1EEEvT1_,"axG",@progbits,_ZN7rocprim17ROCPRIM_400000_NS6detail17trampoline_kernelINS0_14default_configENS1_25partition_config_selectorILNS1_17partition_subalgoE5ElNS0_10empty_typeEbEEZZNS1_14partition_implILS5_5ELb0ES3_mN6hipcub16HIPCUB_304000_NS21CountingInputIteratorIllEEPS6_NSA_22TransformInputIteratorIb7NonZeroIdEPdlEENS0_5tupleIJPlS6_EEENSJ_IJSD_SD_EEES6_SK_JS6_EEE10hipError_tPvRmT3_T4_T5_T6_T7_T9_mT8_P12ihipStream_tbDpT10_ENKUlT_T0_E_clISt17integral_constantIbLb0EES16_EEDaS11_S12_EUlS11_E_NS1_11comp_targetILNS1_3genE2ELNS1_11target_archE906ELNS1_3gpuE6ELNS1_3repE0EEENS1_30default_config_static_selectorELNS0_4arch9wavefront6targetE1EEEvT1_,comdat
	.protected	_ZN7rocprim17ROCPRIM_400000_NS6detail17trampoline_kernelINS0_14default_configENS1_25partition_config_selectorILNS1_17partition_subalgoE5ElNS0_10empty_typeEbEEZZNS1_14partition_implILS5_5ELb0ES3_mN6hipcub16HIPCUB_304000_NS21CountingInputIteratorIllEEPS6_NSA_22TransformInputIteratorIb7NonZeroIdEPdlEENS0_5tupleIJPlS6_EEENSJ_IJSD_SD_EEES6_SK_JS6_EEE10hipError_tPvRmT3_T4_T5_T6_T7_T9_mT8_P12ihipStream_tbDpT10_ENKUlT_T0_E_clISt17integral_constantIbLb0EES16_EEDaS11_S12_EUlS11_E_NS1_11comp_targetILNS1_3genE2ELNS1_11target_archE906ELNS1_3gpuE6ELNS1_3repE0EEENS1_30default_config_static_selectorELNS0_4arch9wavefront6targetE1EEEvT1_ ; -- Begin function _ZN7rocprim17ROCPRIM_400000_NS6detail17trampoline_kernelINS0_14default_configENS1_25partition_config_selectorILNS1_17partition_subalgoE5ElNS0_10empty_typeEbEEZZNS1_14partition_implILS5_5ELb0ES3_mN6hipcub16HIPCUB_304000_NS21CountingInputIteratorIllEEPS6_NSA_22TransformInputIteratorIb7NonZeroIdEPdlEENS0_5tupleIJPlS6_EEENSJ_IJSD_SD_EEES6_SK_JS6_EEE10hipError_tPvRmT3_T4_T5_T6_T7_T9_mT8_P12ihipStream_tbDpT10_ENKUlT_T0_E_clISt17integral_constantIbLb0EES16_EEDaS11_S12_EUlS11_E_NS1_11comp_targetILNS1_3genE2ELNS1_11target_archE906ELNS1_3gpuE6ELNS1_3repE0EEENS1_30default_config_static_selectorELNS0_4arch9wavefront6targetE1EEEvT1_
	.globl	_ZN7rocprim17ROCPRIM_400000_NS6detail17trampoline_kernelINS0_14default_configENS1_25partition_config_selectorILNS1_17partition_subalgoE5ElNS0_10empty_typeEbEEZZNS1_14partition_implILS5_5ELb0ES3_mN6hipcub16HIPCUB_304000_NS21CountingInputIteratorIllEEPS6_NSA_22TransformInputIteratorIb7NonZeroIdEPdlEENS0_5tupleIJPlS6_EEENSJ_IJSD_SD_EEES6_SK_JS6_EEE10hipError_tPvRmT3_T4_T5_T6_T7_T9_mT8_P12ihipStream_tbDpT10_ENKUlT_T0_E_clISt17integral_constantIbLb0EES16_EEDaS11_S12_EUlS11_E_NS1_11comp_targetILNS1_3genE2ELNS1_11target_archE906ELNS1_3gpuE6ELNS1_3repE0EEENS1_30default_config_static_selectorELNS0_4arch9wavefront6targetE1EEEvT1_
	.p2align	8
	.type	_ZN7rocprim17ROCPRIM_400000_NS6detail17trampoline_kernelINS0_14default_configENS1_25partition_config_selectorILNS1_17partition_subalgoE5ElNS0_10empty_typeEbEEZZNS1_14partition_implILS5_5ELb0ES3_mN6hipcub16HIPCUB_304000_NS21CountingInputIteratorIllEEPS6_NSA_22TransformInputIteratorIb7NonZeroIdEPdlEENS0_5tupleIJPlS6_EEENSJ_IJSD_SD_EEES6_SK_JS6_EEE10hipError_tPvRmT3_T4_T5_T6_T7_T9_mT8_P12ihipStream_tbDpT10_ENKUlT_T0_E_clISt17integral_constantIbLb0EES16_EEDaS11_S12_EUlS11_E_NS1_11comp_targetILNS1_3genE2ELNS1_11target_archE906ELNS1_3gpuE6ELNS1_3repE0EEENS1_30default_config_static_selectorELNS0_4arch9wavefront6targetE1EEEvT1_,@function
_ZN7rocprim17ROCPRIM_400000_NS6detail17trampoline_kernelINS0_14default_configENS1_25partition_config_selectorILNS1_17partition_subalgoE5ElNS0_10empty_typeEbEEZZNS1_14partition_implILS5_5ELb0ES3_mN6hipcub16HIPCUB_304000_NS21CountingInputIteratorIllEEPS6_NSA_22TransformInputIteratorIb7NonZeroIdEPdlEENS0_5tupleIJPlS6_EEENSJ_IJSD_SD_EEES6_SK_JS6_EEE10hipError_tPvRmT3_T4_T5_T6_T7_T9_mT8_P12ihipStream_tbDpT10_ENKUlT_T0_E_clISt17integral_constantIbLb0EES16_EEDaS11_S12_EUlS11_E_NS1_11comp_targetILNS1_3genE2ELNS1_11target_archE906ELNS1_3gpuE6ELNS1_3repE0EEENS1_30default_config_static_selectorELNS0_4arch9wavefront6targetE1EEEvT1_: ; @_ZN7rocprim17ROCPRIM_400000_NS6detail17trampoline_kernelINS0_14default_configENS1_25partition_config_selectorILNS1_17partition_subalgoE5ElNS0_10empty_typeEbEEZZNS1_14partition_implILS5_5ELb0ES3_mN6hipcub16HIPCUB_304000_NS21CountingInputIteratorIllEEPS6_NSA_22TransformInputIteratorIb7NonZeroIdEPdlEENS0_5tupleIJPlS6_EEENSJ_IJSD_SD_EEES6_SK_JS6_EEE10hipError_tPvRmT3_T4_T5_T6_T7_T9_mT8_P12ihipStream_tbDpT10_ENKUlT_T0_E_clISt17integral_constantIbLb0EES16_EEDaS11_S12_EUlS11_E_NS1_11comp_targetILNS1_3genE2ELNS1_11target_archE906ELNS1_3gpuE6ELNS1_3repE0EEENS1_30default_config_static_selectorELNS0_4arch9wavefront6targetE1EEEvT1_
; %bb.0:
	.section	.rodata,"a",@progbits
	.p2align	6, 0x0
	.amdhsa_kernel _ZN7rocprim17ROCPRIM_400000_NS6detail17trampoline_kernelINS0_14default_configENS1_25partition_config_selectorILNS1_17partition_subalgoE5ElNS0_10empty_typeEbEEZZNS1_14partition_implILS5_5ELb0ES3_mN6hipcub16HIPCUB_304000_NS21CountingInputIteratorIllEEPS6_NSA_22TransformInputIteratorIb7NonZeroIdEPdlEENS0_5tupleIJPlS6_EEENSJ_IJSD_SD_EEES6_SK_JS6_EEE10hipError_tPvRmT3_T4_T5_T6_T7_T9_mT8_P12ihipStream_tbDpT10_ENKUlT_T0_E_clISt17integral_constantIbLb0EES16_EEDaS11_S12_EUlS11_E_NS1_11comp_targetILNS1_3genE2ELNS1_11target_archE906ELNS1_3gpuE6ELNS1_3repE0EEENS1_30default_config_static_selectorELNS0_4arch9wavefront6targetE1EEEvT1_
		.amdhsa_group_segment_fixed_size 0
		.amdhsa_private_segment_fixed_size 0
		.amdhsa_kernarg_size 120
		.amdhsa_user_sgpr_count 2
		.amdhsa_user_sgpr_dispatch_ptr 0
		.amdhsa_user_sgpr_queue_ptr 0
		.amdhsa_user_sgpr_kernarg_segment_ptr 1
		.amdhsa_user_sgpr_dispatch_id 0
		.amdhsa_user_sgpr_kernarg_preload_length 0
		.amdhsa_user_sgpr_kernarg_preload_offset 0
		.amdhsa_user_sgpr_private_segment_size 0
		.amdhsa_uses_dynamic_stack 0
		.amdhsa_enable_private_segment 0
		.amdhsa_system_sgpr_workgroup_id_x 1
		.amdhsa_system_sgpr_workgroup_id_y 0
		.amdhsa_system_sgpr_workgroup_id_z 0
		.amdhsa_system_sgpr_workgroup_info 0
		.amdhsa_system_vgpr_workitem_id 0
		.amdhsa_next_free_vgpr 1
		.amdhsa_next_free_sgpr 0
		.amdhsa_accum_offset 4
		.amdhsa_reserve_vcc 0
		.amdhsa_float_round_mode_32 0
		.amdhsa_float_round_mode_16_64 0
		.amdhsa_float_denorm_mode_32 3
		.amdhsa_float_denorm_mode_16_64 3
		.amdhsa_dx10_clamp 1
		.amdhsa_ieee_mode 1
		.amdhsa_fp16_overflow 0
		.amdhsa_tg_split 0
		.amdhsa_exception_fp_ieee_invalid_op 0
		.amdhsa_exception_fp_denorm_src 0
		.amdhsa_exception_fp_ieee_div_zero 0
		.amdhsa_exception_fp_ieee_overflow 0
		.amdhsa_exception_fp_ieee_underflow 0
		.amdhsa_exception_fp_ieee_inexact 0
		.amdhsa_exception_int_div_zero 0
	.end_amdhsa_kernel
	.section	.text._ZN7rocprim17ROCPRIM_400000_NS6detail17trampoline_kernelINS0_14default_configENS1_25partition_config_selectorILNS1_17partition_subalgoE5ElNS0_10empty_typeEbEEZZNS1_14partition_implILS5_5ELb0ES3_mN6hipcub16HIPCUB_304000_NS21CountingInputIteratorIllEEPS6_NSA_22TransformInputIteratorIb7NonZeroIdEPdlEENS0_5tupleIJPlS6_EEENSJ_IJSD_SD_EEES6_SK_JS6_EEE10hipError_tPvRmT3_T4_T5_T6_T7_T9_mT8_P12ihipStream_tbDpT10_ENKUlT_T0_E_clISt17integral_constantIbLb0EES16_EEDaS11_S12_EUlS11_E_NS1_11comp_targetILNS1_3genE2ELNS1_11target_archE906ELNS1_3gpuE6ELNS1_3repE0EEENS1_30default_config_static_selectorELNS0_4arch9wavefront6targetE1EEEvT1_,"axG",@progbits,_ZN7rocprim17ROCPRIM_400000_NS6detail17trampoline_kernelINS0_14default_configENS1_25partition_config_selectorILNS1_17partition_subalgoE5ElNS0_10empty_typeEbEEZZNS1_14partition_implILS5_5ELb0ES3_mN6hipcub16HIPCUB_304000_NS21CountingInputIteratorIllEEPS6_NSA_22TransformInputIteratorIb7NonZeroIdEPdlEENS0_5tupleIJPlS6_EEENSJ_IJSD_SD_EEES6_SK_JS6_EEE10hipError_tPvRmT3_T4_T5_T6_T7_T9_mT8_P12ihipStream_tbDpT10_ENKUlT_T0_E_clISt17integral_constantIbLb0EES16_EEDaS11_S12_EUlS11_E_NS1_11comp_targetILNS1_3genE2ELNS1_11target_archE906ELNS1_3gpuE6ELNS1_3repE0EEENS1_30default_config_static_selectorELNS0_4arch9wavefront6targetE1EEEvT1_,comdat
.Lfunc_end325:
	.size	_ZN7rocprim17ROCPRIM_400000_NS6detail17trampoline_kernelINS0_14default_configENS1_25partition_config_selectorILNS1_17partition_subalgoE5ElNS0_10empty_typeEbEEZZNS1_14partition_implILS5_5ELb0ES3_mN6hipcub16HIPCUB_304000_NS21CountingInputIteratorIllEEPS6_NSA_22TransformInputIteratorIb7NonZeroIdEPdlEENS0_5tupleIJPlS6_EEENSJ_IJSD_SD_EEES6_SK_JS6_EEE10hipError_tPvRmT3_T4_T5_T6_T7_T9_mT8_P12ihipStream_tbDpT10_ENKUlT_T0_E_clISt17integral_constantIbLb0EES16_EEDaS11_S12_EUlS11_E_NS1_11comp_targetILNS1_3genE2ELNS1_11target_archE906ELNS1_3gpuE6ELNS1_3repE0EEENS1_30default_config_static_selectorELNS0_4arch9wavefront6targetE1EEEvT1_, .Lfunc_end325-_ZN7rocprim17ROCPRIM_400000_NS6detail17trampoline_kernelINS0_14default_configENS1_25partition_config_selectorILNS1_17partition_subalgoE5ElNS0_10empty_typeEbEEZZNS1_14partition_implILS5_5ELb0ES3_mN6hipcub16HIPCUB_304000_NS21CountingInputIteratorIllEEPS6_NSA_22TransformInputIteratorIb7NonZeroIdEPdlEENS0_5tupleIJPlS6_EEENSJ_IJSD_SD_EEES6_SK_JS6_EEE10hipError_tPvRmT3_T4_T5_T6_T7_T9_mT8_P12ihipStream_tbDpT10_ENKUlT_T0_E_clISt17integral_constantIbLb0EES16_EEDaS11_S12_EUlS11_E_NS1_11comp_targetILNS1_3genE2ELNS1_11target_archE906ELNS1_3gpuE6ELNS1_3repE0EEENS1_30default_config_static_selectorELNS0_4arch9wavefront6targetE1EEEvT1_
                                        ; -- End function
	.set _ZN7rocprim17ROCPRIM_400000_NS6detail17trampoline_kernelINS0_14default_configENS1_25partition_config_selectorILNS1_17partition_subalgoE5ElNS0_10empty_typeEbEEZZNS1_14partition_implILS5_5ELb0ES3_mN6hipcub16HIPCUB_304000_NS21CountingInputIteratorIllEEPS6_NSA_22TransformInputIteratorIb7NonZeroIdEPdlEENS0_5tupleIJPlS6_EEENSJ_IJSD_SD_EEES6_SK_JS6_EEE10hipError_tPvRmT3_T4_T5_T6_T7_T9_mT8_P12ihipStream_tbDpT10_ENKUlT_T0_E_clISt17integral_constantIbLb0EES16_EEDaS11_S12_EUlS11_E_NS1_11comp_targetILNS1_3genE2ELNS1_11target_archE906ELNS1_3gpuE6ELNS1_3repE0EEENS1_30default_config_static_selectorELNS0_4arch9wavefront6targetE1EEEvT1_.num_vgpr, 0
	.set _ZN7rocprim17ROCPRIM_400000_NS6detail17trampoline_kernelINS0_14default_configENS1_25partition_config_selectorILNS1_17partition_subalgoE5ElNS0_10empty_typeEbEEZZNS1_14partition_implILS5_5ELb0ES3_mN6hipcub16HIPCUB_304000_NS21CountingInputIteratorIllEEPS6_NSA_22TransformInputIteratorIb7NonZeroIdEPdlEENS0_5tupleIJPlS6_EEENSJ_IJSD_SD_EEES6_SK_JS6_EEE10hipError_tPvRmT3_T4_T5_T6_T7_T9_mT8_P12ihipStream_tbDpT10_ENKUlT_T0_E_clISt17integral_constantIbLb0EES16_EEDaS11_S12_EUlS11_E_NS1_11comp_targetILNS1_3genE2ELNS1_11target_archE906ELNS1_3gpuE6ELNS1_3repE0EEENS1_30default_config_static_selectorELNS0_4arch9wavefront6targetE1EEEvT1_.num_agpr, 0
	.set _ZN7rocprim17ROCPRIM_400000_NS6detail17trampoline_kernelINS0_14default_configENS1_25partition_config_selectorILNS1_17partition_subalgoE5ElNS0_10empty_typeEbEEZZNS1_14partition_implILS5_5ELb0ES3_mN6hipcub16HIPCUB_304000_NS21CountingInputIteratorIllEEPS6_NSA_22TransformInputIteratorIb7NonZeroIdEPdlEENS0_5tupleIJPlS6_EEENSJ_IJSD_SD_EEES6_SK_JS6_EEE10hipError_tPvRmT3_T4_T5_T6_T7_T9_mT8_P12ihipStream_tbDpT10_ENKUlT_T0_E_clISt17integral_constantIbLb0EES16_EEDaS11_S12_EUlS11_E_NS1_11comp_targetILNS1_3genE2ELNS1_11target_archE906ELNS1_3gpuE6ELNS1_3repE0EEENS1_30default_config_static_selectorELNS0_4arch9wavefront6targetE1EEEvT1_.numbered_sgpr, 0
	.set _ZN7rocprim17ROCPRIM_400000_NS6detail17trampoline_kernelINS0_14default_configENS1_25partition_config_selectorILNS1_17partition_subalgoE5ElNS0_10empty_typeEbEEZZNS1_14partition_implILS5_5ELb0ES3_mN6hipcub16HIPCUB_304000_NS21CountingInputIteratorIllEEPS6_NSA_22TransformInputIteratorIb7NonZeroIdEPdlEENS0_5tupleIJPlS6_EEENSJ_IJSD_SD_EEES6_SK_JS6_EEE10hipError_tPvRmT3_T4_T5_T6_T7_T9_mT8_P12ihipStream_tbDpT10_ENKUlT_T0_E_clISt17integral_constantIbLb0EES16_EEDaS11_S12_EUlS11_E_NS1_11comp_targetILNS1_3genE2ELNS1_11target_archE906ELNS1_3gpuE6ELNS1_3repE0EEENS1_30default_config_static_selectorELNS0_4arch9wavefront6targetE1EEEvT1_.num_named_barrier, 0
	.set _ZN7rocprim17ROCPRIM_400000_NS6detail17trampoline_kernelINS0_14default_configENS1_25partition_config_selectorILNS1_17partition_subalgoE5ElNS0_10empty_typeEbEEZZNS1_14partition_implILS5_5ELb0ES3_mN6hipcub16HIPCUB_304000_NS21CountingInputIteratorIllEEPS6_NSA_22TransformInputIteratorIb7NonZeroIdEPdlEENS0_5tupleIJPlS6_EEENSJ_IJSD_SD_EEES6_SK_JS6_EEE10hipError_tPvRmT3_T4_T5_T6_T7_T9_mT8_P12ihipStream_tbDpT10_ENKUlT_T0_E_clISt17integral_constantIbLb0EES16_EEDaS11_S12_EUlS11_E_NS1_11comp_targetILNS1_3genE2ELNS1_11target_archE906ELNS1_3gpuE6ELNS1_3repE0EEENS1_30default_config_static_selectorELNS0_4arch9wavefront6targetE1EEEvT1_.private_seg_size, 0
	.set _ZN7rocprim17ROCPRIM_400000_NS6detail17trampoline_kernelINS0_14default_configENS1_25partition_config_selectorILNS1_17partition_subalgoE5ElNS0_10empty_typeEbEEZZNS1_14partition_implILS5_5ELb0ES3_mN6hipcub16HIPCUB_304000_NS21CountingInputIteratorIllEEPS6_NSA_22TransformInputIteratorIb7NonZeroIdEPdlEENS0_5tupleIJPlS6_EEENSJ_IJSD_SD_EEES6_SK_JS6_EEE10hipError_tPvRmT3_T4_T5_T6_T7_T9_mT8_P12ihipStream_tbDpT10_ENKUlT_T0_E_clISt17integral_constantIbLb0EES16_EEDaS11_S12_EUlS11_E_NS1_11comp_targetILNS1_3genE2ELNS1_11target_archE906ELNS1_3gpuE6ELNS1_3repE0EEENS1_30default_config_static_selectorELNS0_4arch9wavefront6targetE1EEEvT1_.uses_vcc, 0
	.set _ZN7rocprim17ROCPRIM_400000_NS6detail17trampoline_kernelINS0_14default_configENS1_25partition_config_selectorILNS1_17partition_subalgoE5ElNS0_10empty_typeEbEEZZNS1_14partition_implILS5_5ELb0ES3_mN6hipcub16HIPCUB_304000_NS21CountingInputIteratorIllEEPS6_NSA_22TransformInputIteratorIb7NonZeroIdEPdlEENS0_5tupleIJPlS6_EEENSJ_IJSD_SD_EEES6_SK_JS6_EEE10hipError_tPvRmT3_T4_T5_T6_T7_T9_mT8_P12ihipStream_tbDpT10_ENKUlT_T0_E_clISt17integral_constantIbLb0EES16_EEDaS11_S12_EUlS11_E_NS1_11comp_targetILNS1_3genE2ELNS1_11target_archE906ELNS1_3gpuE6ELNS1_3repE0EEENS1_30default_config_static_selectorELNS0_4arch9wavefront6targetE1EEEvT1_.uses_flat_scratch, 0
	.set _ZN7rocprim17ROCPRIM_400000_NS6detail17trampoline_kernelINS0_14default_configENS1_25partition_config_selectorILNS1_17partition_subalgoE5ElNS0_10empty_typeEbEEZZNS1_14partition_implILS5_5ELb0ES3_mN6hipcub16HIPCUB_304000_NS21CountingInputIteratorIllEEPS6_NSA_22TransformInputIteratorIb7NonZeroIdEPdlEENS0_5tupleIJPlS6_EEENSJ_IJSD_SD_EEES6_SK_JS6_EEE10hipError_tPvRmT3_T4_T5_T6_T7_T9_mT8_P12ihipStream_tbDpT10_ENKUlT_T0_E_clISt17integral_constantIbLb0EES16_EEDaS11_S12_EUlS11_E_NS1_11comp_targetILNS1_3genE2ELNS1_11target_archE906ELNS1_3gpuE6ELNS1_3repE0EEENS1_30default_config_static_selectorELNS0_4arch9wavefront6targetE1EEEvT1_.has_dyn_sized_stack, 0
	.set _ZN7rocprim17ROCPRIM_400000_NS6detail17trampoline_kernelINS0_14default_configENS1_25partition_config_selectorILNS1_17partition_subalgoE5ElNS0_10empty_typeEbEEZZNS1_14partition_implILS5_5ELb0ES3_mN6hipcub16HIPCUB_304000_NS21CountingInputIteratorIllEEPS6_NSA_22TransformInputIteratorIb7NonZeroIdEPdlEENS0_5tupleIJPlS6_EEENSJ_IJSD_SD_EEES6_SK_JS6_EEE10hipError_tPvRmT3_T4_T5_T6_T7_T9_mT8_P12ihipStream_tbDpT10_ENKUlT_T0_E_clISt17integral_constantIbLb0EES16_EEDaS11_S12_EUlS11_E_NS1_11comp_targetILNS1_3genE2ELNS1_11target_archE906ELNS1_3gpuE6ELNS1_3repE0EEENS1_30default_config_static_selectorELNS0_4arch9wavefront6targetE1EEEvT1_.has_recursion, 0
	.set _ZN7rocprim17ROCPRIM_400000_NS6detail17trampoline_kernelINS0_14default_configENS1_25partition_config_selectorILNS1_17partition_subalgoE5ElNS0_10empty_typeEbEEZZNS1_14partition_implILS5_5ELb0ES3_mN6hipcub16HIPCUB_304000_NS21CountingInputIteratorIllEEPS6_NSA_22TransformInputIteratorIb7NonZeroIdEPdlEENS0_5tupleIJPlS6_EEENSJ_IJSD_SD_EEES6_SK_JS6_EEE10hipError_tPvRmT3_T4_T5_T6_T7_T9_mT8_P12ihipStream_tbDpT10_ENKUlT_T0_E_clISt17integral_constantIbLb0EES16_EEDaS11_S12_EUlS11_E_NS1_11comp_targetILNS1_3genE2ELNS1_11target_archE906ELNS1_3gpuE6ELNS1_3repE0EEENS1_30default_config_static_selectorELNS0_4arch9wavefront6targetE1EEEvT1_.has_indirect_call, 0
	.section	.AMDGPU.csdata,"",@progbits
; Kernel info:
; codeLenInByte = 0
; TotalNumSgprs: 6
; NumVgprs: 0
; NumAgprs: 0
; TotalNumVgprs: 0
; ScratchSize: 0
; MemoryBound: 0
; FloatMode: 240
; IeeeMode: 1
; LDSByteSize: 0 bytes/workgroup (compile time only)
; SGPRBlocks: 0
; VGPRBlocks: 0
; NumSGPRsForWavesPerEU: 6
; NumVGPRsForWavesPerEU: 1
; AccumOffset: 4
; Occupancy: 8
; WaveLimiterHint : 0
; COMPUTE_PGM_RSRC2:SCRATCH_EN: 0
; COMPUTE_PGM_RSRC2:USER_SGPR: 2
; COMPUTE_PGM_RSRC2:TRAP_HANDLER: 0
; COMPUTE_PGM_RSRC2:TGID_X_EN: 1
; COMPUTE_PGM_RSRC2:TGID_Y_EN: 0
; COMPUTE_PGM_RSRC2:TGID_Z_EN: 0
; COMPUTE_PGM_RSRC2:TIDIG_COMP_CNT: 0
; COMPUTE_PGM_RSRC3_GFX90A:ACCUM_OFFSET: 0
; COMPUTE_PGM_RSRC3_GFX90A:TG_SPLIT: 0
	.section	.text._ZN7rocprim17ROCPRIM_400000_NS6detail17trampoline_kernelINS0_14default_configENS1_25partition_config_selectorILNS1_17partition_subalgoE5ElNS0_10empty_typeEbEEZZNS1_14partition_implILS5_5ELb0ES3_mN6hipcub16HIPCUB_304000_NS21CountingInputIteratorIllEEPS6_NSA_22TransformInputIteratorIb7NonZeroIdEPdlEENS0_5tupleIJPlS6_EEENSJ_IJSD_SD_EEES6_SK_JS6_EEE10hipError_tPvRmT3_T4_T5_T6_T7_T9_mT8_P12ihipStream_tbDpT10_ENKUlT_T0_E_clISt17integral_constantIbLb0EES16_EEDaS11_S12_EUlS11_E_NS1_11comp_targetILNS1_3genE10ELNS1_11target_archE1200ELNS1_3gpuE4ELNS1_3repE0EEENS1_30default_config_static_selectorELNS0_4arch9wavefront6targetE1EEEvT1_,"axG",@progbits,_ZN7rocprim17ROCPRIM_400000_NS6detail17trampoline_kernelINS0_14default_configENS1_25partition_config_selectorILNS1_17partition_subalgoE5ElNS0_10empty_typeEbEEZZNS1_14partition_implILS5_5ELb0ES3_mN6hipcub16HIPCUB_304000_NS21CountingInputIteratorIllEEPS6_NSA_22TransformInputIteratorIb7NonZeroIdEPdlEENS0_5tupleIJPlS6_EEENSJ_IJSD_SD_EEES6_SK_JS6_EEE10hipError_tPvRmT3_T4_T5_T6_T7_T9_mT8_P12ihipStream_tbDpT10_ENKUlT_T0_E_clISt17integral_constantIbLb0EES16_EEDaS11_S12_EUlS11_E_NS1_11comp_targetILNS1_3genE10ELNS1_11target_archE1200ELNS1_3gpuE4ELNS1_3repE0EEENS1_30default_config_static_selectorELNS0_4arch9wavefront6targetE1EEEvT1_,comdat
	.protected	_ZN7rocprim17ROCPRIM_400000_NS6detail17trampoline_kernelINS0_14default_configENS1_25partition_config_selectorILNS1_17partition_subalgoE5ElNS0_10empty_typeEbEEZZNS1_14partition_implILS5_5ELb0ES3_mN6hipcub16HIPCUB_304000_NS21CountingInputIteratorIllEEPS6_NSA_22TransformInputIteratorIb7NonZeroIdEPdlEENS0_5tupleIJPlS6_EEENSJ_IJSD_SD_EEES6_SK_JS6_EEE10hipError_tPvRmT3_T4_T5_T6_T7_T9_mT8_P12ihipStream_tbDpT10_ENKUlT_T0_E_clISt17integral_constantIbLb0EES16_EEDaS11_S12_EUlS11_E_NS1_11comp_targetILNS1_3genE10ELNS1_11target_archE1200ELNS1_3gpuE4ELNS1_3repE0EEENS1_30default_config_static_selectorELNS0_4arch9wavefront6targetE1EEEvT1_ ; -- Begin function _ZN7rocprim17ROCPRIM_400000_NS6detail17trampoline_kernelINS0_14default_configENS1_25partition_config_selectorILNS1_17partition_subalgoE5ElNS0_10empty_typeEbEEZZNS1_14partition_implILS5_5ELb0ES3_mN6hipcub16HIPCUB_304000_NS21CountingInputIteratorIllEEPS6_NSA_22TransformInputIteratorIb7NonZeroIdEPdlEENS0_5tupleIJPlS6_EEENSJ_IJSD_SD_EEES6_SK_JS6_EEE10hipError_tPvRmT3_T4_T5_T6_T7_T9_mT8_P12ihipStream_tbDpT10_ENKUlT_T0_E_clISt17integral_constantIbLb0EES16_EEDaS11_S12_EUlS11_E_NS1_11comp_targetILNS1_3genE10ELNS1_11target_archE1200ELNS1_3gpuE4ELNS1_3repE0EEENS1_30default_config_static_selectorELNS0_4arch9wavefront6targetE1EEEvT1_
	.globl	_ZN7rocprim17ROCPRIM_400000_NS6detail17trampoline_kernelINS0_14default_configENS1_25partition_config_selectorILNS1_17partition_subalgoE5ElNS0_10empty_typeEbEEZZNS1_14partition_implILS5_5ELb0ES3_mN6hipcub16HIPCUB_304000_NS21CountingInputIteratorIllEEPS6_NSA_22TransformInputIteratorIb7NonZeroIdEPdlEENS0_5tupleIJPlS6_EEENSJ_IJSD_SD_EEES6_SK_JS6_EEE10hipError_tPvRmT3_T4_T5_T6_T7_T9_mT8_P12ihipStream_tbDpT10_ENKUlT_T0_E_clISt17integral_constantIbLb0EES16_EEDaS11_S12_EUlS11_E_NS1_11comp_targetILNS1_3genE10ELNS1_11target_archE1200ELNS1_3gpuE4ELNS1_3repE0EEENS1_30default_config_static_selectorELNS0_4arch9wavefront6targetE1EEEvT1_
	.p2align	8
	.type	_ZN7rocprim17ROCPRIM_400000_NS6detail17trampoline_kernelINS0_14default_configENS1_25partition_config_selectorILNS1_17partition_subalgoE5ElNS0_10empty_typeEbEEZZNS1_14partition_implILS5_5ELb0ES3_mN6hipcub16HIPCUB_304000_NS21CountingInputIteratorIllEEPS6_NSA_22TransformInputIteratorIb7NonZeroIdEPdlEENS0_5tupleIJPlS6_EEENSJ_IJSD_SD_EEES6_SK_JS6_EEE10hipError_tPvRmT3_T4_T5_T6_T7_T9_mT8_P12ihipStream_tbDpT10_ENKUlT_T0_E_clISt17integral_constantIbLb0EES16_EEDaS11_S12_EUlS11_E_NS1_11comp_targetILNS1_3genE10ELNS1_11target_archE1200ELNS1_3gpuE4ELNS1_3repE0EEENS1_30default_config_static_selectorELNS0_4arch9wavefront6targetE1EEEvT1_,@function
_ZN7rocprim17ROCPRIM_400000_NS6detail17trampoline_kernelINS0_14default_configENS1_25partition_config_selectorILNS1_17partition_subalgoE5ElNS0_10empty_typeEbEEZZNS1_14partition_implILS5_5ELb0ES3_mN6hipcub16HIPCUB_304000_NS21CountingInputIteratorIllEEPS6_NSA_22TransformInputIteratorIb7NonZeroIdEPdlEENS0_5tupleIJPlS6_EEENSJ_IJSD_SD_EEES6_SK_JS6_EEE10hipError_tPvRmT3_T4_T5_T6_T7_T9_mT8_P12ihipStream_tbDpT10_ENKUlT_T0_E_clISt17integral_constantIbLb0EES16_EEDaS11_S12_EUlS11_E_NS1_11comp_targetILNS1_3genE10ELNS1_11target_archE1200ELNS1_3gpuE4ELNS1_3repE0EEENS1_30default_config_static_selectorELNS0_4arch9wavefront6targetE1EEEvT1_: ; @_ZN7rocprim17ROCPRIM_400000_NS6detail17trampoline_kernelINS0_14default_configENS1_25partition_config_selectorILNS1_17partition_subalgoE5ElNS0_10empty_typeEbEEZZNS1_14partition_implILS5_5ELb0ES3_mN6hipcub16HIPCUB_304000_NS21CountingInputIteratorIllEEPS6_NSA_22TransformInputIteratorIb7NonZeroIdEPdlEENS0_5tupleIJPlS6_EEENSJ_IJSD_SD_EEES6_SK_JS6_EEE10hipError_tPvRmT3_T4_T5_T6_T7_T9_mT8_P12ihipStream_tbDpT10_ENKUlT_T0_E_clISt17integral_constantIbLb0EES16_EEDaS11_S12_EUlS11_E_NS1_11comp_targetILNS1_3genE10ELNS1_11target_archE1200ELNS1_3gpuE4ELNS1_3repE0EEENS1_30default_config_static_selectorELNS0_4arch9wavefront6targetE1EEEvT1_
; %bb.0:
	.section	.rodata,"a",@progbits
	.p2align	6, 0x0
	.amdhsa_kernel _ZN7rocprim17ROCPRIM_400000_NS6detail17trampoline_kernelINS0_14default_configENS1_25partition_config_selectorILNS1_17partition_subalgoE5ElNS0_10empty_typeEbEEZZNS1_14partition_implILS5_5ELb0ES3_mN6hipcub16HIPCUB_304000_NS21CountingInputIteratorIllEEPS6_NSA_22TransformInputIteratorIb7NonZeroIdEPdlEENS0_5tupleIJPlS6_EEENSJ_IJSD_SD_EEES6_SK_JS6_EEE10hipError_tPvRmT3_T4_T5_T6_T7_T9_mT8_P12ihipStream_tbDpT10_ENKUlT_T0_E_clISt17integral_constantIbLb0EES16_EEDaS11_S12_EUlS11_E_NS1_11comp_targetILNS1_3genE10ELNS1_11target_archE1200ELNS1_3gpuE4ELNS1_3repE0EEENS1_30default_config_static_selectorELNS0_4arch9wavefront6targetE1EEEvT1_
		.amdhsa_group_segment_fixed_size 0
		.amdhsa_private_segment_fixed_size 0
		.amdhsa_kernarg_size 120
		.amdhsa_user_sgpr_count 2
		.amdhsa_user_sgpr_dispatch_ptr 0
		.amdhsa_user_sgpr_queue_ptr 0
		.amdhsa_user_sgpr_kernarg_segment_ptr 1
		.amdhsa_user_sgpr_dispatch_id 0
		.amdhsa_user_sgpr_kernarg_preload_length 0
		.amdhsa_user_sgpr_kernarg_preload_offset 0
		.amdhsa_user_sgpr_private_segment_size 0
		.amdhsa_uses_dynamic_stack 0
		.amdhsa_enable_private_segment 0
		.amdhsa_system_sgpr_workgroup_id_x 1
		.amdhsa_system_sgpr_workgroup_id_y 0
		.amdhsa_system_sgpr_workgroup_id_z 0
		.amdhsa_system_sgpr_workgroup_info 0
		.amdhsa_system_vgpr_workitem_id 0
		.amdhsa_next_free_vgpr 1
		.amdhsa_next_free_sgpr 0
		.amdhsa_accum_offset 4
		.amdhsa_reserve_vcc 0
		.amdhsa_float_round_mode_32 0
		.amdhsa_float_round_mode_16_64 0
		.amdhsa_float_denorm_mode_32 3
		.amdhsa_float_denorm_mode_16_64 3
		.amdhsa_dx10_clamp 1
		.amdhsa_ieee_mode 1
		.amdhsa_fp16_overflow 0
		.amdhsa_tg_split 0
		.amdhsa_exception_fp_ieee_invalid_op 0
		.amdhsa_exception_fp_denorm_src 0
		.amdhsa_exception_fp_ieee_div_zero 0
		.amdhsa_exception_fp_ieee_overflow 0
		.amdhsa_exception_fp_ieee_underflow 0
		.amdhsa_exception_fp_ieee_inexact 0
		.amdhsa_exception_int_div_zero 0
	.end_amdhsa_kernel
	.section	.text._ZN7rocprim17ROCPRIM_400000_NS6detail17trampoline_kernelINS0_14default_configENS1_25partition_config_selectorILNS1_17partition_subalgoE5ElNS0_10empty_typeEbEEZZNS1_14partition_implILS5_5ELb0ES3_mN6hipcub16HIPCUB_304000_NS21CountingInputIteratorIllEEPS6_NSA_22TransformInputIteratorIb7NonZeroIdEPdlEENS0_5tupleIJPlS6_EEENSJ_IJSD_SD_EEES6_SK_JS6_EEE10hipError_tPvRmT3_T4_T5_T6_T7_T9_mT8_P12ihipStream_tbDpT10_ENKUlT_T0_E_clISt17integral_constantIbLb0EES16_EEDaS11_S12_EUlS11_E_NS1_11comp_targetILNS1_3genE10ELNS1_11target_archE1200ELNS1_3gpuE4ELNS1_3repE0EEENS1_30default_config_static_selectorELNS0_4arch9wavefront6targetE1EEEvT1_,"axG",@progbits,_ZN7rocprim17ROCPRIM_400000_NS6detail17trampoline_kernelINS0_14default_configENS1_25partition_config_selectorILNS1_17partition_subalgoE5ElNS0_10empty_typeEbEEZZNS1_14partition_implILS5_5ELb0ES3_mN6hipcub16HIPCUB_304000_NS21CountingInputIteratorIllEEPS6_NSA_22TransformInputIteratorIb7NonZeroIdEPdlEENS0_5tupleIJPlS6_EEENSJ_IJSD_SD_EEES6_SK_JS6_EEE10hipError_tPvRmT3_T4_T5_T6_T7_T9_mT8_P12ihipStream_tbDpT10_ENKUlT_T0_E_clISt17integral_constantIbLb0EES16_EEDaS11_S12_EUlS11_E_NS1_11comp_targetILNS1_3genE10ELNS1_11target_archE1200ELNS1_3gpuE4ELNS1_3repE0EEENS1_30default_config_static_selectorELNS0_4arch9wavefront6targetE1EEEvT1_,comdat
.Lfunc_end326:
	.size	_ZN7rocprim17ROCPRIM_400000_NS6detail17trampoline_kernelINS0_14default_configENS1_25partition_config_selectorILNS1_17partition_subalgoE5ElNS0_10empty_typeEbEEZZNS1_14partition_implILS5_5ELb0ES3_mN6hipcub16HIPCUB_304000_NS21CountingInputIteratorIllEEPS6_NSA_22TransformInputIteratorIb7NonZeroIdEPdlEENS0_5tupleIJPlS6_EEENSJ_IJSD_SD_EEES6_SK_JS6_EEE10hipError_tPvRmT3_T4_T5_T6_T7_T9_mT8_P12ihipStream_tbDpT10_ENKUlT_T0_E_clISt17integral_constantIbLb0EES16_EEDaS11_S12_EUlS11_E_NS1_11comp_targetILNS1_3genE10ELNS1_11target_archE1200ELNS1_3gpuE4ELNS1_3repE0EEENS1_30default_config_static_selectorELNS0_4arch9wavefront6targetE1EEEvT1_, .Lfunc_end326-_ZN7rocprim17ROCPRIM_400000_NS6detail17trampoline_kernelINS0_14default_configENS1_25partition_config_selectorILNS1_17partition_subalgoE5ElNS0_10empty_typeEbEEZZNS1_14partition_implILS5_5ELb0ES3_mN6hipcub16HIPCUB_304000_NS21CountingInputIteratorIllEEPS6_NSA_22TransformInputIteratorIb7NonZeroIdEPdlEENS0_5tupleIJPlS6_EEENSJ_IJSD_SD_EEES6_SK_JS6_EEE10hipError_tPvRmT3_T4_T5_T6_T7_T9_mT8_P12ihipStream_tbDpT10_ENKUlT_T0_E_clISt17integral_constantIbLb0EES16_EEDaS11_S12_EUlS11_E_NS1_11comp_targetILNS1_3genE10ELNS1_11target_archE1200ELNS1_3gpuE4ELNS1_3repE0EEENS1_30default_config_static_selectorELNS0_4arch9wavefront6targetE1EEEvT1_
                                        ; -- End function
	.set _ZN7rocprim17ROCPRIM_400000_NS6detail17trampoline_kernelINS0_14default_configENS1_25partition_config_selectorILNS1_17partition_subalgoE5ElNS0_10empty_typeEbEEZZNS1_14partition_implILS5_5ELb0ES3_mN6hipcub16HIPCUB_304000_NS21CountingInputIteratorIllEEPS6_NSA_22TransformInputIteratorIb7NonZeroIdEPdlEENS0_5tupleIJPlS6_EEENSJ_IJSD_SD_EEES6_SK_JS6_EEE10hipError_tPvRmT3_T4_T5_T6_T7_T9_mT8_P12ihipStream_tbDpT10_ENKUlT_T0_E_clISt17integral_constantIbLb0EES16_EEDaS11_S12_EUlS11_E_NS1_11comp_targetILNS1_3genE10ELNS1_11target_archE1200ELNS1_3gpuE4ELNS1_3repE0EEENS1_30default_config_static_selectorELNS0_4arch9wavefront6targetE1EEEvT1_.num_vgpr, 0
	.set _ZN7rocprim17ROCPRIM_400000_NS6detail17trampoline_kernelINS0_14default_configENS1_25partition_config_selectorILNS1_17partition_subalgoE5ElNS0_10empty_typeEbEEZZNS1_14partition_implILS5_5ELb0ES3_mN6hipcub16HIPCUB_304000_NS21CountingInputIteratorIllEEPS6_NSA_22TransformInputIteratorIb7NonZeroIdEPdlEENS0_5tupleIJPlS6_EEENSJ_IJSD_SD_EEES6_SK_JS6_EEE10hipError_tPvRmT3_T4_T5_T6_T7_T9_mT8_P12ihipStream_tbDpT10_ENKUlT_T0_E_clISt17integral_constantIbLb0EES16_EEDaS11_S12_EUlS11_E_NS1_11comp_targetILNS1_3genE10ELNS1_11target_archE1200ELNS1_3gpuE4ELNS1_3repE0EEENS1_30default_config_static_selectorELNS0_4arch9wavefront6targetE1EEEvT1_.num_agpr, 0
	.set _ZN7rocprim17ROCPRIM_400000_NS6detail17trampoline_kernelINS0_14default_configENS1_25partition_config_selectorILNS1_17partition_subalgoE5ElNS0_10empty_typeEbEEZZNS1_14partition_implILS5_5ELb0ES3_mN6hipcub16HIPCUB_304000_NS21CountingInputIteratorIllEEPS6_NSA_22TransformInputIteratorIb7NonZeroIdEPdlEENS0_5tupleIJPlS6_EEENSJ_IJSD_SD_EEES6_SK_JS6_EEE10hipError_tPvRmT3_T4_T5_T6_T7_T9_mT8_P12ihipStream_tbDpT10_ENKUlT_T0_E_clISt17integral_constantIbLb0EES16_EEDaS11_S12_EUlS11_E_NS1_11comp_targetILNS1_3genE10ELNS1_11target_archE1200ELNS1_3gpuE4ELNS1_3repE0EEENS1_30default_config_static_selectorELNS0_4arch9wavefront6targetE1EEEvT1_.numbered_sgpr, 0
	.set _ZN7rocprim17ROCPRIM_400000_NS6detail17trampoline_kernelINS0_14default_configENS1_25partition_config_selectorILNS1_17partition_subalgoE5ElNS0_10empty_typeEbEEZZNS1_14partition_implILS5_5ELb0ES3_mN6hipcub16HIPCUB_304000_NS21CountingInputIteratorIllEEPS6_NSA_22TransformInputIteratorIb7NonZeroIdEPdlEENS0_5tupleIJPlS6_EEENSJ_IJSD_SD_EEES6_SK_JS6_EEE10hipError_tPvRmT3_T4_T5_T6_T7_T9_mT8_P12ihipStream_tbDpT10_ENKUlT_T0_E_clISt17integral_constantIbLb0EES16_EEDaS11_S12_EUlS11_E_NS1_11comp_targetILNS1_3genE10ELNS1_11target_archE1200ELNS1_3gpuE4ELNS1_3repE0EEENS1_30default_config_static_selectorELNS0_4arch9wavefront6targetE1EEEvT1_.num_named_barrier, 0
	.set _ZN7rocprim17ROCPRIM_400000_NS6detail17trampoline_kernelINS0_14default_configENS1_25partition_config_selectorILNS1_17partition_subalgoE5ElNS0_10empty_typeEbEEZZNS1_14partition_implILS5_5ELb0ES3_mN6hipcub16HIPCUB_304000_NS21CountingInputIteratorIllEEPS6_NSA_22TransformInputIteratorIb7NonZeroIdEPdlEENS0_5tupleIJPlS6_EEENSJ_IJSD_SD_EEES6_SK_JS6_EEE10hipError_tPvRmT3_T4_T5_T6_T7_T9_mT8_P12ihipStream_tbDpT10_ENKUlT_T0_E_clISt17integral_constantIbLb0EES16_EEDaS11_S12_EUlS11_E_NS1_11comp_targetILNS1_3genE10ELNS1_11target_archE1200ELNS1_3gpuE4ELNS1_3repE0EEENS1_30default_config_static_selectorELNS0_4arch9wavefront6targetE1EEEvT1_.private_seg_size, 0
	.set _ZN7rocprim17ROCPRIM_400000_NS6detail17trampoline_kernelINS0_14default_configENS1_25partition_config_selectorILNS1_17partition_subalgoE5ElNS0_10empty_typeEbEEZZNS1_14partition_implILS5_5ELb0ES3_mN6hipcub16HIPCUB_304000_NS21CountingInputIteratorIllEEPS6_NSA_22TransformInputIteratorIb7NonZeroIdEPdlEENS0_5tupleIJPlS6_EEENSJ_IJSD_SD_EEES6_SK_JS6_EEE10hipError_tPvRmT3_T4_T5_T6_T7_T9_mT8_P12ihipStream_tbDpT10_ENKUlT_T0_E_clISt17integral_constantIbLb0EES16_EEDaS11_S12_EUlS11_E_NS1_11comp_targetILNS1_3genE10ELNS1_11target_archE1200ELNS1_3gpuE4ELNS1_3repE0EEENS1_30default_config_static_selectorELNS0_4arch9wavefront6targetE1EEEvT1_.uses_vcc, 0
	.set _ZN7rocprim17ROCPRIM_400000_NS6detail17trampoline_kernelINS0_14default_configENS1_25partition_config_selectorILNS1_17partition_subalgoE5ElNS0_10empty_typeEbEEZZNS1_14partition_implILS5_5ELb0ES3_mN6hipcub16HIPCUB_304000_NS21CountingInputIteratorIllEEPS6_NSA_22TransformInputIteratorIb7NonZeroIdEPdlEENS0_5tupleIJPlS6_EEENSJ_IJSD_SD_EEES6_SK_JS6_EEE10hipError_tPvRmT3_T4_T5_T6_T7_T9_mT8_P12ihipStream_tbDpT10_ENKUlT_T0_E_clISt17integral_constantIbLb0EES16_EEDaS11_S12_EUlS11_E_NS1_11comp_targetILNS1_3genE10ELNS1_11target_archE1200ELNS1_3gpuE4ELNS1_3repE0EEENS1_30default_config_static_selectorELNS0_4arch9wavefront6targetE1EEEvT1_.uses_flat_scratch, 0
	.set _ZN7rocprim17ROCPRIM_400000_NS6detail17trampoline_kernelINS0_14default_configENS1_25partition_config_selectorILNS1_17partition_subalgoE5ElNS0_10empty_typeEbEEZZNS1_14partition_implILS5_5ELb0ES3_mN6hipcub16HIPCUB_304000_NS21CountingInputIteratorIllEEPS6_NSA_22TransformInputIteratorIb7NonZeroIdEPdlEENS0_5tupleIJPlS6_EEENSJ_IJSD_SD_EEES6_SK_JS6_EEE10hipError_tPvRmT3_T4_T5_T6_T7_T9_mT8_P12ihipStream_tbDpT10_ENKUlT_T0_E_clISt17integral_constantIbLb0EES16_EEDaS11_S12_EUlS11_E_NS1_11comp_targetILNS1_3genE10ELNS1_11target_archE1200ELNS1_3gpuE4ELNS1_3repE0EEENS1_30default_config_static_selectorELNS0_4arch9wavefront6targetE1EEEvT1_.has_dyn_sized_stack, 0
	.set _ZN7rocprim17ROCPRIM_400000_NS6detail17trampoline_kernelINS0_14default_configENS1_25partition_config_selectorILNS1_17partition_subalgoE5ElNS0_10empty_typeEbEEZZNS1_14partition_implILS5_5ELb0ES3_mN6hipcub16HIPCUB_304000_NS21CountingInputIteratorIllEEPS6_NSA_22TransformInputIteratorIb7NonZeroIdEPdlEENS0_5tupleIJPlS6_EEENSJ_IJSD_SD_EEES6_SK_JS6_EEE10hipError_tPvRmT3_T4_T5_T6_T7_T9_mT8_P12ihipStream_tbDpT10_ENKUlT_T0_E_clISt17integral_constantIbLb0EES16_EEDaS11_S12_EUlS11_E_NS1_11comp_targetILNS1_3genE10ELNS1_11target_archE1200ELNS1_3gpuE4ELNS1_3repE0EEENS1_30default_config_static_selectorELNS0_4arch9wavefront6targetE1EEEvT1_.has_recursion, 0
	.set _ZN7rocprim17ROCPRIM_400000_NS6detail17trampoline_kernelINS0_14default_configENS1_25partition_config_selectorILNS1_17partition_subalgoE5ElNS0_10empty_typeEbEEZZNS1_14partition_implILS5_5ELb0ES3_mN6hipcub16HIPCUB_304000_NS21CountingInputIteratorIllEEPS6_NSA_22TransformInputIteratorIb7NonZeroIdEPdlEENS0_5tupleIJPlS6_EEENSJ_IJSD_SD_EEES6_SK_JS6_EEE10hipError_tPvRmT3_T4_T5_T6_T7_T9_mT8_P12ihipStream_tbDpT10_ENKUlT_T0_E_clISt17integral_constantIbLb0EES16_EEDaS11_S12_EUlS11_E_NS1_11comp_targetILNS1_3genE10ELNS1_11target_archE1200ELNS1_3gpuE4ELNS1_3repE0EEENS1_30default_config_static_selectorELNS0_4arch9wavefront6targetE1EEEvT1_.has_indirect_call, 0
	.section	.AMDGPU.csdata,"",@progbits
; Kernel info:
; codeLenInByte = 0
; TotalNumSgprs: 6
; NumVgprs: 0
; NumAgprs: 0
; TotalNumVgprs: 0
; ScratchSize: 0
; MemoryBound: 0
; FloatMode: 240
; IeeeMode: 1
; LDSByteSize: 0 bytes/workgroup (compile time only)
; SGPRBlocks: 0
; VGPRBlocks: 0
; NumSGPRsForWavesPerEU: 6
; NumVGPRsForWavesPerEU: 1
; AccumOffset: 4
; Occupancy: 8
; WaveLimiterHint : 0
; COMPUTE_PGM_RSRC2:SCRATCH_EN: 0
; COMPUTE_PGM_RSRC2:USER_SGPR: 2
; COMPUTE_PGM_RSRC2:TRAP_HANDLER: 0
; COMPUTE_PGM_RSRC2:TGID_X_EN: 1
; COMPUTE_PGM_RSRC2:TGID_Y_EN: 0
; COMPUTE_PGM_RSRC2:TGID_Z_EN: 0
; COMPUTE_PGM_RSRC2:TIDIG_COMP_CNT: 0
; COMPUTE_PGM_RSRC3_GFX90A:ACCUM_OFFSET: 0
; COMPUTE_PGM_RSRC3_GFX90A:TG_SPLIT: 0
	.section	.text._ZN7rocprim17ROCPRIM_400000_NS6detail17trampoline_kernelINS0_14default_configENS1_25partition_config_selectorILNS1_17partition_subalgoE5ElNS0_10empty_typeEbEEZZNS1_14partition_implILS5_5ELb0ES3_mN6hipcub16HIPCUB_304000_NS21CountingInputIteratorIllEEPS6_NSA_22TransformInputIteratorIb7NonZeroIdEPdlEENS0_5tupleIJPlS6_EEENSJ_IJSD_SD_EEES6_SK_JS6_EEE10hipError_tPvRmT3_T4_T5_T6_T7_T9_mT8_P12ihipStream_tbDpT10_ENKUlT_T0_E_clISt17integral_constantIbLb0EES16_EEDaS11_S12_EUlS11_E_NS1_11comp_targetILNS1_3genE9ELNS1_11target_archE1100ELNS1_3gpuE3ELNS1_3repE0EEENS1_30default_config_static_selectorELNS0_4arch9wavefront6targetE1EEEvT1_,"axG",@progbits,_ZN7rocprim17ROCPRIM_400000_NS6detail17trampoline_kernelINS0_14default_configENS1_25partition_config_selectorILNS1_17partition_subalgoE5ElNS0_10empty_typeEbEEZZNS1_14partition_implILS5_5ELb0ES3_mN6hipcub16HIPCUB_304000_NS21CountingInputIteratorIllEEPS6_NSA_22TransformInputIteratorIb7NonZeroIdEPdlEENS0_5tupleIJPlS6_EEENSJ_IJSD_SD_EEES6_SK_JS6_EEE10hipError_tPvRmT3_T4_T5_T6_T7_T9_mT8_P12ihipStream_tbDpT10_ENKUlT_T0_E_clISt17integral_constantIbLb0EES16_EEDaS11_S12_EUlS11_E_NS1_11comp_targetILNS1_3genE9ELNS1_11target_archE1100ELNS1_3gpuE3ELNS1_3repE0EEENS1_30default_config_static_selectorELNS0_4arch9wavefront6targetE1EEEvT1_,comdat
	.protected	_ZN7rocprim17ROCPRIM_400000_NS6detail17trampoline_kernelINS0_14default_configENS1_25partition_config_selectorILNS1_17partition_subalgoE5ElNS0_10empty_typeEbEEZZNS1_14partition_implILS5_5ELb0ES3_mN6hipcub16HIPCUB_304000_NS21CountingInputIteratorIllEEPS6_NSA_22TransformInputIteratorIb7NonZeroIdEPdlEENS0_5tupleIJPlS6_EEENSJ_IJSD_SD_EEES6_SK_JS6_EEE10hipError_tPvRmT3_T4_T5_T6_T7_T9_mT8_P12ihipStream_tbDpT10_ENKUlT_T0_E_clISt17integral_constantIbLb0EES16_EEDaS11_S12_EUlS11_E_NS1_11comp_targetILNS1_3genE9ELNS1_11target_archE1100ELNS1_3gpuE3ELNS1_3repE0EEENS1_30default_config_static_selectorELNS0_4arch9wavefront6targetE1EEEvT1_ ; -- Begin function _ZN7rocprim17ROCPRIM_400000_NS6detail17trampoline_kernelINS0_14default_configENS1_25partition_config_selectorILNS1_17partition_subalgoE5ElNS0_10empty_typeEbEEZZNS1_14partition_implILS5_5ELb0ES3_mN6hipcub16HIPCUB_304000_NS21CountingInputIteratorIllEEPS6_NSA_22TransformInputIteratorIb7NonZeroIdEPdlEENS0_5tupleIJPlS6_EEENSJ_IJSD_SD_EEES6_SK_JS6_EEE10hipError_tPvRmT3_T4_T5_T6_T7_T9_mT8_P12ihipStream_tbDpT10_ENKUlT_T0_E_clISt17integral_constantIbLb0EES16_EEDaS11_S12_EUlS11_E_NS1_11comp_targetILNS1_3genE9ELNS1_11target_archE1100ELNS1_3gpuE3ELNS1_3repE0EEENS1_30default_config_static_selectorELNS0_4arch9wavefront6targetE1EEEvT1_
	.globl	_ZN7rocprim17ROCPRIM_400000_NS6detail17trampoline_kernelINS0_14default_configENS1_25partition_config_selectorILNS1_17partition_subalgoE5ElNS0_10empty_typeEbEEZZNS1_14partition_implILS5_5ELb0ES3_mN6hipcub16HIPCUB_304000_NS21CountingInputIteratorIllEEPS6_NSA_22TransformInputIteratorIb7NonZeroIdEPdlEENS0_5tupleIJPlS6_EEENSJ_IJSD_SD_EEES6_SK_JS6_EEE10hipError_tPvRmT3_T4_T5_T6_T7_T9_mT8_P12ihipStream_tbDpT10_ENKUlT_T0_E_clISt17integral_constantIbLb0EES16_EEDaS11_S12_EUlS11_E_NS1_11comp_targetILNS1_3genE9ELNS1_11target_archE1100ELNS1_3gpuE3ELNS1_3repE0EEENS1_30default_config_static_selectorELNS0_4arch9wavefront6targetE1EEEvT1_
	.p2align	8
	.type	_ZN7rocprim17ROCPRIM_400000_NS6detail17trampoline_kernelINS0_14default_configENS1_25partition_config_selectorILNS1_17partition_subalgoE5ElNS0_10empty_typeEbEEZZNS1_14partition_implILS5_5ELb0ES3_mN6hipcub16HIPCUB_304000_NS21CountingInputIteratorIllEEPS6_NSA_22TransformInputIteratorIb7NonZeroIdEPdlEENS0_5tupleIJPlS6_EEENSJ_IJSD_SD_EEES6_SK_JS6_EEE10hipError_tPvRmT3_T4_T5_T6_T7_T9_mT8_P12ihipStream_tbDpT10_ENKUlT_T0_E_clISt17integral_constantIbLb0EES16_EEDaS11_S12_EUlS11_E_NS1_11comp_targetILNS1_3genE9ELNS1_11target_archE1100ELNS1_3gpuE3ELNS1_3repE0EEENS1_30default_config_static_selectorELNS0_4arch9wavefront6targetE1EEEvT1_,@function
_ZN7rocprim17ROCPRIM_400000_NS6detail17trampoline_kernelINS0_14default_configENS1_25partition_config_selectorILNS1_17partition_subalgoE5ElNS0_10empty_typeEbEEZZNS1_14partition_implILS5_5ELb0ES3_mN6hipcub16HIPCUB_304000_NS21CountingInputIteratorIllEEPS6_NSA_22TransformInputIteratorIb7NonZeroIdEPdlEENS0_5tupleIJPlS6_EEENSJ_IJSD_SD_EEES6_SK_JS6_EEE10hipError_tPvRmT3_T4_T5_T6_T7_T9_mT8_P12ihipStream_tbDpT10_ENKUlT_T0_E_clISt17integral_constantIbLb0EES16_EEDaS11_S12_EUlS11_E_NS1_11comp_targetILNS1_3genE9ELNS1_11target_archE1100ELNS1_3gpuE3ELNS1_3repE0EEENS1_30default_config_static_selectorELNS0_4arch9wavefront6targetE1EEEvT1_: ; @_ZN7rocprim17ROCPRIM_400000_NS6detail17trampoline_kernelINS0_14default_configENS1_25partition_config_selectorILNS1_17partition_subalgoE5ElNS0_10empty_typeEbEEZZNS1_14partition_implILS5_5ELb0ES3_mN6hipcub16HIPCUB_304000_NS21CountingInputIteratorIllEEPS6_NSA_22TransformInputIteratorIb7NonZeroIdEPdlEENS0_5tupleIJPlS6_EEENSJ_IJSD_SD_EEES6_SK_JS6_EEE10hipError_tPvRmT3_T4_T5_T6_T7_T9_mT8_P12ihipStream_tbDpT10_ENKUlT_T0_E_clISt17integral_constantIbLb0EES16_EEDaS11_S12_EUlS11_E_NS1_11comp_targetILNS1_3genE9ELNS1_11target_archE1100ELNS1_3gpuE3ELNS1_3repE0EEENS1_30default_config_static_selectorELNS0_4arch9wavefront6targetE1EEEvT1_
; %bb.0:
	.section	.rodata,"a",@progbits
	.p2align	6, 0x0
	.amdhsa_kernel _ZN7rocprim17ROCPRIM_400000_NS6detail17trampoline_kernelINS0_14default_configENS1_25partition_config_selectorILNS1_17partition_subalgoE5ElNS0_10empty_typeEbEEZZNS1_14partition_implILS5_5ELb0ES3_mN6hipcub16HIPCUB_304000_NS21CountingInputIteratorIllEEPS6_NSA_22TransformInputIteratorIb7NonZeroIdEPdlEENS0_5tupleIJPlS6_EEENSJ_IJSD_SD_EEES6_SK_JS6_EEE10hipError_tPvRmT3_T4_T5_T6_T7_T9_mT8_P12ihipStream_tbDpT10_ENKUlT_T0_E_clISt17integral_constantIbLb0EES16_EEDaS11_S12_EUlS11_E_NS1_11comp_targetILNS1_3genE9ELNS1_11target_archE1100ELNS1_3gpuE3ELNS1_3repE0EEENS1_30default_config_static_selectorELNS0_4arch9wavefront6targetE1EEEvT1_
		.amdhsa_group_segment_fixed_size 0
		.amdhsa_private_segment_fixed_size 0
		.amdhsa_kernarg_size 120
		.amdhsa_user_sgpr_count 2
		.amdhsa_user_sgpr_dispatch_ptr 0
		.amdhsa_user_sgpr_queue_ptr 0
		.amdhsa_user_sgpr_kernarg_segment_ptr 1
		.amdhsa_user_sgpr_dispatch_id 0
		.amdhsa_user_sgpr_kernarg_preload_length 0
		.amdhsa_user_sgpr_kernarg_preload_offset 0
		.amdhsa_user_sgpr_private_segment_size 0
		.amdhsa_uses_dynamic_stack 0
		.amdhsa_enable_private_segment 0
		.amdhsa_system_sgpr_workgroup_id_x 1
		.amdhsa_system_sgpr_workgroup_id_y 0
		.amdhsa_system_sgpr_workgroup_id_z 0
		.amdhsa_system_sgpr_workgroup_info 0
		.amdhsa_system_vgpr_workitem_id 0
		.amdhsa_next_free_vgpr 1
		.amdhsa_next_free_sgpr 0
		.amdhsa_accum_offset 4
		.amdhsa_reserve_vcc 0
		.amdhsa_float_round_mode_32 0
		.amdhsa_float_round_mode_16_64 0
		.amdhsa_float_denorm_mode_32 3
		.amdhsa_float_denorm_mode_16_64 3
		.amdhsa_dx10_clamp 1
		.amdhsa_ieee_mode 1
		.amdhsa_fp16_overflow 0
		.amdhsa_tg_split 0
		.amdhsa_exception_fp_ieee_invalid_op 0
		.amdhsa_exception_fp_denorm_src 0
		.amdhsa_exception_fp_ieee_div_zero 0
		.amdhsa_exception_fp_ieee_overflow 0
		.amdhsa_exception_fp_ieee_underflow 0
		.amdhsa_exception_fp_ieee_inexact 0
		.amdhsa_exception_int_div_zero 0
	.end_amdhsa_kernel
	.section	.text._ZN7rocprim17ROCPRIM_400000_NS6detail17trampoline_kernelINS0_14default_configENS1_25partition_config_selectorILNS1_17partition_subalgoE5ElNS0_10empty_typeEbEEZZNS1_14partition_implILS5_5ELb0ES3_mN6hipcub16HIPCUB_304000_NS21CountingInputIteratorIllEEPS6_NSA_22TransformInputIteratorIb7NonZeroIdEPdlEENS0_5tupleIJPlS6_EEENSJ_IJSD_SD_EEES6_SK_JS6_EEE10hipError_tPvRmT3_T4_T5_T6_T7_T9_mT8_P12ihipStream_tbDpT10_ENKUlT_T0_E_clISt17integral_constantIbLb0EES16_EEDaS11_S12_EUlS11_E_NS1_11comp_targetILNS1_3genE9ELNS1_11target_archE1100ELNS1_3gpuE3ELNS1_3repE0EEENS1_30default_config_static_selectorELNS0_4arch9wavefront6targetE1EEEvT1_,"axG",@progbits,_ZN7rocprim17ROCPRIM_400000_NS6detail17trampoline_kernelINS0_14default_configENS1_25partition_config_selectorILNS1_17partition_subalgoE5ElNS0_10empty_typeEbEEZZNS1_14partition_implILS5_5ELb0ES3_mN6hipcub16HIPCUB_304000_NS21CountingInputIteratorIllEEPS6_NSA_22TransformInputIteratorIb7NonZeroIdEPdlEENS0_5tupleIJPlS6_EEENSJ_IJSD_SD_EEES6_SK_JS6_EEE10hipError_tPvRmT3_T4_T5_T6_T7_T9_mT8_P12ihipStream_tbDpT10_ENKUlT_T0_E_clISt17integral_constantIbLb0EES16_EEDaS11_S12_EUlS11_E_NS1_11comp_targetILNS1_3genE9ELNS1_11target_archE1100ELNS1_3gpuE3ELNS1_3repE0EEENS1_30default_config_static_selectorELNS0_4arch9wavefront6targetE1EEEvT1_,comdat
.Lfunc_end327:
	.size	_ZN7rocprim17ROCPRIM_400000_NS6detail17trampoline_kernelINS0_14default_configENS1_25partition_config_selectorILNS1_17partition_subalgoE5ElNS0_10empty_typeEbEEZZNS1_14partition_implILS5_5ELb0ES3_mN6hipcub16HIPCUB_304000_NS21CountingInputIteratorIllEEPS6_NSA_22TransformInputIteratorIb7NonZeroIdEPdlEENS0_5tupleIJPlS6_EEENSJ_IJSD_SD_EEES6_SK_JS6_EEE10hipError_tPvRmT3_T4_T5_T6_T7_T9_mT8_P12ihipStream_tbDpT10_ENKUlT_T0_E_clISt17integral_constantIbLb0EES16_EEDaS11_S12_EUlS11_E_NS1_11comp_targetILNS1_3genE9ELNS1_11target_archE1100ELNS1_3gpuE3ELNS1_3repE0EEENS1_30default_config_static_selectorELNS0_4arch9wavefront6targetE1EEEvT1_, .Lfunc_end327-_ZN7rocprim17ROCPRIM_400000_NS6detail17trampoline_kernelINS0_14default_configENS1_25partition_config_selectorILNS1_17partition_subalgoE5ElNS0_10empty_typeEbEEZZNS1_14partition_implILS5_5ELb0ES3_mN6hipcub16HIPCUB_304000_NS21CountingInputIteratorIllEEPS6_NSA_22TransformInputIteratorIb7NonZeroIdEPdlEENS0_5tupleIJPlS6_EEENSJ_IJSD_SD_EEES6_SK_JS6_EEE10hipError_tPvRmT3_T4_T5_T6_T7_T9_mT8_P12ihipStream_tbDpT10_ENKUlT_T0_E_clISt17integral_constantIbLb0EES16_EEDaS11_S12_EUlS11_E_NS1_11comp_targetILNS1_3genE9ELNS1_11target_archE1100ELNS1_3gpuE3ELNS1_3repE0EEENS1_30default_config_static_selectorELNS0_4arch9wavefront6targetE1EEEvT1_
                                        ; -- End function
	.set _ZN7rocprim17ROCPRIM_400000_NS6detail17trampoline_kernelINS0_14default_configENS1_25partition_config_selectorILNS1_17partition_subalgoE5ElNS0_10empty_typeEbEEZZNS1_14partition_implILS5_5ELb0ES3_mN6hipcub16HIPCUB_304000_NS21CountingInputIteratorIllEEPS6_NSA_22TransformInputIteratorIb7NonZeroIdEPdlEENS0_5tupleIJPlS6_EEENSJ_IJSD_SD_EEES6_SK_JS6_EEE10hipError_tPvRmT3_T4_T5_T6_T7_T9_mT8_P12ihipStream_tbDpT10_ENKUlT_T0_E_clISt17integral_constantIbLb0EES16_EEDaS11_S12_EUlS11_E_NS1_11comp_targetILNS1_3genE9ELNS1_11target_archE1100ELNS1_3gpuE3ELNS1_3repE0EEENS1_30default_config_static_selectorELNS0_4arch9wavefront6targetE1EEEvT1_.num_vgpr, 0
	.set _ZN7rocprim17ROCPRIM_400000_NS6detail17trampoline_kernelINS0_14default_configENS1_25partition_config_selectorILNS1_17partition_subalgoE5ElNS0_10empty_typeEbEEZZNS1_14partition_implILS5_5ELb0ES3_mN6hipcub16HIPCUB_304000_NS21CountingInputIteratorIllEEPS6_NSA_22TransformInputIteratorIb7NonZeroIdEPdlEENS0_5tupleIJPlS6_EEENSJ_IJSD_SD_EEES6_SK_JS6_EEE10hipError_tPvRmT3_T4_T5_T6_T7_T9_mT8_P12ihipStream_tbDpT10_ENKUlT_T0_E_clISt17integral_constantIbLb0EES16_EEDaS11_S12_EUlS11_E_NS1_11comp_targetILNS1_3genE9ELNS1_11target_archE1100ELNS1_3gpuE3ELNS1_3repE0EEENS1_30default_config_static_selectorELNS0_4arch9wavefront6targetE1EEEvT1_.num_agpr, 0
	.set _ZN7rocprim17ROCPRIM_400000_NS6detail17trampoline_kernelINS0_14default_configENS1_25partition_config_selectorILNS1_17partition_subalgoE5ElNS0_10empty_typeEbEEZZNS1_14partition_implILS5_5ELb0ES3_mN6hipcub16HIPCUB_304000_NS21CountingInputIteratorIllEEPS6_NSA_22TransformInputIteratorIb7NonZeroIdEPdlEENS0_5tupleIJPlS6_EEENSJ_IJSD_SD_EEES6_SK_JS6_EEE10hipError_tPvRmT3_T4_T5_T6_T7_T9_mT8_P12ihipStream_tbDpT10_ENKUlT_T0_E_clISt17integral_constantIbLb0EES16_EEDaS11_S12_EUlS11_E_NS1_11comp_targetILNS1_3genE9ELNS1_11target_archE1100ELNS1_3gpuE3ELNS1_3repE0EEENS1_30default_config_static_selectorELNS0_4arch9wavefront6targetE1EEEvT1_.numbered_sgpr, 0
	.set _ZN7rocprim17ROCPRIM_400000_NS6detail17trampoline_kernelINS0_14default_configENS1_25partition_config_selectorILNS1_17partition_subalgoE5ElNS0_10empty_typeEbEEZZNS1_14partition_implILS5_5ELb0ES3_mN6hipcub16HIPCUB_304000_NS21CountingInputIteratorIllEEPS6_NSA_22TransformInputIteratorIb7NonZeroIdEPdlEENS0_5tupleIJPlS6_EEENSJ_IJSD_SD_EEES6_SK_JS6_EEE10hipError_tPvRmT3_T4_T5_T6_T7_T9_mT8_P12ihipStream_tbDpT10_ENKUlT_T0_E_clISt17integral_constantIbLb0EES16_EEDaS11_S12_EUlS11_E_NS1_11comp_targetILNS1_3genE9ELNS1_11target_archE1100ELNS1_3gpuE3ELNS1_3repE0EEENS1_30default_config_static_selectorELNS0_4arch9wavefront6targetE1EEEvT1_.num_named_barrier, 0
	.set _ZN7rocprim17ROCPRIM_400000_NS6detail17trampoline_kernelINS0_14default_configENS1_25partition_config_selectorILNS1_17partition_subalgoE5ElNS0_10empty_typeEbEEZZNS1_14partition_implILS5_5ELb0ES3_mN6hipcub16HIPCUB_304000_NS21CountingInputIteratorIllEEPS6_NSA_22TransformInputIteratorIb7NonZeroIdEPdlEENS0_5tupleIJPlS6_EEENSJ_IJSD_SD_EEES6_SK_JS6_EEE10hipError_tPvRmT3_T4_T5_T6_T7_T9_mT8_P12ihipStream_tbDpT10_ENKUlT_T0_E_clISt17integral_constantIbLb0EES16_EEDaS11_S12_EUlS11_E_NS1_11comp_targetILNS1_3genE9ELNS1_11target_archE1100ELNS1_3gpuE3ELNS1_3repE0EEENS1_30default_config_static_selectorELNS0_4arch9wavefront6targetE1EEEvT1_.private_seg_size, 0
	.set _ZN7rocprim17ROCPRIM_400000_NS6detail17trampoline_kernelINS0_14default_configENS1_25partition_config_selectorILNS1_17partition_subalgoE5ElNS0_10empty_typeEbEEZZNS1_14partition_implILS5_5ELb0ES3_mN6hipcub16HIPCUB_304000_NS21CountingInputIteratorIllEEPS6_NSA_22TransformInputIteratorIb7NonZeroIdEPdlEENS0_5tupleIJPlS6_EEENSJ_IJSD_SD_EEES6_SK_JS6_EEE10hipError_tPvRmT3_T4_T5_T6_T7_T9_mT8_P12ihipStream_tbDpT10_ENKUlT_T0_E_clISt17integral_constantIbLb0EES16_EEDaS11_S12_EUlS11_E_NS1_11comp_targetILNS1_3genE9ELNS1_11target_archE1100ELNS1_3gpuE3ELNS1_3repE0EEENS1_30default_config_static_selectorELNS0_4arch9wavefront6targetE1EEEvT1_.uses_vcc, 0
	.set _ZN7rocprim17ROCPRIM_400000_NS6detail17trampoline_kernelINS0_14default_configENS1_25partition_config_selectorILNS1_17partition_subalgoE5ElNS0_10empty_typeEbEEZZNS1_14partition_implILS5_5ELb0ES3_mN6hipcub16HIPCUB_304000_NS21CountingInputIteratorIllEEPS6_NSA_22TransformInputIteratorIb7NonZeroIdEPdlEENS0_5tupleIJPlS6_EEENSJ_IJSD_SD_EEES6_SK_JS6_EEE10hipError_tPvRmT3_T4_T5_T6_T7_T9_mT8_P12ihipStream_tbDpT10_ENKUlT_T0_E_clISt17integral_constantIbLb0EES16_EEDaS11_S12_EUlS11_E_NS1_11comp_targetILNS1_3genE9ELNS1_11target_archE1100ELNS1_3gpuE3ELNS1_3repE0EEENS1_30default_config_static_selectorELNS0_4arch9wavefront6targetE1EEEvT1_.uses_flat_scratch, 0
	.set _ZN7rocprim17ROCPRIM_400000_NS6detail17trampoline_kernelINS0_14default_configENS1_25partition_config_selectorILNS1_17partition_subalgoE5ElNS0_10empty_typeEbEEZZNS1_14partition_implILS5_5ELb0ES3_mN6hipcub16HIPCUB_304000_NS21CountingInputIteratorIllEEPS6_NSA_22TransformInputIteratorIb7NonZeroIdEPdlEENS0_5tupleIJPlS6_EEENSJ_IJSD_SD_EEES6_SK_JS6_EEE10hipError_tPvRmT3_T4_T5_T6_T7_T9_mT8_P12ihipStream_tbDpT10_ENKUlT_T0_E_clISt17integral_constantIbLb0EES16_EEDaS11_S12_EUlS11_E_NS1_11comp_targetILNS1_3genE9ELNS1_11target_archE1100ELNS1_3gpuE3ELNS1_3repE0EEENS1_30default_config_static_selectorELNS0_4arch9wavefront6targetE1EEEvT1_.has_dyn_sized_stack, 0
	.set _ZN7rocprim17ROCPRIM_400000_NS6detail17trampoline_kernelINS0_14default_configENS1_25partition_config_selectorILNS1_17partition_subalgoE5ElNS0_10empty_typeEbEEZZNS1_14partition_implILS5_5ELb0ES3_mN6hipcub16HIPCUB_304000_NS21CountingInputIteratorIllEEPS6_NSA_22TransformInputIteratorIb7NonZeroIdEPdlEENS0_5tupleIJPlS6_EEENSJ_IJSD_SD_EEES6_SK_JS6_EEE10hipError_tPvRmT3_T4_T5_T6_T7_T9_mT8_P12ihipStream_tbDpT10_ENKUlT_T0_E_clISt17integral_constantIbLb0EES16_EEDaS11_S12_EUlS11_E_NS1_11comp_targetILNS1_3genE9ELNS1_11target_archE1100ELNS1_3gpuE3ELNS1_3repE0EEENS1_30default_config_static_selectorELNS0_4arch9wavefront6targetE1EEEvT1_.has_recursion, 0
	.set _ZN7rocprim17ROCPRIM_400000_NS6detail17trampoline_kernelINS0_14default_configENS1_25partition_config_selectorILNS1_17partition_subalgoE5ElNS0_10empty_typeEbEEZZNS1_14partition_implILS5_5ELb0ES3_mN6hipcub16HIPCUB_304000_NS21CountingInputIteratorIllEEPS6_NSA_22TransformInputIteratorIb7NonZeroIdEPdlEENS0_5tupleIJPlS6_EEENSJ_IJSD_SD_EEES6_SK_JS6_EEE10hipError_tPvRmT3_T4_T5_T6_T7_T9_mT8_P12ihipStream_tbDpT10_ENKUlT_T0_E_clISt17integral_constantIbLb0EES16_EEDaS11_S12_EUlS11_E_NS1_11comp_targetILNS1_3genE9ELNS1_11target_archE1100ELNS1_3gpuE3ELNS1_3repE0EEENS1_30default_config_static_selectorELNS0_4arch9wavefront6targetE1EEEvT1_.has_indirect_call, 0
	.section	.AMDGPU.csdata,"",@progbits
; Kernel info:
; codeLenInByte = 0
; TotalNumSgprs: 6
; NumVgprs: 0
; NumAgprs: 0
; TotalNumVgprs: 0
; ScratchSize: 0
; MemoryBound: 0
; FloatMode: 240
; IeeeMode: 1
; LDSByteSize: 0 bytes/workgroup (compile time only)
; SGPRBlocks: 0
; VGPRBlocks: 0
; NumSGPRsForWavesPerEU: 6
; NumVGPRsForWavesPerEU: 1
; AccumOffset: 4
; Occupancy: 8
; WaveLimiterHint : 0
; COMPUTE_PGM_RSRC2:SCRATCH_EN: 0
; COMPUTE_PGM_RSRC2:USER_SGPR: 2
; COMPUTE_PGM_RSRC2:TRAP_HANDLER: 0
; COMPUTE_PGM_RSRC2:TGID_X_EN: 1
; COMPUTE_PGM_RSRC2:TGID_Y_EN: 0
; COMPUTE_PGM_RSRC2:TGID_Z_EN: 0
; COMPUTE_PGM_RSRC2:TIDIG_COMP_CNT: 0
; COMPUTE_PGM_RSRC3_GFX90A:ACCUM_OFFSET: 0
; COMPUTE_PGM_RSRC3_GFX90A:TG_SPLIT: 0
	.section	.text._ZN7rocprim17ROCPRIM_400000_NS6detail17trampoline_kernelINS0_14default_configENS1_25partition_config_selectorILNS1_17partition_subalgoE5ElNS0_10empty_typeEbEEZZNS1_14partition_implILS5_5ELb0ES3_mN6hipcub16HIPCUB_304000_NS21CountingInputIteratorIllEEPS6_NSA_22TransformInputIteratorIb7NonZeroIdEPdlEENS0_5tupleIJPlS6_EEENSJ_IJSD_SD_EEES6_SK_JS6_EEE10hipError_tPvRmT3_T4_T5_T6_T7_T9_mT8_P12ihipStream_tbDpT10_ENKUlT_T0_E_clISt17integral_constantIbLb0EES16_EEDaS11_S12_EUlS11_E_NS1_11comp_targetILNS1_3genE8ELNS1_11target_archE1030ELNS1_3gpuE2ELNS1_3repE0EEENS1_30default_config_static_selectorELNS0_4arch9wavefront6targetE1EEEvT1_,"axG",@progbits,_ZN7rocprim17ROCPRIM_400000_NS6detail17trampoline_kernelINS0_14default_configENS1_25partition_config_selectorILNS1_17partition_subalgoE5ElNS0_10empty_typeEbEEZZNS1_14partition_implILS5_5ELb0ES3_mN6hipcub16HIPCUB_304000_NS21CountingInputIteratorIllEEPS6_NSA_22TransformInputIteratorIb7NonZeroIdEPdlEENS0_5tupleIJPlS6_EEENSJ_IJSD_SD_EEES6_SK_JS6_EEE10hipError_tPvRmT3_T4_T5_T6_T7_T9_mT8_P12ihipStream_tbDpT10_ENKUlT_T0_E_clISt17integral_constantIbLb0EES16_EEDaS11_S12_EUlS11_E_NS1_11comp_targetILNS1_3genE8ELNS1_11target_archE1030ELNS1_3gpuE2ELNS1_3repE0EEENS1_30default_config_static_selectorELNS0_4arch9wavefront6targetE1EEEvT1_,comdat
	.protected	_ZN7rocprim17ROCPRIM_400000_NS6detail17trampoline_kernelINS0_14default_configENS1_25partition_config_selectorILNS1_17partition_subalgoE5ElNS0_10empty_typeEbEEZZNS1_14partition_implILS5_5ELb0ES3_mN6hipcub16HIPCUB_304000_NS21CountingInputIteratorIllEEPS6_NSA_22TransformInputIteratorIb7NonZeroIdEPdlEENS0_5tupleIJPlS6_EEENSJ_IJSD_SD_EEES6_SK_JS6_EEE10hipError_tPvRmT3_T4_T5_T6_T7_T9_mT8_P12ihipStream_tbDpT10_ENKUlT_T0_E_clISt17integral_constantIbLb0EES16_EEDaS11_S12_EUlS11_E_NS1_11comp_targetILNS1_3genE8ELNS1_11target_archE1030ELNS1_3gpuE2ELNS1_3repE0EEENS1_30default_config_static_selectorELNS0_4arch9wavefront6targetE1EEEvT1_ ; -- Begin function _ZN7rocprim17ROCPRIM_400000_NS6detail17trampoline_kernelINS0_14default_configENS1_25partition_config_selectorILNS1_17partition_subalgoE5ElNS0_10empty_typeEbEEZZNS1_14partition_implILS5_5ELb0ES3_mN6hipcub16HIPCUB_304000_NS21CountingInputIteratorIllEEPS6_NSA_22TransformInputIteratorIb7NonZeroIdEPdlEENS0_5tupleIJPlS6_EEENSJ_IJSD_SD_EEES6_SK_JS6_EEE10hipError_tPvRmT3_T4_T5_T6_T7_T9_mT8_P12ihipStream_tbDpT10_ENKUlT_T0_E_clISt17integral_constantIbLb0EES16_EEDaS11_S12_EUlS11_E_NS1_11comp_targetILNS1_3genE8ELNS1_11target_archE1030ELNS1_3gpuE2ELNS1_3repE0EEENS1_30default_config_static_selectorELNS0_4arch9wavefront6targetE1EEEvT1_
	.globl	_ZN7rocprim17ROCPRIM_400000_NS6detail17trampoline_kernelINS0_14default_configENS1_25partition_config_selectorILNS1_17partition_subalgoE5ElNS0_10empty_typeEbEEZZNS1_14partition_implILS5_5ELb0ES3_mN6hipcub16HIPCUB_304000_NS21CountingInputIteratorIllEEPS6_NSA_22TransformInputIteratorIb7NonZeroIdEPdlEENS0_5tupleIJPlS6_EEENSJ_IJSD_SD_EEES6_SK_JS6_EEE10hipError_tPvRmT3_T4_T5_T6_T7_T9_mT8_P12ihipStream_tbDpT10_ENKUlT_T0_E_clISt17integral_constantIbLb0EES16_EEDaS11_S12_EUlS11_E_NS1_11comp_targetILNS1_3genE8ELNS1_11target_archE1030ELNS1_3gpuE2ELNS1_3repE0EEENS1_30default_config_static_selectorELNS0_4arch9wavefront6targetE1EEEvT1_
	.p2align	8
	.type	_ZN7rocprim17ROCPRIM_400000_NS6detail17trampoline_kernelINS0_14default_configENS1_25partition_config_selectorILNS1_17partition_subalgoE5ElNS0_10empty_typeEbEEZZNS1_14partition_implILS5_5ELb0ES3_mN6hipcub16HIPCUB_304000_NS21CountingInputIteratorIllEEPS6_NSA_22TransformInputIteratorIb7NonZeroIdEPdlEENS0_5tupleIJPlS6_EEENSJ_IJSD_SD_EEES6_SK_JS6_EEE10hipError_tPvRmT3_T4_T5_T6_T7_T9_mT8_P12ihipStream_tbDpT10_ENKUlT_T0_E_clISt17integral_constantIbLb0EES16_EEDaS11_S12_EUlS11_E_NS1_11comp_targetILNS1_3genE8ELNS1_11target_archE1030ELNS1_3gpuE2ELNS1_3repE0EEENS1_30default_config_static_selectorELNS0_4arch9wavefront6targetE1EEEvT1_,@function
_ZN7rocprim17ROCPRIM_400000_NS6detail17trampoline_kernelINS0_14default_configENS1_25partition_config_selectorILNS1_17partition_subalgoE5ElNS0_10empty_typeEbEEZZNS1_14partition_implILS5_5ELb0ES3_mN6hipcub16HIPCUB_304000_NS21CountingInputIteratorIllEEPS6_NSA_22TransformInputIteratorIb7NonZeroIdEPdlEENS0_5tupleIJPlS6_EEENSJ_IJSD_SD_EEES6_SK_JS6_EEE10hipError_tPvRmT3_T4_T5_T6_T7_T9_mT8_P12ihipStream_tbDpT10_ENKUlT_T0_E_clISt17integral_constantIbLb0EES16_EEDaS11_S12_EUlS11_E_NS1_11comp_targetILNS1_3genE8ELNS1_11target_archE1030ELNS1_3gpuE2ELNS1_3repE0EEENS1_30default_config_static_selectorELNS0_4arch9wavefront6targetE1EEEvT1_: ; @_ZN7rocprim17ROCPRIM_400000_NS6detail17trampoline_kernelINS0_14default_configENS1_25partition_config_selectorILNS1_17partition_subalgoE5ElNS0_10empty_typeEbEEZZNS1_14partition_implILS5_5ELb0ES3_mN6hipcub16HIPCUB_304000_NS21CountingInputIteratorIllEEPS6_NSA_22TransformInputIteratorIb7NonZeroIdEPdlEENS0_5tupleIJPlS6_EEENSJ_IJSD_SD_EEES6_SK_JS6_EEE10hipError_tPvRmT3_T4_T5_T6_T7_T9_mT8_P12ihipStream_tbDpT10_ENKUlT_T0_E_clISt17integral_constantIbLb0EES16_EEDaS11_S12_EUlS11_E_NS1_11comp_targetILNS1_3genE8ELNS1_11target_archE1030ELNS1_3gpuE2ELNS1_3repE0EEENS1_30default_config_static_selectorELNS0_4arch9wavefront6targetE1EEEvT1_
; %bb.0:
	.section	.rodata,"a",@progbits
	.p2align	6, 0x0
	.amdhsa_kernel _ZN7rocprim17ROCPRIM_400000_NS6detail17trampoline_kernelINS0_14default_configENS1_25partition_config_selectorILNS1_17partition_subalgoE5ElNS0_10empty_typeEbEEZZNS1_14partition_implILS5_5ELb0ES3_mN6hipcub16HIPCUB_304000_NS21CountingInputIteratorIllEEPS6_NSA_22TransformInputIteratorIb7NonZeroIdEPdlEENS0_5tupleIJPlS6_EEENSJ_IJSD_SD_EEES6_SK_JS6_EEE10hipError_tPvRmT3_T4_T5_T6_T7_T9_mT8_P12ihipStream_tbDpT10_ENKUlT_T0_E_clISt17integral_constantIbLb0EES16_EEDaS11_S12_EUlS11_E_NS1_11comp_targetILNS1_3genE8ELNS1_11target_archE1030ELNS1_3gpuE2ELNS1_3repE0EEENS1_30default_config_static_selectorELNS0_4arch9wavefront6targetE1EEEvT1_
		.amdhsa_group_segment_fixed_size 0
		.amdhsa_private_segment_fixed_size 0
		.amdhsa_kernarg_size 120
		.amdhsa_user_sgpr_count 2
		.amdhsa_user_sgpr_dispatch_ptr 0
		.amdhsa_user_sgpr_queue_ptr 0
		.amdhsa_user_sgpr_kernarg_segment_ptr 1
		.amdhsa_user_sgpr_dispatch_id 0
		.amdhsa_user_sgpr_kernarg_preload_length 0
		.amdhsa_user_sgpr_kernarg_preload_offset 0
		.amdhsa_user_sgpr_private_segment_size 0
		.amdhsa_uses_dynamic_stack 0
		.amdhsa_enable_private_segment 0
		.amdhsa_system_sgpr_workgroup_id_x 1
		.amdhsa_system_sgpr_workgroup_id_y 0
		.amdhsa_system_sgpr_workgroup_id_z 0
		.amdhsa_system_sgpr_workgroup_info 0
		.amdhsa_system_vgpr_workitem_id 0
		.amdhsa_next_free_vgpr 1
		.amdhsa_next_free_sgpr 0
		.amdhsa_accum_offset 4
		.amdhsa_reserve_vcc 0
		.amdhsa_float_round_mode_32 0
		.amdhsa_float_round_mode_16_64 0
		.amdhsa_float_denorm_mode_32 3
		.amdhsa_float_denorm_mode_16_64 3
		.amdhsa_dx10_clamp 1
		.amdhsa_ieee_mode 1
		.amdhsa_fp16_overflow 0
		.amdhsa_tg_split 0
		.amdhsa_exception_fp_ieee_invalid_op 0
		.amdhsa_exception_fp_denorm_src 0
		.amdhsa_exception_fp_ieee_div_zero 0
		.amdhsa_exception_fp_ieee_overflow 0
		.amdhsa_exception_fp_ieee_underflow 0
		.amdhsa_exception_fp_ieee_inexact 0
		.amdhsa_exception_int_div_zero 0
	.end_amdhsa_kernel
	.section	.text._ZN7rocprim17ROCPRIM_400000_NS6detail17trampoline_kernelINS0_14default_configENS1_25partition_config_selectorILNS1_17partition_subalgoE5ElNS0_10empty_typeEbEEZZNS1_14partition_implILS5_5ELb0ES3_mN6hipcub16HIPCUB_304000_NS21CountingInputIteratorIllEEPS6_NSA_22TransformInputIteratorIb7NonZeroIdEPdlEENS0_5tupleIJPlS6_EEENSJ_IJSD_SD_EEES6_SK_JS6_EEE10hipError_tPvRmT3_T4_T5_T6_T7_T9_mT8_P12ihipStream_tbDpT10_ENKUlT_T0_E_clISt17integral_constantIbLb0EES16_EEDaS11_S12_EUlS11_E_NS1_11comp_targetILNS1_3genE8ELNS1_11target_archE1030ELNS1_3gpuE2ELNS1_3repE0EEENS1_30default_config_static_selectorELNS0_4arch9wavefront6targetE1EEEvT1_,"axG",@progbits,_ZN7rocprim17ROCPRIM_400000_NS6detail17trampoline_kernelINS0_14default_configENS1_25partition_config_selectorILNS1_17partition_subalgoE5ElNS0_10empty_typeEbEEZZNS1_14partition_implILS5_5ELb0ES3_mN6hipcub16HIPCUB_304000_NS21CountingInputIteratorIllEEPS6_NSA_22TransformInputIteratorIb7NonZeroIdEPdlEENS0_5tupleIJPlS6_EEENSJ_IJSD_SD_EEES6_SK_JS6_EEE10hipError_tPvRmT3_T4_T5_T6_T7_T9_mT8_P12ihipStream_tbDpT10_ENKUlT_T0_E_clISt17integral_constantIbLb0EES16_EEDaS11_S12_EUlS11_E_NS1_11comp_targetILNS1_3genE8ELNS1_11target_archE1030ELNS1_3gpuE2ELNS1_3repE0EEENS1_30default_config_static_selectorELNS0_4arch9wavefront6targetE1EEEvT1_,comdat
.Lfunc_end328:
	.size	_ZN7rocprim17ROCPRIM_400000_NS6detail17trampoline_kernelINS0_14default_configENS1_25partition_config_selectorILNS1_17partition_subalgoE5ElNS0_10empty_typeEbEEZZNS1_14partition_implILS5_5ELb0ES3_mN6hipcub16HIPCUB_304000_NS21CountingInputIteratorIllEEPS6_NSA_22TransformInputIteratorIb7NonZeroIdEPdlEENS0_5tupleIJPlS6_EEENSJ_IJSD_SD_EEES6_SK_JS6_EEE10hipError_tPvRmT3_T4_T5_T6_T7_T9_mT8_P12ihipStream_tbDpT10_ENKUlT_T0_E_clISt17integral_constantIbLb0EES16_EEDaS11_S12_EUlS11_E_NS1_11comp_targetILNS1_3genE8ELNS1_11target_archE1030ELNS1_3gpuE2ELNS1_3repE0EEENS1_30default_config_static_selectorELNS0_4arch9wavefront6targetE1EEEvT1_, .Lfunc_end328-_ZN7rocprim17ROCPRIM_400000_NS6detail17trampoline_kernelINS0_14default_configENS1_25partition_config_selectorILNS1_17partition_subalgoE5ElNS0_10empty_typeEbEEZZNS1_14partition_implILS5_5ELb0ES3_mN6hipcub16HIPCUB_304000_NS21CountingInputIteratorIllEEPS6_NSA_22TransformInputIteratorIb7NonZeroIdEPdlEENS0_5tupleIJPlS6_EEENSJ_IJSD_SD_EEES6_SK_JS6_EEE10hipError_tPvRmT3_T4_T5_T6_T7_T9_mT8_P12ihipStream_tbDpT10_ENKUlT_T0_E_clISt17integral_constantIbLb0EES16_EEDaS11_S12_EUlS11_E_NS1_11comp_targetILNS1_3genE8ELNS1_11target_archE1030ELNS1_3gpuE2ELNS1_3repE0EEENS1_30default_config_static_selectorELNS0_4arch9wavefront6targetE1EEEvT1_
                                        ; -- End function
	.set _ZN7rocprim17ROCPRIM_400000_NS6detail17trampoline_kernelINS0_14default_configENS1_25partition_config_selectorILNS1_17partition_subalgoE5ElNS0_10empty_typeEbEEZZNS1_14partition_implILS5_5ELb0ES3_mN6hipcub16HIPCUB_304000_NS21CountingInputIteratorIllEEPS6_NSA_22TransformInputIteratorIb7NonZeroIdEPdlEENS0_5tupleIJPlS6_EEENSJ_IJSD_SD_EEES6_SK_JS6_EEE10hipError_tPvRmT3_T4_T5_T6_T7_T9_mT8_P12ihipStream_tbDpT10_ENKUlT_T0_E_clISt17integral_constantIbLb0EES16_EEDaS11_S12_EUlS11_E_NS1_11comp_targetILNS1_3genE8ELNS1_11target_archE1030ELNS1_3gpuE2ELNS1_3repE0EEENS1_30default_config_static_selectorELNS0_4arch9wavefront6targetE1EEEvT1_.num_vgpr, 0
	.set _ZN7rocprim17ROCPRIM_400000_NS6detail17trampoline_kernelINS0_14default_configENS1_25partition_config_selectorILNS1_17partition_subalgoE5ElNS0_10empty_typeEbEEZZNS1_14partition_implILS5_5ELb0ES3_mN6hipcub16HIPCUB_304000_NS21CountingInputIteratorIllEEPS6_NSA_22TransformInputIteratorIb7NonZeroIdEPdlEENS0_5tupleIJPlS6_EEENSJ_IJSD_SD_EEES6_SK_JS6_EEE10hipError_tPvRmT3_T4_T5_T6_T7_T9_mT8_P12ihipStream_tbDpT10_ENKUlT_T0_E_clISt17integral_constantIbLb0EES16_EEDaS11_S12_EUlS11_E_NS1_11comp_targetILNS1_3genE8ELNS1_11target_archE1030ELNS1_3gpuE2ELNS1_3repE0EEENS1_30default_config_static_selectorELNS0_4arch9wavefront6targetE1EEEvT1_.num_agpr, 0
	.set _ZN7rocprim17ROCPRIM_400000_NS6detail17trampoline_kernelINS0_14default_configENS1_25partition_config_selectorILNS1_17partition_subalgoE5ElNS0_10empty_typeEbEEZZNS1_14partition_implILS5_5ELb0ES3_mN6hipcub16HIPCUB_304000_NS21CountingInputIteratorIllEEPS6_NSA_22TransformInputIteratorIb7NonZeroIdEPdlEENS0_5tupleIJPlS6_EEENSJ_IJSD_SD_EEES6_SK_JS6_EEE10hipError_tPvRmT3_T4_T5_T6_T7_T9_mT8_P12ihipStream_tbDpT10_ENKUlT_T0_E_clISt17integral_constantIbLb0EES16_EEDaS11_S12_EUlS11_E_NS1_11comp_targetILNS1_3genE8ELNS1_11target_archE1030ELNS1_3gpuE2ELNS1_3repE0EEENS1_30default_config_static_selectorELNS0_4arch9wavefront6targetE1EEEvT1_.numbered_sgpr, 0
	.set _ZN7rocprim17ROCPRIM_400000_NS6detail17trampoline_kernelINS0_14default_configENS1_25partition_config_selectorILNS1_17partition_subalgoE5ElNS0_10empty_typeEbEEZZNS1_14partition_implILS5_5ELb0ES3_mN6hipcub16HIPCUB_304000_NS21CountingInputIteratorIllEEPS6_NSA_22TransformInputIteratorIb7NonZeroIdEPdlEENS0_5tupleIJPlS6_EEENSJ_IJSD_SD_EEES6_SK_JS6_EEE10hipError_tPvRmT3_T4_T5_T6_T7_T9_mT8_P12ihipStream_tbDpT10_ENKUlT_T0_E_clISt17integral_constantIbLb0EES16_EEDaS11_S12_EUlS11_E_NS1_11comp_targetILNS1_3genE8ELNS1_11target_archE1030ELNS1_3gpuE2ELNS1_3repE0EEENS1_30default_config_static_selectorELNS0_4arch9wavefront6targetE1EEEvT1_.num_named_barrier, 0
	.set _ZN7rocprim17ROCPRIM_400000_NS6detail17trampoline_kernelINS0_14default_configENS1_25partition_config_selectorILNS1_17partition_subalgoE5ElNS0_10empty_typeEbEEZZNS1_14partition_implILS5_5ELb0ES3_mN6hipcub16HIPCUB_304000_NS21CountingInputIteratorIllEEPS6_NSA_22TransformInputIteratorIb7NonZeroIdEPdlEENS0_5tupleIJPlS6_EEENSJ_IJSD_SD_EEES6_SK_JS6_EEE10hipError_tPvRmT3_T4_T5_T6_T7_T9_mT8_P12ihipStream_tbDpT10_ENKUlT_T0_E_clISt17integral_constantIbLb0EES16_EEDaS11_S12_EUlS11_E_NS1_11comp_targetILNS1_3genE8ELNS1_11target_archE1030ELNS1_3gpuE2ELNS1_3repE0EEENS1_30default_config_static_selectorELNS0_4arch9wavefront6targetE1EEEvT1_.private_seg_size, 0
	.set _ZN7rocprim17ROCPRIM_400000_NS6detail17trampoline_kernelINS0_14default_configENS1_25partition_config_selectorILNS1_17partition_subalgoE5ElNS0_10empty_typeEbEEZZNS1_14partition_implILS5_5ELb0ES3_mN6hipcub16HIPCUB_304000_NS21CountingInputIteratorIllEEPS6_NSA_22TransformInputIteratorIb7NonZeroIdEPdlEENS0_5tupleIJPlS6_EEENSJ_IJSD_SD_EEES6_SK_JS6_EEE10hipError_tPvRmT3_T4_T5_T6_T7_T9_mT8_P12ihipStream_tbDpT10_ENKUlT_T0_E_clISt17integral_constantIbLb0EES16_EEDaS11_S12_EUlS11_E_NS1_11comp_targetILNS1_3genE8ELNS1_11target_archE1030ELNS1_3gpuE2ELNS1_3repE0EEENS1_30default_config_static_selectorELNS0_4arch9wavefront6targetE1EEEvT1_.uses_vcc, 0
	.set _ZN7rocprim17ROCPRIM_400000_NS6detail17trampoline_kernelINS0_14default_configENS1_25partition_config_selectorILNS1_17partition_subalgoE5ElNS0_10empty_typeEbEEZZNS1_14partition_implILS5_5ELb0ES3_mN6hipcub16HIPCUB_304000_NS21CountingInputIteratorIllEEPS6_NSA_22TransformInputIteratorIb7NonZeroIdEPdlEENS0_5tupleIJPlS6_EEENSJ_IJSD_SD_EEES6_SK_JS6_EEE10hipError_tPvRmT3_T4_T5_T6_T7_T9_mT8_P12ihipStream_tbDpT10_ENKUlT_T0_E_clISt17integral_constantIbLb0EES16_EEDaS11_S12_EUlS11_E_NS1_11comp_targetILNS1_3genE8ELNS1_11target_archE1030ELNS1_3gpuE2ELNS1_3repE0EEENS1_30default_config_static_selectorELNS0_4arch9wavefront6targetE1EEEvT1_.uses_flat_scratch, 0
	.set _ZN7rocprim17ROCPRIM_400000_NS6detail17trampoline_kernelINS0_14default_configENS1_25partition_config_selectorILNS1_17partition_subalgoE5ElNS0_10empty_typeEbEEZZNS1_14partition_implILS5_5ELb0ES3_mN6hipcub16HIPCUB_304000_NS21CountingInputIteratorIllEEPS6_NSA_22TransformInputIteratorIb7NonZeroIdEPdlEENS0_5tupleIJPlS6_EEENSJ_IJSD_SD_EEES6_SK_JS6_EEE10hipError_tPvRmT3_T4_T5_T6_T7_T9_mT8_P12ihipStream_tbDpT10_ENKUlT_T0_E_clISt17integral_constantIbLb0EES16_EEDaS11_S12_EUlS11_E_NS1_11comp_targetILNS1_3genE8ELNS1_11target_archE1030ELNS1_3gpuE2ELNS1_3repE0EEENS1_30default_config_static_selectorELNS0_4arch9wavefront6targetE1EEEvT1_.has_dyn_sized_stack, 0
	.set _ZN7rocprim17ROCPRIM_400000_NS6detail17trampoline_kernelINS0_14default_configENS1_25partition_config_selectorILNS1_17partition_subalgoE5ElNS0_10empty_typeEbEEZZNS1_14partition_implILS5_5ELb0ES3_mN6hipcub16HIPCUB_304000_NS21CountingInputIteratorIllEEPS6_NSA_22TransformInputIteratorIb7NonZeroIdEPdlEENS0_5tupleIJPlS6_EEENSJ_IJSD_SD_EEES6_SK_JS6_EEE10hipError_tPvRmT3_T4_T5_T6_T7_T9_mT8_P12ihipStream_tbDpT10_ENKUlT_T0_E_clISt17integral_constantIbLb0EES16_EEDaS11_S12_EUlS11_E_NS1_11comp_targetILNS1_3genE8ELNS1_11target_archE1030ELNS1_3gpuE2ELNS1_3repE0EEENS1_30default_config_static_selectorELNS0_4arch9wavefront6targetE1EEEvT1_.has_recursion, 0
	.set _ZN7rocprim17ROCPRIM_400000_NS6detail17trampoline_kernelINS0_14default_configENS1_25partition_config_selectorILNS1_17partition_subalgoE5ElNS0_10empty_typeEbEEZZNS1_14partition_implILS5_5ELb0ES3_mN6hipcub16HIPCUB_304000_NS21CountingInputIteratorIllEEPS6_NSA_22TransformInputIteratorIb7NonZeroIdEPdlEENS0_5tupleIJPlS6_EEENSJ_IJSD_SD_EEES6_SK_JS6_EEE10hipError_tPvRmT3_T4_T5_T6_T7_T9_mT8_P12ihipStream_tbDpT10_ENKUlT_T0_E_clISt17integral_constantIbLb0EES16_EEDaS11_S12_EUlS11_E_NS1_11comp_targetILNS1_3genE8ELNS1_11target_archE1030ELNS1_3gpuE2ELNS1_3repE0EEENS1_30default_config_static_selectorELNS0_4arch9wavefront6targetE1EEEvT1_.has_indirect_call, 0
	.section	.AMDGPU.csdata,"",@progbits
; Kernel info:
; codeLenInByte = 0
; TotalNumSgprs: 6
; NumVgprs: 0
; NumAgprs: 0
; TotalNumVgprs: 0
; ScratchSize: 0
; MemoryBound: 0
; FloatMode: 240
; IeeeMode: 1
; LDSByteSize: 0 bytes/workgroup (compile time only)
; SGPRBlocks: 0
; VGPRBlocks: 0
; NumSGPRsForWavesPerEU: 6
; NumVGPRsForWavesPerEU: 1
; AccumOffset: 4
; Occupancy: 8
; WaveLimiterHint : 0
; COMPUTE_PGM_RSRC2:SCRATCH_EN: 0
; COMPUTE_PGM_RSRC2:USER_SGPR: 2
; COMPUTE_PGM_RSRC2:TRAP_HANDLER: 0
; COMPUTE_PGM_RSRC2:TGID_X_EN: 1
; COMPUTE_PGM_RSRC2:TGID_Y_EN: 0
; COMPUTE_PGM_RSRC2:TGID_Z_EN: 0
; COMPUTE_PGM_RSRC2:TIDIG_COMP_CNT: 0
; COMPUTE_PGM_RSRC3_GFX90A:ACCUM_OFFSET: 0
; COMPUTE_PGM_RSRC3_GFX90A:TG_SPLIT: 0
	.section	.text._ZN7rocprim17ROCPRIM_400000_NS6detail17trampoline_kernelINS0_14default_configENS1_25partition_config_selectorILNS1_17partition_subalgoE5ElNS0_10empty_typeEbEEZZNS1_14partition_implILS5_5ELb0ES3_mN6hipcub16HIPCUB_304000_NS21CountingInputIteratorIllEEPS6_NSA_22TransformInputIteratorIb7NonZeroIdEPdlEENS0_5tupleIJPlS6_EEENSJ_IJSD_SD_EEES6_SK_JS6_EEE10hipError_tPvRmT3_T4_T5_T6_T7_T9_mT8_P12ihipStream_tbDpT10_ENKUlT_T0_E_clISt17integral_constantIbLb1EES16_EEDaS11_S12_EUlS11_E_NS1_11comp_targetILNS1_3genE0ELNS1_11target_archE4294967295ELNS1_3gpuE0ELNS1_3repE0EEENS1_30default_config_static_selectorELNS0_4arch9wavefront6targetE1EEEvT1_,"axG",@progbits,_ZN7rocprim17ROCPRIM_400000_NS6detail17trampoline_kernelINS0_14default_configENS1_25partition_config_selectorILNS1_17partition_subalgoE5ElNS0_10empty_typeEbEEZZNS1_14partition_implILS5_5ELb0ES3_mN6hipcub16HIPCUB_304000_NS21CountingInputIteratorIllEEPS6_NSA_22TransformInputIteratorIb7NonZeroIdEPdlEENS0_5tupleIJPlS6_EEENSJ_IJSD_SD_EEES6_SK_JS6_EEE10hipError_tPvRmT3_T4_T5_T6_T7_T9_mT8_P12ihipStream_tbDpT10_ENKUlT_T0_E_clISt17integral_constantIbLb1EES16_EEDaS11_S12_EUlS11_E_NS1_11comp_targetILNS1_3genE0ELNS1_11target_archE4294967295ELNS1_3gpuE0ELNS1_3repE0EEENS1_30default_config_static_selectorELNS0_4arch9wavefront6targetE1EEEvT1_,comdat
	.protected	_ZN7rocprim17ROCPRIM_400000_NS6detail17trampoline_kernelINS0_14default_configENS1_25partition_config_selectorILNS1_17partition_subalgoE5ElNS0_10empty_typeEbEEZZNS1_14partition_implILS5_5ELb0ES3_mN6hipcub16HIPCUB_304000_NS21CountingInputIteratorIllEEPS6_NSA_22TransformInputIteratorIb7NonZeroIdEPdlEENS0_5tupleIJPlS6_EEENSJ_IJSD_SD_EEES6_SK_JS6_EEE10hipError_tPvRmT3_T4_T5_T6_T7_T9_mT8_P12ihipStream_tbDpT10_ENKUlT_T0_E_clISt17integral_constantIbLb1EES16_EEDaS11_S12_EUlS11_E_NS1_11comp_targetILNS1_3genE0ELNS1_11target_archE4294967295ELNS1_3gpuE0ELNS1_3repE0EEENS1_30default_config_static_selectorELNS0_4arch9wavefront6targetE1EEEvT1_ ; -- Begin function _ZN7rocprim17ROCPRIM_400000_NS6detail17trampoline_kernelINS0_14default_configENS1_25partition_config_selectorILNS1_17partition_subalgoE5ElNS0_10empty_typeEbEEZZNS1_14partition_implILS5_5ELb0ES3_mN6hipcub16HIPCUB_304000_NS21CountingInputIteratorIllEEPS6_NSA_22TransformInputIteratorIb7NonZeroIdEPdlEENS0_5tupleIJPlS6_EEENSJ_IJSD_SD_EEES6_SK_JS6_EEE10hipError_tPvRmT3_T4_T5_T6_T7_T9_mT8_P12ihipStream_tbDpT10_ENKUlT_T0_E_clISt17integral_constantIbLb1EES16_EEDaS11_S12_EUlS11_E_NS1_11comp_targetILNS1_3genE0ELNS1_11target_archE4294967295ELNS1_3gpuE0ELNS1_3repE0EEENS1_30default_config_static_selectorELNS0_4arch9wavefront6targetE1EEEvT1_
	.globl	_ZN7rocprim17ROCPRIM_400000_NS6detail17trampoline_kernelINS0_14default_configENS1_25partition_config_selectorILNS1_17partition_subalgoE5ElNS0_10empty_typeEbEEZZNS1_14partition_implILS5_5ELb0ES3_mN6hipcub16HIPCUB_304000_NS21CountingInputIteratorIllEEPS6_NSA_22TransformInputIteratorIb7NonZeroIdEPdlEENS0_5tupleIJPlS6_EEENSJ_IJSD_SD_EEES6_SK_JS6_EEE10hipError_tPvRmT3_T4_T5_T6_T7_T9_mT8_P12ihipStream_tbDpT10_ENKUlT_T0_E_clISt17integral_constantIbLb1EES16_EEDaS11_S12_EUlS11_E_NS1_11comp_targetILNS1_3genE0ELNS1_11target_archE4294967295ELNS1_3gpuE0ELNS1_3repE0EEENS1_30default_config_static_selectorELNS0_4arch9wavefront6targetE1EEEvT1_
	.p2align	8
	.type	_ZN7rocprim17ROCPRIM_400000_NS6detail17trampoline_kernelINS0_14default_configENS1_25partition_config_selectorILNS1_17partition_subalgoE5ElNS0_10empty_typeEbEEZZNS1_14partition_implILS5_5ELb0ES3_mN6hipcub16HIPCUB_304000_NS21CountingInputIteratorIllEEPS6_NSA_22TransformInputIteratorIb7NonZeroIdEPdlEENS0_5tupleIJPlS6_EEENSJ_IJSD_SD_EEES6_SK_JS6_EEE10hipError_tPvRmT3_T4_T5_T6_T7_T9_mT8_P12ihipStream_tbDpT10_ENKUlT_T0_E_clISt17integral_constantIbLb1EES16_EEDaS11_S12_EUlS11_E_NS1_11comp_targetILNS1_3genE0ELNS1_11target_archE4294967295ELNS1_3gpuE0ELNS1_3repE0EEENS1_30default_config_static_selectorELNS0_4arch9wavefront6targetE1EEEvT1_,@function
_ZN7rocprim17ROCPRIM_400000_NS6detail17trampoline_kernelINS0_14default_configENS1_25partition_config_selectorILNS1_17partition_subalgoE5ElNS0_10empty_typeEbEEZZNS1_14partition_implILS5_5ELb0ES3_mN6hipcub16HIPCUB_304000_NS21CountingInputIteratorIllEEPS6_NSA_22TransformInputIteratorIb7NonZeroIdEPdlEENS0_5tupleIJPlS6_EEENSJ_IJSD_SD_EEES6_SK_JS6_EEE10hipError_tPvRmT3_T4_T5_T6_T7_T9_mT8_P12ihipStream_tbDpT10_ENKUlT_T0_E_clISt17integral_constantIbLb1EES16_EEDaS11_S12_EUlS11_E_NS1_11comp_targetILNS1_3genE0ELNS1_11target_archE4294967295ELNS1_3gpuE0ELNS1_3repE0EEENS1_30default_config_static_selectorELNS0_4arch9wavefront6targetE1EEEvT1_: ; @_ZN7rocprim17ROCPRIM_400000_NS6detail17trampoline_kernelINS0_14default_configENS1_25partition_config_selectorILNS1_17partition_subalgoE5ElNS0_10empty_typeEbEEZZNS1_14partition_implILS5_5ELb0ES3_mN6hipcub16HIPCUB_304000_NS21CountingInputIteratorIllEEPS6_NSA_22TransformInputIteratorIb7NonZeroIdEPdlEENS0_5tupleIJPlS6_EEENSJ_IJSD_SD_EEES6_SK_JS6_EEE10hipError_tPvRmT3_T4_T5_T6_T7_T9_mT8_P12ihipStream_tbDpT10_ENKUlT_T0_E_clISt17integral_constantIbLb1EES16_EEDaS11_S12_EUlS11_E_NS1_11comp_targetILNS1_3genE0ELNS1_11target_archE4294967295ELNS1_3gpuE0ELNS1_3repE0EEENS1_30default_config_static_selectorELNS0_4arch9wavefront6targetE1EEEvT1_
; %bb.0:
	s_endpgm
	.section	.rodata,"a",@progbits
	.p2align	6, 0x0
	.amdhsa_kernel _ZN7rocprim17ROCPRIM_400000_NS6detail17trampoline_kernelINS0_14default_configENS1_25partition_config_selectorILNS1_17partition_subalgoE5ElNS0_10empty_typeEbEEZZNS1_14partition_implILS5_5ELb0ES3_mN6hipcub16HIPCUB_304000_NS21CountingInputIteratorIllEEPS6_NSA_22TransformInputIteratorIb7NonZeroIdEPdlEENS0_5tupleIJPlS6_EEENSJ_IJSD_SD_EEES6_SK_JS6_EEE10hipError_tPvRmT3_T4_T5_T6_T7_T9_mT8_P12ihipStream_tbDpT10_ENKUlT_T0_E_clISt17integral_constantIbLb1EES16_EEDaS11_S12_EUlS11_E_NS1_11comp_targetILNS1_3genE0ELNS1_11target_archE4294967295ELNS1_3gpuE0ELNS1_3repE0EEENS1_30default_config_static_selectorELNS0_4arch9wavefront6targetE1EEEvT1_
		.amdhsa_group_segment_fixed_size 0
		.amdhsa_private_segment_fixed_size 0
		.amdhsa_kernarg_size 136
		.amdhsa_user_sgpr_count 2
		.amdhsa_user_sgpr_dispatch_ptr 0
		.amdhsa_user_sgpr_queue_ptr 0
		.amdhsa_user_sgpr_kernarg_segment_ptr 1
		.amdhsa_user_sgpr_dispatch_id 0
		.amdhsa_user_sgpr_kernarg_preload_length 0
		.amdhsa_user_sgpr_kernarg_preload_offset 0
		.amdhsa_user_sgpr_private_segment_size 0
		.amdhsa_uses_dynamic_stack 0
		.amdhsa_enable_private_segment 0
		.amdhsa_system_sgpr_workgroup_id_x 1
		.amdhsa_system_sgpr_workgroup_id_y 0
		.amdhsa_system_sgpr_workgroup_id_z 0
		.amdhsa_system_sgpr_workgroup_info 0
		.amdhsa_system_vgpr_workitem_id 0
		.amdhsa_next_free_vgpr 1
		.amdhsa_next_free_sgpr 0
		.amdhsa_accum_offset 4
		.amdhsa_reserve_vcc 0
		.amdhsa_float_round_mode_32 0
		.amdhsa_float_round_mode_16_64 0
		.amdhsa_float_denorm_mode_32 3
		.amdhsa_float_denorm_mode_16_64 3
		.amdhsa_dx10_clamp 1
		.amdhsa_ieee_mode 1
		.amdhsa_fp16_overflow 0
		.amdhsa_tg_split 0
		.amdhsa_exception_fp_ieee_invalid_op 0
		.amdhsa_exception_fp_denorm_src 0
		.amdhsa_exception_fp_ieee_div_zero 0
		.amdhsa_exception_fp_ieee_overflow 0
		.amdhsa_exception_fp_ieee_underflow 0
		.amdhsa_exception_fp_ieee_inexact 0
		.amdhsa_exception_int_div_zero 0
	.end_amdhsa_kernel
	.section	.text._ZN7rocprim17ROCPRIM_400000_NS6detail17trampoline_kernelINS0_14default_configENS1_25partition_config_selectorILNS1_17partition_subalgoE5ElNS0_10empty_typeEbEEZZNS1_14partition_implILS5_5ELb0ES3_mN6hipcub16HIPCUB_304000_NS21CountingInputIteratorIllEEPS6_NSA_22TransformInputIteratorIb7NonZeroIdEPdlEENS0_5tupleIJPlS6_EEENSJ_IJSD_SD_EEES6_SK_JS6_EEE10hipError_tPvRmT3_T4_T5_T6_T7_T9_mT8_P12ihipStream_tbDpT10_ENKUlT_T0_E_clISt17integral_constantIbLb1EES16_EEDaS11_S12_EUlS11_E_NS1_11comp_targetILNS1_3genE0ELNS1_11target_archE4294967295ELNS1_3gpuE0ELNS1_3repE0EEENS1_30default_config_static_selectorELNS0_4arch9wavefront6targetE1EEEvT1_,"axG",@progbits,_ZN7rocprim17ROCPRIM_400000_NS6detail17trampoline_kernelINS0_14default_configENS1_25partition_config_selectorILNS1_17partition_subalgoE5ElNS0_10empty_typeEbEEZZNS1_14partition_implILS5_5ELb0ES3_mN6hipcub16HIPCUB_304000_NS21CountingInputIteratorIllEEPS6_NSA_22TransformInputIteratorIb7NonZeroIdEPdlEENS0_5tupleIJPlS6_EEENSJ_IJSD_SD_EEES6_SK_JS6_EEE10hipError_tPvRmT3_T4_T5_T6_T7_T9_mT8_P12ihipStream_tbDpT10_ENKUlT_T0_E_clISt17integral_constantIbLb1EES16_EEDaS11_S12_EUlS11_E_NS1_11comp_targetILNS1_3genE0ELNS1_11target_archE4294967295ELNS1_3gpuE0ELNS1_3repE0EEENS1_30default_config_static_selectorELNS0_4arch9wavefront6targetE1EEEvT1_,comdat
.Lfunc_end329:
	.size	_ZN7rocprim17ROCPRIM_400000_NS6detail17trampoline_kernelINS0_14default_configENS1_25partition_config_selectorILNS1_17partition_subalgoE5ElNS0_10empty_typeEbEEZZNS1_14partition_implILS5_5ELb0ES3_mN6hipcub16HIPCUB_304000_NS21CountingInputIteratorIllEEPS6_NSA_22TransformInputIteratorIb7NonZeroIdEPdlEENS0_5tupleIJPlS6_EEENSJ_IJSD_SD_EEES6_SK_JS6_EEE10hipError_tPvRmT3_T4_T5_T6_T7_T9_mT8_P12ihipStream_tbDpT10_ENKUlT_T0_E_clISt17integral_constantIbLb1EES16_EEDaS11_S12_EUlS11_E_NS1_11comp_targetILNS1_3genE0ELNS1_11target_archE4294967295ELNS1_3gpuE0ELNS1_3repE0EEENS1_30default_config_static_selectorELNS0_4arch9wavefront6targetE1EEEvT1_, .Lfunc_end329-_ZN7rocprim17ROCPRIM_400000_NS6detail17trampoline_kernelINS0_14default_configENS1_25partition_config_selectorILNS1_17partition_subalgoE5ElNS0_10empty_typeEbEEZZNS1_14partition_implILS5_5ELb0ES3_mN6hipcub16HIPCUB_304000_NS21CountingInputIteratorIllEEPS6_NSA_22TransformInputIteratorIb7NonZeroIdEPdlEENS0_5tupleIJPlS6_EEENSJ_IJSD_SD_EEES6_SK_JS6_EEE10hipError_tPvRmT3_T4_T5_T6_T7_T9_mT8_P12ihipStream_tbDpT10_ENKUlT_T0_E_clISt17integral_constantIbLb1EES16_EEDaS11_S12_EUlS11_E_NS1_11comp_targetILNS1_3genE0ELNS1_11target_archE4294967295ELNS1_3gpuE0ELNS1_3repE0EEENS1_30default_config_static_selectorELNS0_4arch9wavefront6targetE1EEEvT1_
                                        ; -- End function
	.set _ZN7rocprim17ROCPRIM_400000_NS6detail17trampoline_kernelINS0_14default_configENS1_25partition_config_selectorILNS1_17partition_subalgoE5ElNS0_10empty_typeEbEEZZNS1_14partition_implILS5_5ELb0ES3_mN6hipcub16HIPCUB_304000_NS21CountingInputIteratorIllEEPS6_NSA_22TransformInputIteratorIb7NonZeroIdEPdlEENS0_5tupleIJPlS6_EEENSJ_IJSD_SD_EEES6_SK_JS6_EEE10hipError_tPvRmT3_T4_T5_T6_T7_T9_mT8_P12ihipStream_tbDpT10_ENKUlT_T0_E_clISt17integral_constantIbLb1EES16_EEDaS11_S12_EUlS11_E_NS1_11comp_targetILNS1_3genE0ELNS1_11target_archE4294967295ELNS1_3gpuE0ELNS1_3repE0EEENS1_30default_config_static_selectorELNS0_4arch9wavefront6targetE1EEEvT1_.num_vgpr, 0
	.set _ZN7rocprim17ROCPRIM_400000_NS6detail17trampoline_kernelINS0_14default_configENS1_25partition_config_selectorILNS1_17partition_subalgoE5ElNS0_10empty_typeEbEEZZNS1_14partition_implILS5_5ELb0ES3_mN6hipcub16HIPCUB_304000_NS21CountingInputIteratorIllEEPS6_NSA_22TransformInputIteratorIb7NonZeroIdEPdlEENS0_5tupleIJPlS6_EEENSJ_IJSD_SD_EEES6_SK_JS6_EEE10hipError_tPvRmT3_T4_T5_T6_T7_T9_mT8_P12ihipStream_tbDpT10_ENKUlT_T0_E_clISt17integral_constantIbLb1EES16_EEDaS11_S12_EUlS11_E_NS1_11comp_targetILNS1_3genE0ELNS1_11target_archE4294967295ELNS1_3gpuE0ELNS1_3repE0EEENS1_30default_config_static_selectorELNS0_4arch9wavefront6targetE1EEEvT1_.num_agpr, 0
	.set _ZN7rocprim17ROCPRIM_400000_NS6detail17trampoline_kernelINS0_14default_configENS1_25partition_config_selectorILNS1_17partition_subalgoE5ElNS0_10empty_typeEbEEZZNS1_14partition_implILS5_5ELb0ES3_mN6hipcub16HIPCUB_304000_NS21CountingInputIteratorIllEEPS6_NSA_22TransformInputIteratorIb7NonZeroIdEPdlEENS0_5tupleIJPlS6_EEENSJ_IJSD_SD_EEES6_SK_JS6_EEE10hipError_tPvRmT3_T4_T5_T6_T7_T9_mT8_P12ihipStream_tbDpT10_ENKUlT_T0_E_clISt17integral_constantIbLb1EES16_EEDaS11_S12_EUlS11_E_NS1_11comp_targetILNS1_3genE0ELNS1_11target_archE4294967295ELNS1_3gpuE0ELNS1_3repE0EEENS1_30default_config_static_selectorELNS0_4arch9wavefront6targetE1EEEvT1_.numbered_sgpr, 0
	.set _ZN7rocprim17ROCPRIM_400000_NS6detail17trampoline_kernelINS0_14default_configENS1_25partition_config_selectorILNS1_17partition_subalgoE5ElNS0_10empty_typeEbEEZZNS1_14partition_implILS5_5ELb0ES3_mN6hipcub16HIPCUB_304000_NS21CountingInputIteratorIllEEPS6_NSA_22TransformInputIteratorIb7NonZeroIdEPdlEENS0_5tupleIJPlS6_EEENSJ_IJSD_SD_EEES6_SK_JS6_EEE10hipError_tPvRmT3_T4_T5_T6_T7_T9_mT8_P12ihipStream_tbDpT10_ENKUlT_T0_E_clISt17integral_constantIbLb1EES16_EEDaS11_S12_EUlS11_E_NS1_11comp_targetILNS1_3genE0ELNS1_11target_archE4294967295ELNS1_3gpuE0ELNS1_3repE0EEENS1_30default_config_static_selectorELNS0_4arch9wavefront6targetE1EEEvT1_.num_named_barrier, 0
	.set _ZN7rocprim17ROCPRIM_400000_NS6detail17trampoline_kernelINS0_14default_configENS1_25partition_config_selectorILNS1_17partition_subalgoE5ElNS0_10empty_typeEbEEZZNS1_14partition_implILS5_5ELb0ES3_mN6hipcub16HIPCUB_304000_NS21CountingInputIteratorIllEEPS6_NSA_22TransformInputIteratorIb7NonZeroIdEPdlEENS0_5tupleIJPlS6_EEENSJ_IJSD_SD_EEES6_SK_JS6_EEE10hipError_tPvRmT3_T4_T5_T6_T7_T9_mT8_P12ihipStream_tbDpT10_ENKUlT_T0_E_clISt17integral_constantIbLb1EES16_EEDaS11_S12_EUlS11_E_NS1_11comp_targetILNS1_3genE0ELNS1_11target_archE4294967295ELNS1_3gpuE0ELNS1_3repE0EEENS1_30default_config_static_selectorELNS0_4arch9wavefront6targetE1EEEvT1_.private_seg_size, 0
	.set _ZN7rocprim17ROCPRIM_400000_NS6detail17trampoline_kernelINS0_14default_configENS1_25partition_config_selectorILNS1_17partition_subalgoE5ElNS0_10empty_typeEbEEZZNS1_14partition_implILS5_5ELb0ES3_mN6hipcub16HIPCUB_304000_NS21CountingInputIteratorIllEEPS6_NSA_22TransformInputIteratorIb7NonZeroIdEPdlEENS0_5tupleIJPlS6_EEENSJ_IJSD_SD_EEES6_SK_JS6_EEE10hipError_tPvRmT3_T4_T5_T6_T7_T9_mT8_P12ihipStream_tbDpT10_ENKUlT_T0_E_clISt17integral_constantIbLb1EES16_EEDaS11_S12_EUlS11_E_NS1_11comp_targetILNS1_3genE0ELNS1_11target_archE4294967295ELNS1_3gpuE0ELNS1_3repE0EEENS1_30default_config_static_selectorELNS0_4arch9wavefront6targetE1EEEvT1_.uses_vcc, 0
	.set _ZN7rocprim17ROCPRIM_400000_NS6detail17trampoline_kernelINS0_14default_configENS1_25partition_config_selectorILNS1_17partition_subalgoE5ElNS0_10empty_typeEbEEZZNS1_14partition_implILS5_5ELb0ES3_mN6hipcub16HIPCUB_304000_NS21CountingInputIteratorIllEEPS6_NSA_22TransformInputIteratorIb7NonZeroIdEPdlEENS0_5tupleIJPlS6_EEENSJ_IJSD_SD_EEES6_SK_JS6_EEE10hipError_tPvRmT3_T4_T5_T6_T7_T9_mT8_P12ihipStream_tbDpT10_ENKUlT_T0_E_clISt17integral_constantIbLb1EES16_EEDaS11_S12_EUlS11_E_NS1_11comp_targetILNS1_3genE0ELNS1_11target_archE4294967295ELNS1_3gpuE0ELNS1_3repE0EEENS1_30default_config_static_selectorELNS0_4arch9wavefront6targetE1EEEvT1_.uses_flat_scratch, 0
	.set _ZN7rocprim17ROCPRIM_400000_NS6detail17trampoline_kernelINS0_14default_configENS1_25partition_config_selectorILNS1_17partition_subalgoE5ElNS0_10empty_typeEbEEZZNS1_14partition_implILS5_5ELb0ES3_mN6hipcub16HIPCUB_304000_NS21CountingInputIteratorIllEEPS6_NSA_22TransformInputIteratorIb7NonZeroIdEPdlEENS0_5tupleIJPlS6_EEENSJ_IJSD_SD_EEES6_SK_JS6_EEE10hipError_tPvRmT3_T4_T5_T6_T7_T9_mT8_P12ihipStream_tbDpT10_ENKUlT_T0_E_clISt17integral_constantIbLb1EES16_EEDaS11_S12_EUlS11_E_NS1_11comp_targetILNS1_3genE0ELNS1_11target_archE4294967295ELNS1_3gpuE0ELNS1_3repE0EEENS1_30default_config_static_selectorELNS0_4arch9wavefront6targetE1EEEvT1_.has_dyn_sized_stack, 0
	.set _ZN7rocprim17ROCPRIM_400000_NS6detail17trampoline_kernelINS0_14default_configENS1_25partition_config_selectorILNS1_17partition_subalgoE5ElNS0_10empty_typeEbEEZZNS1_14partition_implILS5_5ELb0ES3_mN6hipcub16HIPCUB_304000_NS21CountingInputIteratorIllEEPS6_NSA_22TransformInputIteratorIb7NonZeroIdEPdlEENS0_5tupleIJPlS6_EEENSJ_IJSD_SD_EEES6_SK_JS6_EEE10hipError_tPvRmT3_T4_T5_T6_T7_T9_mT8_P12ihipStream_tbDpT10_ENKUlT_T0_E_clISt17integral_constantIbLb1EES16_EEDaS11_S12_EUlS11_E_NS1_11comp_targetILNS1_3genE0ELNS1_11target_archE4294967295ELNS1_3gpuE0ELNS1_3repE0EEENS1_30default_config_static_selectorELNS0_4arch9wavefront6targetE1EEEvT1_.has_recursion, 0
	.set _ZN7rocprim17ROCPRIM_400000_NS6detail17trampoline_kernelINS0_14default_configENS1_25partition_config_selectorILNS1_17partition_subalgoE5ElNS0_10empty_typeEbEEZZNS1_14partition_implILS5_5ELb0ES3_mN6hipcub16HIPCUB_304000_NS21CountingInputIteratorIllEEPS6_NSA_22TransformInputIteratorIb7NonZeroIdEPdlEENS0_5tupleIJPlS6_EEENSJ_IJSD_SD_EEES6_SK_JS6_EEE10hipError_tPvRmT3_T4_T5_T6_T7_T9_mT8_P12ihipStream_tbDpT10_ENKUlT_T0_E_clISt17integral_constantIbLb1EES16_EEDaS11_S12_EUlS11_E_NS1_11comp_targetILNS1_3genE0ELNS1_11target_archE4294967295ELNS1_3gpuE0ELNS1_3repE0EEENS1_30default_config_static_selectorELNS0_4arch9wavefront6targetE1EEEvT1_.has_indirect_call, 0
	.section	.AMDGPU.csdata,"",@progbits
; Kernel info:
; codeLenInByte = 4
; TotalNumSgprs: 6
; NumVgprs: 0
; NumAgprs: 0
; TotalNumVgprs: 0
; ScratchSize: 0
; MemoryBound: 0
; FloatMode: 240
; IeeeMode: 1
; LDSByteSize: 0 bytes/workgroup (compile time only)
; SGPRBlocks: 0
; VGPRBlocks: 0
; NumSGPRsForWavesPerEU: 6
; NumVGPRsForWavesPerEU: 1
; AccumOffset: 4
; Occupancy: 8
; WaveLimiterHint : 0
; COMPUTE_PGM_RSRC2:SCRATCH_EN: 0
; COMPUTE_PGM_RSRC2:USER_SGPR: 2
; COMPUTE_PGM_RSRC2:TRAP_HANDLER: 0
; COMPUTE_PGM_RSRC2:TGID_X_EN: 1
; COMPUTE_PGM_RSRC2:TGID_Y_EN: 0
; COMPUTE_PGM_RSRC2:TGID_Z_EN: 0
; COMPUTE_PGM_RSRC2:TIDIG_COMP_CNT: 0
; COMPUTE_PGM_RSRC3_GFX90A:ACCUM_OFFSET: 0
; COMPUTE_PGM_RSRC3_GFX90A:TG_SPLIT: 0
	.section	.text._ZN7rocprim17ROCPRIM_400000_NS6detail17trampoline_kernelINS0_14default_configENS1_25partition_config_selectorILNS1_17partition_subalgoE5ElNS0_10empty_typeEbEEZZNS1_14partition_implILS5_5ELb0ES3_mN6hipcub16HIPCUB_304000_NS21CountingInputIteratorIllEEPS6_NSA_22TransformInputIteratorIb7NonZeroIdEPdlEENS0_5tupleIJPlS6_EEENSJ_IJSD_SD_EEES6_SK_JS6_EEE10hipError_tPvRmT3_T4_T5_T6_T7_T9_mT8_P12ihipStream_tbDpT10_ENKUlT_T0_E_clISt17integral_constantIbLb1EES16_EEDaS11_S12_EUlS11_E_NS1_11comp_targetILNS1_3genE5ELNS1_11target_archE942ELNS1_3gpuE9ELNS1_3repE0EEENS1_30default_config_static_selectorELNS0_4arch9wavefront6targetE1EEEvT1_,"axG",@progbits,_ZN7rocprim17ROCPRIM_400000_NS6detail17trampoline_kernelINS0_14default_configENS1_25partition_config_selectorILNS1_17partition_subalgoE5ElNS0_10empty_typeEbEEZZNS1_14partition_implILS5_5ELb0ES3_mN6hipcub16HIPCUB_304000_NS21CountingInputIteratorIllEEPS6_NSA_22TransformInputIteratorIb7NonZeroIdEPdlEENS0_5tupleIJPlS6_EEENSJ_IJSD_SD_EEES6_SK_JS6_EEE10hipError_tPvRmT3_T4_T5_T6_T7_T9_mT8_P12ihipStream_tbDpT10_ENKUlT_T0_E_clISt17integral_constantIbLb1EES16_EEDaS11_S12_EUlS11_E_NS1_11comp_targetILNS1_3genE5ELNS1_11target_archE942ELNS1_3gpuE9ELNS1_3repE0EEENS1_30default_config_static_selectorELNS0_4arch9wavefront6targetE1EEEvT1_,comdat
	.protected	_ZN7rocprim17ROCPRIM_400000_NS6detail17trampoline_kernelINS0_14default_configENS1_25partition_config_selectorILNS1_17partition_subalgoE5ElNS0_10empty_typeEbEEZZNS1_14partition_implILS5_5ELb0ES3_mN6hipcub16HIPCUB_304000_NS21CountingInputIteratorIllEEPS6_NSA_22TransformInputIteratorIb7NonZeroIdEPdlEENS0_5tupleIJPlS6_EEENSJ_IJSD_SD_EEES6_SK_JS6_EEE10hipError_tPvRmT3_T4_T5_T6_T7_T9_mT8_P12ihipStream_tbDpT10_ENKUlT_T0_E_clISt17integral_constantIbLb1EES16_EEDaS11_S12_EUlS11_E_NS1_11comp_targetILNS1_3genE5ELNS1_11target_archE942ELNS1_3gpuE9ELNS1_3repE0EEENS1_30default_config_static_selectorELNS0_4arch9wavefront6targetE1EEEvT1_ ; -- Begin function _ZN7rocprim17ROCPRIM_400000_NS6detail17trampoline_kernelINS0_14default_configENS1_25partition_config_selectorILNS1_17partition_subalgoE5ElNS0_10empty_typeEbEEZZNS1_14partition_implILS5_5ELb0ES3_mN6hipcub16HIPCUB_304000_NS21CountingInputIteratorIllEEPS6_NSA_22TransformInputIteratorIb7NonZeroIdEPdlEENS0_5tupleIJPlS6_EEENSJ_IJSD_SD_EEES6_SK_JS6_EEE10hipError_tPvRmT3_T4_T5_T6_T7_T9_mT8_P12ihipStream_tbDpT10_ENKUlT_T0_E_clISt17integral_constantIbLb1EES16_EEDaS11_S12_EUlS11_E_NS1_11comp_targetILNS1_3genE5ELNS1_11target_archE942ELNS1_3gpuE9ELNS1_3repE0EEENS1_30default_config_static_selectorELNS0_4arch9wavefront6targetE1EEEvT1_
	.globl	_ZN7rocprim17ROCPRIM_400000_NS6detail17trampoline_kernelINS0_14default_configENS1_25partition_config_selectorILNS1_17partition_subalgoE5ElNS0_10empty_typeEbEEZZNS1_14partition_implILS5_5ELb0ES3_mN6hipcub16HIPCUB_304000_NS21CountingInputIteratorIllEEPS6_NSA_22TransformInputIteratorIb7NonZeroIdEPdlEENS0_5tupleIJPlS6_EEENSJ_IJSD_SD_EEES6_SK_JS6_EEE10hipError_tPvRmT3_T4_T5_T6_T7_T9_mT8_P12ihipStream_tbDpT10_ENKUlT_T0_E_clISt17integral_constantIbLb1EES16_EEDaS11_S12_EUlS11_E_NS1_11comp_targetILNS1_3genE5ELNS1_11target_archE942ELNS1_3gpuE9ELNS1_3repE0EEENS1_30default_config_static_selectorELNS0_4arch9wavefront6targetE1EEEvT1_
	.p2align	8
	.type	_ZN7rocprim17ROCPRIM_400000_NS6detail17trampoline_kernelINS0_14default_configENS1_25partition_config_selectorILNS1_17partition_subalgoE5ElNS0_10empty_typeEbEEZZNS1_14partition_implILS5_5ELb0ES3_mN6hipcub16HIPCUB_304000_NS21CountingInputIteratorIllEEPS6_NSA_22TransformInputIteratorIb7NonZeroIdEPdlEENS0_5tupleIJPlS6_EEENSJ_IJSD_SD_EEES6_SK_JS6_EEE10hipError_tPvRmT3_T4_T5_T6_T7_T9_mT8_P12ihipStream_tbDpT10_ENKUlT_T0_E_clISt17integral_constantIbLb1EES16_EEDaS11_S12_EUlS11_E_NS1_11comp_targetILNS1_3genE5ELNS1_11target_archE942ELNS1_3gpuE9ELNS1_3repE0EEENS1_30default_config_static_selectorELNS0_4arch9wavefront6targetE1EEEvT1_,@function
_ZN7rocprim17ROCPRIM_400000_NS6detail17trampoline_kernelINS0_14default_configENS1_25partition_config_selectorILNS1_17partition_subalgoE5ElNS0_10empty_typeEbEEZZNS1_14partition_implILS5_5ELb0ES3_mN6hipcub16HIPCUB_304000_NS21CountingInputIteratorIllEEPS6_NSA_22TransformInputIteratorIb7NonZeroIdEPdlEENS0_5tupleIJPlS6_EEENSJ_IJSD_SD_EEES6_SK_JS6_EEE10hipError_tPvRmT3_T4_T5_T6_T7_T9_mT8_P12ihipStream_tbDpT10_ENKUlT_T0_E_clISt17integral_constantIbLb1EES16_EEDaS11_S12_EUlS11_E_NS1_11comp_targetILNS1_3genE5ELNS1_11target_archE942ELNS1_3gpuE9ELNS1_3repE0EEENS1_30default_config_static_selectorELNS0_4arch9wavefront6targetE1EEEvT1_: ; @_ZN7rocprim17ROCPRIM_400000_NS6detail17trampoline_kernelINS0_14default_configENS1_25partition_config_selectorILNS1_17partition_subalgoE5ElNS0_10empty_typeEbEEZZNS1_14partition_implILS5_5ELb0ES3_mN6hipcub16HIPCUB_304000_NS21CountingInputIteratorIllEEPS6_NSA_22TransformInputIteratorIb7NonZeroIdEPdlEENS0_5tupleIJPlS6_EEENSJ_IJSD_SD_EEES6_SK_JS6_EEE10hipError_tPvRmT3_T4_T5_T6_T7_T9_mT8_P12ihipStream_tbDpT10_ENKUlT_T0_E_clISt17integral_constantIbLb1EES16_EEDaS11_S12_EUlS11_E_NS1_11comp_targetILNS1_3genE5ELNS1_11target_archE942ELNS1_3gpuE9ELNS1_3repE0EEENS1_30default_config_static_selectorELNS0_4arch9wavefront6targetE1EEEvT1_
; %bb.0:
	.section	.rodata,"a",@progbits
	.p2align	6, 0x0
	.amdhsa_kernel _ZN7rocprim17ROCPRIM_400000_NS6detail17trampoline_kernelINS0_14default_configENS1_25partition_config_selectorILNS1_17partition_subalgoE5ElNS0_10empty_typeEbEEZZNS1_14partition_implILS5_5ELb0ES3_mN6hipcub16HIPCUB_304000_NS21CountingInputIteratorIllEEPS6_NSA_22TransformInputIteratorIb7NonZeroIdEPdlEENS0_5tupleIJPlS6_EEENSJ_IJSD_SD_EEES6_SK_JS6_EEE10hipError_tPvRmT3_T4_T5_T6_T7_T9_mT8_P12ihipStream_tbDpT10_ENKUlT_T0_E_clISt17integral_constantIbLb1EES16_EEDaS11_S12_EUlS11_E_NS1_11comp_targetILNS1_3genE5ELNS1_11target_archE942ELNS1_3gpuE9ELNS1_3repE0EEENS1_30default_config_static_selectorELNS0_4arch9wavefront6targetE1EEEvT1_
		.amdhsa_group_segment_fixed_size 0
		.amdhsa_private_segment_fixed_size 0
		.amdhsa_kernarg_size 136
		.amdhsa_user_sgpr_count 2
		.amdhsa_user_sgpr_dispatch_ptr 0
		.amdhsa_user_sgpr_queue_ptr 0
		.amdhsa_user_sgpr_kernarg_segment_ptr 1
		.amdhsa_user_sgpr_dispatch_id 0
		.amdhsa_user_sgpr_kernarg_preload_length 0
		.amdhsa_user_sgpr_kernarg_preload_offset 0
		.amdhsa_user_sgpr_private_segment_size 0
		.amdhsa_uses_dynamic_stack 0
		.amdhsa_enable_private_segment 0
		.amdhsa_system_sgpr_workgroup_id_x 1
		.amdhsa_system_sgpr_workgroup_id_y 0
		.amdhsa_system_sgpr_workgroup_id_z 0
		.amdhsa_system_sgpr_workgroup_info 0
		.amdhsa_system_vgpr_workitem_id 0
		.amdhsa_next_free_vgpr 1
		.amdhsa_next_free_sgpr 0
		.amdhsa_accum_offset 4
		.amdhsa_reserve_vcc 0
		.amdhsa_float_round_mode_32 0
		.amdhsa_float_round_mode_16_64 0
		.amdhsa_float_denorm_mode_32 3
		.amdhsa_float_denorm_mode_16_64 3
		.amdhsa_dx10_clamp 1
		.amdhsa_ieee_mode 1
		.amdhsa_fp16_overflow 0
		.amdhsa_tg_split 0
		.amdhsa_exception_fp_ieee_invalid_op 0
		.amdhsa_exception_fp_denorm_src 0
		.amdhsa_exception_fp_ieee_div_zero 0
		.amdhsa_exception_fp_ieee_overflow 0
		.amdhsa_exception_fp_ieee_underflow 0
		.amdhsa_exception_fp_ieee_inexact 0
		.amdhsa_exception_int_div_zero 0
	.end_amdhsa_kernel
	.section	.text._ZN7rocprim17ROCPRIM_400000_NS6detail17trampoline_kernelINS0_14default_configENS1_25partition_config_selectorILNS1_17partition_subalgoE5ElNS0_10empty_typeEbEEZZNS1_14partition_implILS5_5ELb0ES3_mN6hipcub16HIPCUB_304000_NS21CountingInputIteratorIllEEPS6_NSA_22TransformInputIteratorIb7NonZeroIdEPdlEENS0_5tupleIJPlS6_EEENSJ_IJSD_SD_EEES6_SK_JS6_EEE10hipError_tPvRmT3_T4_T5_T6_T7_T9_mT8_P12ihipStream_tbDpT10_ENKUlT_T0_E_clISt17integral_constantIbLb1EES16_EEDaS11_S12_EUlS11_E_NS1_11comp_targetILNS1_3genE5ELNS1_11target_archE942ELNS1_3gpuE9ELNS1_3repE0EEENS1_30default_config_static_selectorELNS0_4arch9wavefront6targetE1EEEvT1_,"axG",@progbits,_ZN7rocprim17ROCPRIM_400000_NS6detail17trampoline_kernelINS0_14default_configENS1_25partition_config_selectorILNS1_17partition_subalgoE5ElNS0_10empty_typeEbEEZZNS1_14partition_implILS5_5ELb0ES3_mN6hipcub16HIPCUB_304000_NS21CountingInputIteratorIllEEPS6_NSA_22TransformInputIteratorIb7NonZeroIdEPdlEENS0_5tupleIJPlS6_EEENSJ_IJSD_SD_EEES6_SK_JS6_EEE10hipError_tPvRmT3_T4_T5_T6_T7_T9_mT8_P12ihipStream_tbDpT10_ENKUlT_T0_E_clISt17integral_constantIbLb1EES16_EEDaS11_S12_EUlS11_E_NS1_11comp_targetILNS1_3genE5ELNS1_11target_archE942ELNS1_3gpuE9ELNS1_3repE0EEENS1_30default_config_static_selectorELNS0_4arch9wavefront6targetE1EEEvT1_,comdat
.Lfunc_end330:
	.size	_ZN7rocprim17ROCPRIM_400000_NS6detail17trampoline_kernelINS0_14default_configENS1_25partition_config_selectorILNS1_17partition_subalgoE5ElNS0_10empty_typeEbEEZZNS1_14partition_implILS5_5ELb0ES3_mN6hipcub16HIPCUB_304000_NS21CountingInputIteratorIllEEPS6_NSA_22TransformInputIteratorIb7NonZeroIdEPdlEENS0_5tupleIJPlS6_EEENSJ_IJSD_SD_EEES6_SK_JS6_EEE10hipError_tPvRmT3_T4_T5_T6_T7_T9_mT8_P12ihipStream_tbDpT10_ENKUlT_T0_E_clISt17integral_constantIbLb1EES16_EEDaS11_S12_EUlS11_E_NS1_11comp_targetILNS1_3genE5ELNS1_11target_archE942ELNS1_3gpuE9ELNS1_3repE0EEENS1_30default_config_static_selectorELNS0_4arch9wavefront6targetE1EEEvT1_, .Lfunc_end330-_ZN7rocprim17ROCPRIM_400000_NS6detail17trampoline_kernelINS0_14default_configENS1_25partition_config_selectorILNS1_17partition_subalgoE5ElNS0_10empty_typeEbEEZZNS1_14partition_implILS5_5ELb0ES3_mN6hipcub16HIPCUB_304000_NS21CountingInputIteratorIllEEPS6_NSA_22TransformInputIteratorIb7NonZeroIdEPdlEENS0_5tupleIJPlS6_EEENSJ_IJSD_SD_EEES6_SK_JS6_EEE10hipError_tPvRmT3_T4_T5_T6_T7_T9_mT8_P12ihipStream_tbDpT10_ENKUlT_T0_E_clISt17integral_constantIbLb1EES16_EEDaS11_S12_EUlS11_E_NS1_11comp_targetILNS1_3genE5ELNS1_11target_archE942ELNS1_3gpuE9ELNS1_3repE0EEENS1_30default_config_static_selectorELNS0_4arch9wavefront6targetE1EEEvT1_
                                        ; -- End function
	.set _ZN7rocprim17ROCPRIM_400000_NS6detail17trampoline_kernelINS0_14default_configENS1_25partition_config_selectorILNS1_17partition_subalgoE5ElNS0_10empty_typeEbEEZZNS1_14partition_implILS5_5ELb0ES3_mN6hipcub16HIPCUB_304000_NS21CountingInputIteratorIllEEPS6_NSA_22TransformInputIteratorIb7NonZeroIdEPdlEENS0_5tupleIJPlS6_EEENSJ_IJSD_SD_EEES6_SK_JS6_EEE10hipError_tPvRmT3_T4_T5_T6_T7_T9_mT8_P12ihipStream_tbDpT10_ENKUlT_T0_E_clISt17integral_constantIbLb1EES16_EEDaS11_S12_EUlS11_E_NS1_11comp_targetILNS1_3genE5ELNS1_11target_archE942ELNS1_3gpuE9ELNS1_3repE0EEENS1_30default_config_static_selectorELNS0_4arch9wavefront6targetE1EEEvT1_.num_vgpr, 0
	.set _ZN7rocprim17ROCPRIM_400000_NS6detail17trampoline_kernelINS0_14default_configENS1_25partition_config_selectorILNS1_17partition_subalgoE5ElNS0_10empty_typeEbEEZZNS1_14partition_implILS5_5ELb0ES3_mN6hipcub16HIPCUB_304000_NS21CountingInputIteratorIllEEPS6_NSA_22TransformInputIteratorIb7NonZeroIdEPdlEENS0_5tupleIJPlS6_EEENSJ_IJSD_SD_EEES6_SK_JS6_EEE10hipError_tPvRmT3_T4_T5_T6_T7_T9_mT8_P12ihipStream_tbDpT10_ENKUlT_T0_E_clISt17integral_constantIbLb1EES16_EEDaS11_S12_EUlS11_E_NS1_11comp_targetILNS1_3genE5ELNS1_11target_archE942ELNS1_3gpuE9ELNS1_3repE0EEENS1_30default_config_static_selectorELNS0_4arch9wavefront6targetE1EEEvT1_.num_agpr, 0
	.set _ZN7rocprim17ROCPRIM_400000_NS6detail17trampoline_kernelINS0_14default_configENS1_25partition_config_selectorILNS1_17partition_subalgoE5ElNS0_10empty_typeEbEEZZNS1_14partition_implILS5_5ELb0ES3_mN6hipcub16HIPCUB_304000_NS21CountingInputIteratorIllEEPS6_NSA_22TransformInputIteratorIb7NonZeroIdEPdlEENS0_5tupleIJPlS6_EEENSJ_IJSD_SD_EEES6_SK_JS6_EEE10hipError_tPvRmT3_T4_T5_T6_T7_T9_mT8_P12ihipStream_tbDpT10_ENKUlT_T0_E_clISt17integral_constantIbLb1EES16_EEDaS11_S12_EUlS11_E_NS1_11comp_targetILNS1_3genE5ELNS1_11target_archE942ELNS1_3gpuE9ELNS1_3repE0EEENS1_30default_config_static_selectorELNS0_4arch9wavefront6targetE1EEEvT1_.numbered_sgpr, 0
	.set _ZN7rocprim17ROCPRIM_400000_NS6detail17trampoline_kernelINS0_14default_configENS1_25partition_config_selectorILNS1_17partition_subalgoE5ElNS0_10empty_typeEbEEZZNS1_14partition_implILS5_5ELb0ES3_mN6hipcub16HIPCUB_304000_NS21CountingInputIteratorIllEEPS6_NSA_22TransformInputIteratorIb7NonZeroIdEPdlEENS0_5tupleIJPlS6_EEENSJ_IJSD_SD_EEES6_SK_JS6_EEE10hipError_tPvRmT3_T4_T5_T6_T7_T9_mT8_P12ihipStream_tbDpT10_ENKUlT_T0_E_clISt17integral_constantIbLb1EES16_EEDaS11_S12_EUlS11_E_NS1_11comp_targetILNS1_3genE5ELNS1_11target_archE942ELNS1_3gpuE9ELNS1_3repE0EEENS1_30default_config_static_selectorELNS0_4arch9wavefront6targetE1EEEvT1_.num_named_barrier, 0
	.set _ZN7rocprim17ROCPRIM_400000_NS6detail17trampoline_kernelINS0_14default_configENS1_25partition_config_selectorILNS1_17partition_subalgoE5ElNS0_10empty_typeEbEEZZNS1_14partition_implILS5_5ELb0ES3_mN6hipcub16HIPCUB_304000_NS21CountingInputIteratorIllEEPS6_NSA_22TransformInputIteratorIb7NonZeroIdEPdlEENS0_5tupleIJPlS6_EEENSJ_IJSD_SD_EEES6_SK_JS6_EEE10hipError_tPvRmT3_T4_T5_T6_T7_T9_mT8_P12ihipStream_tbDpT10_ENKUlT_T0_E_clISt17integral_constantIbLb1EES16_EEDaS11_S12_EUlS11_E_NS1_11comp_targetILNS1_3genE5ELNS1_11target_archE942ELNS1_3gpuE9ELNS1_3repE0EEENS1_30default_config_static_selectorELNS0_4arch9wavefront6targetE1EEEvT1_.private_seg_size, 0
	.set _ZN7rocprim17ROCPRIM_400000_NS6detail17trampoline_kernelINS0_14default_configENS1_25partition_config_selectorILNS1_17partition_subalgoE5ElNS0_10empty_typeEbEEZZNS1_14partition_implILS5_5ELb0ES3_mN6hipcub16HIPCUB_304000_NS21CountingInputIteratorIllEEPS6_NSA_22TransformInputIteratorIb7NonZeroIdEPdlEENS0_5tupleIJPlS6_EEENSJ_IJSD_SD_EEES6_SK_JS6_EEE10hipError_tPvRmT3_T4_T5_T6_T7_T9_mT8_P12ihipStream_tbDpT10_ENKUlT_T0_E_clISt17integral_constantIbLb1EES16_EEDaS11_S12_EUlS11_E_NS1_11comp_targetILNS1_3genE5ELNS1_11target_archE942ELNS1_3gpuE9ELNS1_3repE0EEENS1_30default_config_static_selectorELNS0_4arch9wavefront6targetE1EEEvT1_.uses_vcc, 0
	.set _ZN7rocprim17ROCPRIM_400000_NS6detail17trampoline_kernelINS0_14default_configENS1_25partition_config_selectorILNS1_17partition_subalgoE5ElNS0_10empty_typeEbEEZZNS1_14partition_implILS5_5ELb0ES3_mN6hipcub16HIPCUB_304000_NS21CountingInputIteratorIllEEPS6_NSA_22TransformInputIteratorIb7NonZeroIdEPdlEENS0_5tupleIJPlS6_EEENSJ_IJSD_SD_EEES6_SK_JS6_EEE10hipError_tPvRmT3_T4_T5_T6_T7_T9_mT8_P12ihipStream_tbDpT10_ENKUlT_T0_E_clISt17integral_constantIbLb1EES16_EEDaS11_S12_EUlS11_E_NS1_11comp_targetILNS1_3genE5ELNS1_11target_archE942ELNS1_3gpuE9ELNS1_3repE0EEENS1_30default_config_static_selectorELNS0_4arch9wavefront6targetE1EEEvT1_.uses_flat_scratch, 0
	.set _ZN7rocprim17ROCPRIM_400000_NS6detail17trampoline_kernelINS0_14default_configENS1_25partition_config_selectorILNS1_17partition_subalgoE5ElNS0_10empty_typeEbEEZZNS1_14partition_implILS5_5ELb0ES3_mN6hipcub16HIPCUB_304000_NS21CountingInputIteratorIllEEPS6_NSA_22TransformInputIteratorIb7NonZeroIdEPdlEENS0_5tupleIJPlS6_EEENSJ_IJSD_SD_EEES6_SK_JS6_EEE10hipError_tPvRmT3_T4_T5_T6_T7_T9_mT8_P12ihipStream_tbDpT10_ENKUlT_T0_E_clISt17integral_constantIbLb1EES16_EEDaS11_S12_EUlS11_E_NS1_11comp_targetILNS1_3genE5ELNS1_11target_archE942ELNS1_3gpuE9ELNS1_3repE0EEENS1_30default_config_static_selectorELNS0_4arch9wavefront6targetE1EEEvT1_.has_dyn_sized_stack, 0
	.set _ZN7rocprim17ROCPRIM_400000_NS6detail17trampoline_kernelINS0_14default_configENS1_25partition_config_selectorILNS1_17partition_subalgoE5ElNS0_10empty_typeEbEEZZNS1_14partition_implILS5_5ELb0ES3_mN6hipcub16HIPCUB_304000_NS21CountingInputIteratorIllEEPS6_NSA_22TransformInputIteratorIb7NonZeroIdEPdlEENS0_5tupleIJPlS6_EEENSJ_IJSD_SD_EEES6_SK_JS6_EEE10hipError_tPvRmT3_T4_T5_T6_T7_T9_mT8_P12ihipStream_tbDpT10_ENKUlT_T0_E_clISt17integral_constantIbLb1EES16_EEDaS11_S12_EUlS11_E_NS1_11comp_targetILNS1_3genE5ELNS1_11target_archE942ELNS1_3gpuE9ELNS1_3repE0EEENS1_30default_config_static_selectorELNS0_4arch9wavefront6targetE1EEEvT1_.has_recursion, 0
	.set _ZN7rocprim17ROCPRIM_400000_NS6detail17trampoline_kernelINS0_14default_configENS1_25partition_config_selectorILNS1_17partition_subalgoE5ElNS0_10empty_typeEbEEZZNS1_14partition_implILS5_5ELb0ES3_mN6hipcub16HIPCUB_304000_NS21CountingInputIteratorIllEEPS6_NSA_22TransformInputIteratorIb7NonZeroIdEPdlEENS0_5tupleIJPlS6_EEENSJ_IJSD_SD_EEES6_SK_JS6_EEE10hipError_tPvRmT3_T4_T5_T6_T7_T9_mT8_P12ihipStream_tbDpT10_ENKUlT_T0_E_clISt17integral_constantIbLb1EES16_EEDaS11_S12_EUlS11_E_NS1_11comp_targetILNS1_3genE5ELNS1_11target_archE942ELNS1_3gpuE9ELNS1_3repE0EEENS1_30default_config_static_selectorELNS0_4arch9wavefront6targetE1EEEvT1_.has_indirect_call, 0
	.section	.AMDGPU.csdata,"",@progbits
; Kernel info:
; codeLenInByte = 0
; TotalNumSgprs: 6
; NumVgprs: 0
; NumAgprs: 0
; TotalNumVgprs: 0
; ScratchSize: 0
; MemoryBound: 0
; FloatMode: 240
; IeeeMode: 1
; LDSByteSize: 0 bytes/workgroup (compile time only)
; SGPRBlocks: 0
; VGPRBlocks: 0
; NumSGPRsForWavesPerEU: 6
; NumVGPRsForWavesPerEU: 1
; AccumOffset: 4
; Occupancy: 8
; WaveLimiterHint : 0
; COMPUTE_PGM_RSRC2:SCRATCH_EN: 0
; COMPUTE_PGM_RSRC2:USER_SGPR: 2
; COMPUTE_PGM_RSRC2:TRAP_HANDLER: 0
; COMPUTE_PGM_RSRC2:TGID_X_EN: 1
; COMPUTE_PGM_RSRC2:TGID_Y_EN: 0
; COMPUTE_PGM_RSRC2:TGID_Z_EN: 0
; COMPUTE_PGM_RSRC2:TIDIG_COMP_CNT: 0
; COMPUTE_PGM_RSRC3_GFX90A:ACCUM_OFFSET: 0
; COMPUTE_PGM_RSRC3_GFX90A:TG_SPLIT: 0
	.section	.text._ZN7rocprim17ROCPRIM_400000_NS6detail17trampoline_kernelINS0_14default_configENS1_25partition_config_selectorILNS1_17partition_subalgoE5ElNS0_10empty_typeEbEEZZNS1_14partition_implILS5_5ELb0ES3_mN6hipcub16HIPCUB_304000_NS21CountingInputIteratorIllEEPS6_NSA_22TransformInputIteratorIb7NonZeroIdEPdlEENS0_5tupleIJPlS6_EEENSJ_IJSD_SD_EEES6_SK_JS6_EEE10hipError_tPvRmT3_T4_T5_T6_T7_T9_mT8_P12ihipStream_tbDpT10_ENKUlT_T0_E_clISt17integral_constantIbLb1EES16_EEDaS11_S12_EUlS11_E_NS1_11comp_targetILNS1_3genE4ELNS1_11target_archE910ELNS1_3gpuE8ELNS1_3repE0EEENS1_30default_config_static_selectorELNS0_4arch9wavefront6targetE1EEEvT1_,"axG",@progbits,_ZN7rocprim17ROCPRIM_400000_NS6detail17trampoline_kernelINS0_14default_configENS1_25partition_config_selectorILNS1_17partition_subalgoE5ElNS0_10empty_typeEbEEZZNS1_14partition_implILS5_5ELb0ES3_mN6hipcub16HIPCUB_304000_NS21CountingInputIteratorIllEEPS6_NSA_22TransformInputIteratorIb7NonZeroIdEPdlEENS0_5tupleIJPlS6_EEENSJ_IJSD_SD_EEES6_SK_JS6_EEE10hipError_tPvRmT3_T4_T5_T6_T7_T9_mT8_P12ihipStream_tbDpT10_ENKUlT_T0_E_clISt17integral_constantIbLb1EES16_EEDaS11_S12_EUlS11_E_NS1_11comp_targetILNS1_3genE4ELNS1_11target_archE910ELNS1_3gpuE8ELNS1_3repE0EEENS1_30default_config_static_selectorELNS0_4arch9wavefront6targetE1EEEvT1_,comdat
	.protected	_ZN7rocprim17ROCPRIM_400000_NS6detail17trampoline_kernelINS0_14default_configENS1_25partition_config_selectorILNS1_17partition_subalgoE5ElNS0_10empty_typeEbEEZZNS1_14partition_implILS5_5ELb0ES3_mN6hipcub16HIPCUB_304000_NS21CountingInputIteratorIllEEPS6_NSA_22TransformInputIteratorIb7NonZeroIdEPdlEENS0_5tupleIJPlS6_EEENSJ_IJSD_SD_EEES6_SK_JS6_EEE10hipError_tPvRmT3_T4_T5_T6_T7_T9_mT8_P12ihipStream_tbDpT10_ENKUlT_T0_E_clISt17integral_constantIbLb1EES16_EEDaS11_S12_EUlS11_E_NS1_11comp_targetILNS1_3genE4ELNS1_11target_archE910ELNS1_3gpuE8ELNS1_3repE0EEENS1_30default_config_static_selectorELNS0_4arch9wavefront6targetE1EEEvT1_ ; -- Begin function _ZN7rocprim17ROCPRIM_400000_NS6detail17trampoline_kernelINS0_14default_configENS1_25partition_config_selectorILNS1_17partition_subalgoE5ElNS0_10empty_typeEbEEZZNS1_14partition_implILS5_5ELb0ES3_mN6hipcub16HIPCUB_304000_NS21CountingInputIteratorIllEEPS6_NSA_22TransformInputIteratorIb7NonZeroIdEPdlEENS0_5tupleIJPlS6_EEENSJ_IJSD_SD_EEES6_SK_JS6_EEE10hipError_tPvRmT3_T4_T5_T6_T7_T9_mT8_P12ihipStream_tbDpT10_ENKUlT_T0_E_clISt17integral_constantIbLb1EES16_EEDaS11_S12_EUlS11_E_NS1_11comp_targetILNS1_3genE4ELNS1_11target_archE910ELNS1_3gpuE8ELNS1_3repE0EEENS1_30default_config_static_selectorELNS0_4arch9wavefront6targetE1EEEvT1_
	.globl	_ZN7rocprim17ROCPRIM_400000_NS6detail17trampoline_kernelINS0_14default_configENS1_25partition_config_selectorILNS1_17partition_subalgoE5ElNS0_10empty_typeEbEEZZNS1_14partition_implILS5_5ELb0ES3_mN6hipcub16HIPCUB_304000_NS21CountingInputIteratorIllEEPS6_NSA_22TransformInputIteratorIb7NonZeroIdEPdlEENS0_5tupleIJPlS6_EEENSJ_IJSD_SD_EEES6_SK_JS6_EEE10hipError_tPvRmT3_T4_T5_T6_T7_T9_mT8_P12ihipStream_tbDpT10_ENKUlT_T0_E_clISt17integral_constantIbLb1EES16_EEDaS11_S12_EUlS11_E_NS1_11comp_targetILNS1_3genE4ELNS1_11target_archE910ELNS1_3gpuE8ELNS1_3repE0EEENS1_30default_config_static_selectorELNS0_4arch9wavefront6targetE1EEEvT1_
	.p2align	8
	.type	_ZN7rocprim17ROCPRIM_400000_NS6detail17trampoline_kernelINS0_14default_configENS1_25partition_config_selectorILNS1_17partition_subalgoE5ElNS0_10empty_typeEbEEZZNS1_14partition_implILS5_5ELb0ES3_mN6hipcub16HIPCUB_304000_NS21CountingInputIteratorIllEEPS6_NSA_22TransformInputIteratorIb7NonZeroIdEPdlEENS0_5tupleIJPlS6_EEENSJ_IJSD_SD_EEES6_SK_JS6_EEE10hipError_tPvRmT3_T4_T5_T6_T7_T9_mT8_P12ihipStream_tbDpT10_ENKUlT_T0_E_clISt17integral_constantIbLb1EES16_EEDaS11_S12_EUlS11_E_NS1_11comp_targetILNS1_3genE4ELNS1_11target_archE910ELNS1_3gpuE8ELNS1_3repE0EEENS1_30default_config_static_selectorELNS0_4arch9wavefront6targetE1EEEvT1_,@function
_ZN7rocprim17ROCPRIM_400000_NS6detail17trampoline_kernelINS0_14default_configENS1_25partition_config_selectorILNS1_17partition_subalgoE5ElNS0_10empty_typeEbEEZZNS1_14partition_implILS5_5ELb0ES3_mN6hipcub16HIPCUB_304000_NS21CountingInputIteratorIllEEPS6_NSA_22TransformInputIteratorIb7NonZeroIdEPdlEENS0_5tupleIJPlS6_EEENSJ_IJSD_SD_EEES6_SK_JS6_EEE10hipError_tPvRmT3_T4_T5_T6_T7_T9_mT8_P12ihipStream_tbDpT10_ENKUlT_T0_E_clISt17integral_constantIbLb1EES16_EEDaS11_S12_EUlS11_E_NS1_11comp_targetILNS1_3genE4ELNS1_11target_archE910ELNS1_3gpuE8ELNS1_3repE0EEENS1_30default_config_static_selectorELNS0_4arch9wavefront6targetE1EEEvT1_: ; @_ZN7rocprim17ROCPRIM_400000_NS6detail17trampoline_kernelINS0_14default_configENS1_25partition_config_selectorILNS1_17partition_subalgoE5ElNS0_10empty_typeEbEEZZNS1_14partition_implILS5_5ELb0ES3_mN6hipcub16HIPCUB_304000_NS21CountingInputIteratorIllEEPS6_NSA_22TransformInputIteratorIb7NonZeroIdEPdlEENS0_5tupleIJPlS6_EEENSJ_IJSD_SD_EEES6_SK_JS6_EEE10hipError_tPvRmT3_T4_T5_T6_T7_T9_mT8_P12ihipStream_tbDpT10_ENKUlT_T0_E_clISt17integral_constantIbLb1EES16_EEDaS11_S12_EUlS11_E_NS1_11comp_targetILNS1_3genE4ELNS1_11target_archE910ELNS1_3gpuE8ELNS1_3repE0EEENS1_30default_config_static_selectorELNS0_4arch9wavefront6targetE1EEEvT1_
; %bb.0:
	.section	.rodata,"a",@progbits
	.p2align	6, 0x0
	.amdhsa_kernel _ZN7rocprim17ROCPRIM_400000_NS6detail17trampoline_kernelINS0_14default_configENS1_25partition_config_selectorILNS1_17partition_subalgoE5ElNS0_10empty_typeEbEEZZNS1_14partition_implILS5_5ELb0ES3_mN6hipcub16HIPCUB_304000_NS21CountingInputIteratorIllEEPS6_NSA_22TransformInputIteratorIb7NonZeroIdEPdlEENS0_5tupleIJPlS6_EEENSJ_IJSD_SD_EEES6_SK_JS6_EEE10hipError_tPvRmT3_T4_T5_T6_T7_T9_mT8_P12ihipStream_tbDpT10_ENKUlT_T0_E_clISt17integral_constantIbLb1EES16_EEDaS11_S12_EUlS11_E_NS1_11comp_targetILNS1_3genE4ELNS1_11target_archE910ELNS1_3gpuE8ELNS1_3repE0EEENS1_30default_config_static_selectorELNS0_4arch9wavefront6targetE1EEEvT1_
		.amdhsa_group_segment_fixed_size 0
		.amdhsa_private_segment_fixed_size 0
		.amdhsa_kernarg_size 136
		.amdhsa_user_sgpr_count 2
		.amdhsa_user_sgpr_dispatch_ptr 0
		.amdhsa_user_sgpr_queue_ptr 0
		.amdhsa_user_sgpr_kernarg_segment_ptr 1
		.amdhsa_user_sgpr_dispatch_id 0
		.amdhsa_user_sgpr_kernarg_preload_length 0
		.amdhsa_user_sgpr_kernarg_preload_offset 0
		.amdhsa_user_sgpr_private_segment_size 0
		.amdhsa_uses_dynamic_stack 0
		.amdhsa_enable_private_segment 0
		.amdhsa_system_sgpr_workgroup_id_x 1
		.amdhsa_system_sgpr_workgroup_id_y 0
		.amdhsa_system_sgpr_workgroup_id_z 0
		.amdhsa_system_sgpr_workgroup_info 0
		.amdhsa_system_vgpr_workitem_id 0
		.amdhsa_next_free_vgpr 1
		.amdhsa_next_free_sgpr 0
		.amdhsa_accum_offset 4
		.amdhsa_reserve_vcc 0
		.amdhsa_float_round_mode_32 0
		.amdhsa_float_round_mode_16_64 0
		.amdhsa_float_denorm_mode_32 3
		.amdhsa_float_denorm_mode_16_64 3
		.amdhsa_dx10_clamp 1
		.amdhsa_ieee_mode 1
		.amdhsa_fp16_overflow 0
		.amdhsa_tg_split 0
		.amdhsa_exception_fp_ieee_invalid_op 0
		.amdhsa_exception_fp_denorm_src 0
		.amdhsa_exception_fp_ieee_div_zero 0
		.amdhsa_exception_fp_ieee_overflow 0
		.amdhsa_exception_fp_ieee_underflow 0
		.amdhsa_exception_fp_ieee_inexact 0
		.amdhsa_exception_int_div_zero 0
	.end_amdhsa_kernel
	.section	.text._ZN7rocprim17ROCPRIM_400000_NS6detail17trampoline_kernelINS0_14default_configENS1_25partition_config_selectorILNS1_17partition_subalgoE5ElNS0_10empty_typeEbEEZZNS1_14partition_implILS5_5ELb0ES3_mN6hipcub16HIPCUB_304000_NS21CountingInputIteratorIllEEPS6_NSA_22TransformInputIteratorIb7NonZeroIdEPdlEENS0_5tupleIJPlS6_EEENSJ_IJSD_SD_EEES6_SK_JS6_EEE10hipError_tPvRmT3_T4_T5_T6_T7_T9_mT8_P12ihipStream_tbDpT10_ENKUlT_T0_E_clISt17integral_constantIbLb1EES16_EEDaS11_S12_EUlS11_E_NS1_11comp_targetILNS1_3genE4ELNS1_11target_archE910ELNS1_3gpuE8ELNS1_3repE0EEENS1_30default_config_static_selectorELNS0_4arch9wavefront6targetE1EEEvT1_,"axG",@progbits,_ZN7rocprim17ROCPRIM_400000_NS6detail17trampoline_kernelINS0_14default_configENS1_25partition_config_selectorILNS1_17partition_subalgoE5ElNS0_10empty_typeEbEEZZNS1_14partition_implILS5_5ELb0ES3_mN6hipcub16HIPCUB_304000_NS21CountingInputIteratorIllEEPS6_NSA_22TransformInputIteratorIb7NonZeroIdEPdlEENS0_5tupleIJPlS6_EEENSJ_IJSD_SD_EEES6_SK_JS6_EEE10hipError_tPvRmT3_T4_T5_T6_T7_T9_mT8_P12ihipStream_tbDpT10_ENKUlT_T0_E_clISt17integral_constantIbLb1EES16_EEDaS11_S12_EUlS11_E_NS1_11comp_targetILNS1_3genE4ELNS1_11target_archE910ELNS1_3gpuE8ELNS1_3repE0EEENS1_30default_config_static_selectorELNS0_4arch9wavefront6targetE1EEEvT1_,comdat
.Lfunc_end331:
	.size	_ZN7rocprim17ROCPRIM_400000_NS6detail17trampoline_kernelINS0_14default_configENS1_25partition_config_selectorILNS1_17partition_subalgoE5ElNS0_10empty_typeEbEEZZNS1_14partition_implILS5_5ELb0ES3_mN6hipcub16HIPCUB_304000_NS21CountingInputIteratorIllEEPS6_NSA_22TransformInputIteratorIb7NonZeroIdEPdlEENS0_5tupleIJPlS6_EEENSJ_IJSD_SD_EEES6_SK_JS6_EEE10hipError_tPvRmT3_T4_T5_T6_T7_T9_mT8_P12ihipStream_tbDpT10_ENKUlT_T0_E_clISt17integral_constantIbLb1EES16_EEDaS11_S12_EUlS11_E_NS1_11comp_targetILNS1_3genE4ELNS1_11target_archE910ELNS1_3gpuE8ELNS1_3repE0EEENS1_30default_config_static_selectorELNS0_4arch9wavefront6targetE1EEEvT1_, .Lfunc_end331-_ZN7rocprim17ROCPRIM_400000_NS6detail17trampoline_kernelINS0_14default_configENS1_25partition_config_selectorILNS1_17partition_subalgoE5ElNS0_10empty_typeEbEEZZNS1_14partition_implILS5_5ELb0ES3_mN6hipcub16HIPCUB_304000_NS21CountingInputIteratorIllEEPS6_NSA_22TransformInputIteratorIb7NonZeroIdEPdlEENS0_5tupleIJPlS6_EEENSJ_IJSD_SD_EEES6_SK_JS6_EEE10hipError_tPvRmT3_T4_T5_T6_T7_T9_mT8_P12ihipStream_tbDpT10_ENKUlT_T0_E_clISt17integral_constantIbLb1EES16_EEDaS11_S12_EUlS11_E_NS1_11comp_targetILNS1_3genE4ELNS1_11target_archE910ELNS1_3gpuE8ELNS1_3repE0EEENS1_30default_config_static_selectorELNS0_4arch9wavefront6targetE1EEEvT1_
                                        ; -- End function
	.set _ZN7rocprim17ROCPRIM_400000_NS6detail17trampoline_kernelINS0_14default_configENS1_25partition_config_selectorILNS1_17partition_subalgoE5ElNS0_10empty_typeEbEEZZNS1_14partition_implILS5_5ELb0ES3_mN6hipcub16HIPCUB_304000_NS21CountingInputIteratorIllEEPS6_NSA_22TransformInputIteratorIb7NonZeroIdEPdlEENS0_5tupleIJPlS6_EEENSJ_IJSD_SD_EEES6_SK_JS6_EEE10hipError_tPvRmT3_T4_T5_T6_T7_T9_mT8_P12ihipStream_tbDpT10_ENKUlT_T0_E_clISt17integral_constantIbLb1EES16_EEDaS11_S12_EUlS11_E_NS1_11comp_targetILNS1_3genE4ELNS1_11target_archE910ELNS1_3gpuE8ELNS1_3repE0EEENS1_30default_config_static_selectorELNS0_4arch9wavefront6targetE1EEEvT1_.num_vgpr, 0
	.set _ZN7rocprim17ROCPRIM_400000_NS6detail17trampoline_kernelINS0_14default_configENS1_25partition_config_selectorILNS1_17partition_subalgoE5ElNS0_10empty_typeEbEEZZNS1_14partition_implILS5_5ELb0ES3_mN6hipcub16HIPCUB_304000_NS21CountingInputIteratorIllEEPS6_NSA_22TransformInputIteratorIb7NonZeroIdEPdlEENS0_5tupleIJPlS6_EEENSJ_IJSD_SD_EEES6_SK_JS6_EEE10hipError_tPvRmT3_T4_T5_T6_T7_T9_mT8_P12ihipStream_tbDpT10_ENKUlT_T0_E_clISt17integral_constantIbLb1EES16_EEDaS11_S12_EUlS11_E_NS1_11comp_targetILNS1_3genE4ELNS1_11target_archE910ELNS1_3gpuE8ELNS1_3repE0EEENS1_30default_config_static_selectorELNS0_4arch9wavefront6targetE1EEEvT1_.num_agpr, 0
	.set _ZN7rocprim17ROCPRIM_400000_NS6detail17trampoline_kernelINS0_14default_configENS1_25partition_config_selectorILNS1_17partition_subalgoE5ElNS0_10empty_typeEbEEZZNS1_14partition_implILS5_5ELb0ES3_mN6hipcub16HIPCUB_304000_NS21CountingInputIteratorIllEEPS6_NSA_22TransformInputIteratorIb7NonZeroIdEPdlEENS0_5tupleIJPlS6_EEENSJ_IJSD_SD_EEES6_SK_JS6_EEE10hipError_tPvRmT3_T4_T5_T6_T7_T9_mT8_P12ihipStream_tbDpT10_ENKUlT_T0_E_clISt17integral_constantIbLb1EES16_EEDaS11_S12_EUlS11_E_NS1_11comp_targetILNS1_3genE4ELNS1_11target_archE910ELNS1_3gpuE8ELNS1_3repE0EEENS1_30default_config_static_selectorELNS0_4arch9wavefront6targetE1EEEvT1_.numbered_sgpr, 0
	.set _ZN7rocprim17ROCPRIM_400000_NS6detail17trampoline_kernelINS0_14default_configENS1_25partition_config_selectorILNS1_17partition_subalgoE5ElNS0_10empty_typeEbEEZZNS1_14partition_implILS5_5ELb0ES3_mN6hipcub16HIPCUB_304000_NS21CountingInputIteratorIllEEPS6_NSA_22TransformInputIteratorIb7NonZeroIdEPdlEENS0_5tupleIJPlS6_EEENSJ_IJSD_SD_EEES6_SK_JS6_EEE10hipError_tPvRmT3_T4_T5_T6_T7_T9_mT8_P12ihipStream_tbDpT10_ENKUlT_T0_E_clISt17integral_constantIbLb1EES16_EEDaS11_S12_EUlS11_E_NS1_11comp_targetILNS1_3genE4ELNS1_11target_archE910ELNS1_3gpuE8ELNS1_3repE0EEENS1_30default_config_static_selectorELNS0_4arch9wavefront6targetE1EEEvT1_.num_named_barrier, 0
	.set _ZN7rocprim17ROCPRIM_400000_NS6detail17trampoline_kernelINS0_14default_configENS1_25partition_config_selectorILNS1_17partition_subalgoE5ElNS0_10empty_typeEbEEZZNS1_14partition_implILS5_5ELb0ES3_mN6hipcub16HIPCUB_304000_NS21CountingInputIteratorIllEEPS6_NSA_22TransformInputIteratorIb7NonZeroIdEPdlEENS0_5tupleIJPlS6_EEENSJ_IJSD_SD_EEES6_SK_JS6_EEE10hipError_tPvRmT3_T4_T5_T6_T7_T9_mT8_P12ihipStream_tbDpT10_ENKUlT_T0_E_clISt17integral_constantIbLb1EES16_EEDaS11_S12_EUlS11_E_NS1_11comp_targetILNS1_3genE4ELNS1_11target_archE910ELNS1_3gpuE8ELNS1_3repE0EEENS1_30default_config_static_selectorELNS0_4arch9wavefront6targetE1EEEvT1_.private_seg_size, 0
	.set _ZN7rocprim17ROCPRIM_400000_NS6detail17trampoline_kernelINS0_14default_configENS1_25partition_config_selectorILNS1_17partition_subalgoE5ElNS0_10empty_typeEbEEZZNS1_14partition_implILS5_5ELb0ES3_mN6hipcub16HIPCUB_304000_NS21CountingInputIteratorIllEEPS6_NSA_22TransformInputIteratorIb7NonZeroIdEPdlEENS0_5tupleIJPlS6_EEENSJ_IJSD_SD_EEES6_SK_JS6_EEE10hipError_tPvRmT3_T4_T5_T6_T7_T9_mT8_P12ihipStream_tbDpT10_ENKUlT_T0_E_clISt17integral_constantIbLb1EES16_EEDaS11_S12_EUlS11_E_NS1_11comp_targetILNS1_3genE4ELNS1_11target_archE910ELNS1_3gpuE8ELNS1_3repE0EEENS1_30default_config_static_selectorELNS0_4arch9wavefront6targetE1EEEvT1_.uses_vcc, 0
	.set _ZN7rocprim17ROCPRIM_400000_NS6detail17trampoline_kernelINS0_14default_configENS1_25partition_config_selectorILNS1_17partition_subalgoE5ElNS0_10empty_typeEbEEZZNS1_14partition_implILS5_5ELb0ES3_mN6hipcub16HIPCUB_304000_NS21CountingInputIteratorIllEEPS6_NSA_22TransformInputIteratorIb7NonZeroIdEPdlEENS0_5tupleIJPlS6_EEENSJ_IJSD_SD_EEES6_SK_JS6_EEE10hipError_tPvRmT3_T4_T5_T6_T7_T9_mT8_P12ihipStream_tbDpT10_ENKUlT_T0_E_clISt17integral_constantIbLb1EES16_EEDaS11_S12_EUlS11_E_NS1_11comp_targetILNS1_3genE4ELNS1_11target_archE910ELNS1_3gpuE8ELNS1_3repE0EEENS1_30default_config_static_selectorELNS0_4arch9wavefront6targetE1EEEvT1_.uses_flat_scratch, 0
	.set _ZN7rocprim17ROCPRIM_400000_NS6detail17trampoline_kernelINS0_14default_configENS1_25partition_config_selectorILNS1_17partition_subalgoE5ElNS0_10empty_typeEbEEZZNS1_14partition_implILS5_5ELb0ES3_mN6hipcub16HIPCUB_304000_NS21CountingInputIteratorIllEEPS6_NSA_22TransformInputIteratorIb7NonZeroIdEPdlEENS0_5tupleIJPlS6_EEENSJ_IJSD_SD_EEES6_SK_JS6_EEE10hipError_tPvRmT3_T4_T5_T6_T7_T9_mT8_P12ihipStream_tbDpT10_ENKUlT_T0_E_clISt17integral_constantIbLb1EES16_EEDaS11_S12_EUlS11_E_NS1_11comp_targetILNS1_3genE4ELNS1_11target_archE910ELNS1_3gpuE8ELNS1_3repE0EEENS1_30default_config_static_selectorELNS0_4arch9wavefront6targetE1EEEvT1_.has_dyn_sized_stack, 0
	.set _ZN7rocprim17ROCPRIM_400000_NS6detail17trampoline_kernelINS0_14default_configENS1_25partition_config_selectorILNS1_17partition_subalgoE5ElNS0_10empty_typeEbEEZZNS1_14partition_implILS5_5ELb0ES3_mN6hipcub16HIPCUB_304000_NS21CountingInputIteratorIllEEPS6_NSA_22TransformInputIteratorIb7NonZeroIdEPdlEENS0_5tupleIJPlS6_EEENSJ_IJSD_SD_EEES6_SK_JS6_EEE10hipError_tPvRmT3_T4_T5_T6_T7_T9_mT8_P12ihipStream_tbDpT10_ENKUlT_T0_E_clISt17integral_constantIbLb1EES16_EEDaS11_S12_EUlS11_E_NS1_11comp_targetILNS1_3genE4ELNS1_11target_archE910ELNS1_3gpuE8ELNS1_3repE0EEENS1_30default_config_static_selectorELNS0_4arch9wavefront6targetE1EEEvT1_.has_recursion, 0
	.set _ZN7rocprim17ROCPRIM_400000_NS6detail17trampoline_kernelINS0_14default_configENS1_25partition_config_selectorILNS1_17partition_subalgoE5ElNS0_10empty_typeEbEEZZNS1_14partition_implILS5_5ELb0ES3_mN6hipcub16HIPCUB_304000_NS21CountingInputIteratorIllEEPS6_NSA_22TransformInputIteratorIb7NonZeroIdEPdlEENS0_5tupleIJPlS6_EEENSJ_IJSD_SD_EEES6_SK_JS6_EEE10hipError_tPvRmT3_T4_T5_T6_T7_T9_mT8_P12ihipStream_tbDpT10_ENKUlT_T0_E_clISt17integral_constantIbLb1EES16_EEDaS11_S12_EUlS11_E_NS1_11comp_targetILNS1_3genE4ELNS1_11target_archE910ELNS1_3gpuE8ELNS1_3repE0EEENS1_30default_config_static_selectorELNS0_4arch9wavefront6targetE1EEEvT1_.has_indirect_call, 0
	.section	.AMDGPU.csdata,"",@progbits
; Kernel info:
; codeLenInByte = 0
; TotalNumSgprs: 6
; NumVgprs: 0
; NumAgprs: 0
; TotalNumVgprs: 0
; ScratchSize: 0
; MemoryBound: 0
; FloatMode: 240
; IeeeMode: 1
; LDSByteSize: 0 bytes/workgroup (compile time only)
; SGPRBlocks: 0
; VGPRBlocks: 0
; NumSGPRsForWavesPerEU: 6
; NumVGPRsForWavesPerEU: 1
; AccumOffset: 4
; Occupancy: 8
; WaveLimiterHint : 0
; COMPUTE_PGM_RSRC2:SCRATCH_EN: 0
; COMPUTE_PGM_RSRC2:USER_SGPR: 2
; COMPUTE_PGM_RSRC2:TRAP_HANDLER: 0
; COMPUTE_PGM_RSRC2:TGID_X_EN: 1
; COMPUTE_PGM_RSRC2:TGID_Y_EN: 0
; COMPUTE_PGM_RSRC2:TGID_Z_EN: 0
; COMPUTE_PGM_RSRC2:TIDIG_COMP_CNT: 0
; COMPUTE_PGM_RSRC3_GFX90A:ACCUM_OFFSET: 0
; COMPUTE_PGM_RSRC3_GFX90A:TG_SPLIT: 0
	.section	.text._ZN7rocprim17ROCPRIM_400000_NS6detail17trampoline_kernelINS0_14default_configENS1_25partition_config_selectorILNS1_17partition_subalgoE5ElNS0_10empty_typeEbEEZZNS1_14partition_implILS5_5ELb0ES3_mN6hipcub16HIPCUB_304000_NS21CountingInputIteratorIllEEPS6_NSA_22TransformInputIteratorIb7NonZeroIdEPdlEENS0_5tupleIJPlS6_EEENSJ_IJSD_SD_EEES6_SK_JS6_EEE10hipError_tPvRmT3_T4_T5_T6_T7_T9_mT8_P12ihipStream_tbDpT10_ENKUlT_T0_E_clISt17integral_constantIbLb1EES16_EEDaS11_S12_EUlS11_E_NS1_11comp_targetILNS1_3genE3ELNS1_11target_archE908ELNS1_3gpuE7ELNS1_3repE0EEENS1_30default_config_static_selectorELNS0_4arch9wavefront6targetE1EEEvT1_,"axG",@progbits,_ZN7rocprim17ROCPRIM_400000_NS6detail17trampoline_kernelINS0_14default_configENS1_25partition_config_selectorILNS1_17partition_subalgoE5ElNS0_10empty_typeEbEEZZNS1_14partition_implILS5_5ELb0ES3_mN6hipcub16HIPCUB_304000_NS21CountingInputIteratorIllEEPS6_NSA_22TransformInputIteratorIb7NonZeroIdEPdlEENS0_5tupleIJPlS6_EEENSJ_IJSD_SD_EEES6_SK_JS6_EEE10hipError_tPvRmT3_T4_T5_T6_T7_T9_mT8_P12ihipStream_tbDpT10_ENKUlT_T0_E_clISt17integral_constantIbLb1EES16_EEDaS11_S12_EUlS11_E_NS1_11comp_targetILNS1_3genE3ELNS1_11target_archE908ELNS1_3gpuE7ELNS1_3repE0EEENS1_30default_config_static_selectorELNS0_4arch9wavefront6targetE1EEEvT1_,comdat
	.protected	_ZN7rocprim17ROCPRIM_400000_NS6detail17trampoline_kernelINS0_14default_configENS1_25partition_config_selectorILNS1_17partition_subalgoE5ElNS0_10empty_typeEbEEZZNS1_14partition_implILS5_5ELb0ES3_mN6hipcub16HIPCUB_304000_NS21CountingInputIteratorIllEEPS6_NSA_22TransformInputIteratorIb7NonZeroIdEPdlEENS0_5tupleIJPlS6_EEENSJ_IJSD_SD_EEES6_SK_JS6_EEE10hipError_tPvRmT3_T4_T5_T6_T7_T9_mT8_P12ihipStream_tbDpT10_ENKUlT_T0_E_clISt17integral_constantIbLb1EES16_EEDaS11_S12_EUlS11_E_NS1_11comp_targetILNS1_3genE3ELNS1_11target_archE908ELNS1_3gpuE7ELNS1_3repE0EEENS1_30default_config_static_selectorELNS0_4arch9wavefront6targetE1EEEvT1_ ; -- Begin function _ZN7rocprim17ROCPRIM_400000_NS6detail17trampoline_kernelINS0_14default_configENS1_25partition_config_selectorILNS1_17partition_subalgoE5ElNS0_10empty_typeEbEEZZNS1_14partition_implILS5_5ELb0ES3_mN6hipcub16HIPCUB_304000_NS21CountingInputIteratorIllEEPS6_NSA_22TransformInputIteratorIb7NonZeroIdEPdlEENS0_5tupleIJPlS6_EEENSJ_IJSD_SD_EEES6_SK_JS6_EEE10hipError_tPvRmT3_T4_T5_T6_T7_T9_mT8_P12ihipStream_tbDpT10_ENKUlT_T0_E_clISt17integral_constantIbLb1EES16_EEDaS11_S12_EUlS11_E_NS1_11comp_targetILNS1_3genE3ELNS1_11target_archE908ELNS1_3gpuE7ELNS1_3repE0EEENS1_30default_config_static_selectorELNS0_4arch9wavefront6targetE1EEEvT1_
	.globl	_ZN7rocprim17ROCPRIM_400000_NS6detail17trampoline_kernelINS0_14default_configENS1_25partition_config_selectorILNS1_17partition_subalgoE5ElNS0_10empty_typeEbEEZZNS1_14partition_implILS5_5ELb0ES3_mN6hipcub16HIPCUB_304000_NS21CountingInputIteratorIllEEPS6_NSA_22TransformInputIteratorIb7NonZeroIdEPdlEENS0_5tupleIJPlS6_EEENSJ_IJSD_SD_EEES6_SK_JS6_EEE10hipError_tPvRmT3_T4_T5_T6_T7_T9_mT8_P12ihipStream_tbDpT10_ENKUlT_T0_E_clISt17integral_constantIbLb1EES16_EEDaS11_S12_EUlS11_E_NS1_11comp_targetILNS1_3genE3ELNS1_11target_archE908ELNS1_3gpuE7ELNS1_3repE0EEENS1_30default_config_static_selectorELNS0_4arch9wavefront6targetE1EEEvT1_
	.p2align	8
	.type	_ZN7rocprim17ROCPRIM_400000_NS6detail17trampoline_kernelINS0_14default_configENS1_25partition_config_selectorILNS1_17partition_subalgoE5ElNS0_10empty_typeEbEEZZNS1_14partition_implILS5_5ELb0ES3_mN6hipcub16HIPCUB_304000_NS21CountingInputIteratorIllEEPS6_NSA_22TransformInputIteratorIb7NonZeroIdEPdlEENS0_5tupleIJPlS6_EEENSJ_IJSD_SD_EEES6_SK_JS6_EEE10hipError_tPvRmT3_T4_T5_T6_T7_T9_mT8_P12ihipStream_tbDpT10_ENKUlT_T0_E_clISt17integral_constantIbLb1EES16_EEDaS11_S12_EUlS11_E_NS1_11comp_targetILNS1_3genE3ELNS1_11target_archE908ELNS1_3gpuE7ELNS1_3repE0EEENS1_30default_config_static_selectorELNS0_4arch9wavefront6targetE1EEEvT1_,@function
_ZN7rocprim17ROCPRIM_400000_NS6detail17trampoline_kernelINS0_14default_configENS1_25partition_config_selectorILNS1_17partition_subalgoE5ElNS0_10empty_typeEbEEZZNS1_14partition_implILS5_5ELb0ES3_mN6hipcub16HIPCUB_304000_NS21CountingInputIteratorIllEEPS6_NSA_22TransformInputIteratorIb7NonZeroIdEPdlEENS0_5tupleIJPlS6_EEENSJ_IJSD_SD_EEES6_SK_JS6_EEE10hipError_tPvRmT3_T4_T5_T6_T7_T9_mT8_P12ihipStream_tbDpT10_ENKUlT_T0_E_clISt17integral_constantIbLb1EES16_EEDaS11_S12_EUlS11_E_NS1_11comp_targetILNS1_3genE3ELNS1_11target_archE908ELNS1_3gpuE7ELNS1_3repE0EEENS1_30default_config_static_selectorELNS0_4arch9wavefront6targetE1EEEvT1_: ; @_ZN7rocprim17ROCPRIM_400000_NS6detail17trampoline_kernelINS0_14default_configENS1_25partition_config_selectorILNS1_17partition_subalgoE5ElNS0_10empty_typeEbEEZZNS1_14partition_implILS5_5ELb0ES3_mN6hipcub16HIPCUB_304000_NS21CountingInputIteratorIllEEPS6_NSA_22TransformInputIteratorIb7NonZeroIdEPdlEENS0_5tupleIJPlS6_EEENSJ_IJSD_SD_EEES6_SK_JS6_EEE10hipError_tPvRmT3_T4_T5_T6_T7_T9_mT8_P12ihipStream_tbDpT10_ENKUlT_T0_E_clISt17integral_constantIbLb1EES16_EEDaS11_S12_EUlS11_E_NS1_11comp_targetILNS1_3genE3ELNS1_11target_archE908ELNS1_3gpuE7ELNS1_3repE0EEENS1_30default_config_static_selectorELNS0_4arch9wavefront6targetE1EEEvT1_
; %bb.0:
	.section	.rodata,"a",@progbits
	.p2align	6, 0x0
	.amdhsa_kernel _ZN7rocprim17ROCPRIM_400000_NS6detail17trampoline_kernelINS0_14default_configENS1_25partition_config_selectorILNS1_17partition_subalgoE5ElNS0_10empty_typeEbEEZZNS1_14partition_implILS5_5ELb0ES3_mN6hipcub16HIPCUB_304000_NS21CountingInputIteratorIllEEPS6_NSA_22TransformInputIteratorIb7NonZeroIdEPdlEENS0_5tupleIJPlS6_EEENSJ_IJSD_SD_EEES6_SK_JS6_EEE10hipError_tPvRmT3_T4_T5_T6_T7_T9_mT8_P12ihipStream_tbDpT10_ENKUlT_T0_E_clISt17integral_constantIbLb1EES16_EEDaS11_S12_EUlS11_E_NS1_11comp_targetILNS1_3genE3ELNS1_11target_archE908ELNS1_3gpuE7ELNS1_3repE0EEENS1_30default_config_static_selectorELNS0_4arch9wavefront6targetE1EEEvT1_
		.amdhsa_group_segment_fixed_size 0
		.amdhsa_private_segment_fixed_size 0
		.amdhsa_kernarg_size 136
		.amdhsa_user_sgpr_count 2
		.amdhsa_user_sgpr_dispatch_ptr 0
		.amdhsa_user_sgpr_queue_ptr 0
		.amdhsa_user_sgpr_kernarg_segment_ptr 1
		.amdhsa_user_sgpr_dispatch_id 0
		.amdhsa_user_sgpr_kernarg_preload_length 0
		.amdhsa_user_sgpr_kernarg_preload_offset 0
		.amdhsa_user_sgpr_private_segment_size 0
		.amdhsa_uses_dynamic_stack 0
		.amdhsa_enable_private_segment 0
		.amdhsa_system_sgpr_workgroup_id_x 1
		.amdhsa_system_sgpr_workgroup_id_y 0
		.amdhsa_system_sgpr_workgroup_id_z 0
		.amdhsa_system_sgpr_workgroup_info 0
		.amdhsa_system_vgpr_workitem_id 0
		.amdhsa_next_free_vgpr 1
		.amdhsa_next_free_sgpr 0
		.amdhsa_accum_offset 4
		.amdhsa_reserve_vcc 0
		.amdhsa_float_round_mode_32 0
		.amdhsa_float_round_mode_16_64 0
		.amdhsa_float_denorm_mode_32 3
		.amdhsa_float_denorm_mode_16_64 3
		.amdhsa_dx10_clamp 1
		.amdhsa_ieee_mode 1
		.amdhsa_fp16_overflow 0
		.amdhsa_tg_split 0
		.amdhsa_exception_fp_ieee_invalid_op 0
		.amdhsa_exception_fp_denorm_src 0
		.amdhsa_exception_fp_ieee_div_zero 0
		.amdhsa_exception_fp_ieee_overflow 0
		.amdhsa_exception_fp_ieee_underflow 0
		.amdhsa_exception_fp_ieee_inexact 0
		.amdhsa_exception_int_div_zero 0
	.end_amdhsa_kernel
	.section	.text._ZN7rocprim17ROCPRIM_400000_NS6detail17trampoline_kernelINS0_14default_configENS1_25partition_config_selectorILNS1_17partition_subalgoE5ElNS0_10empty_typeEbEEZZNS1_14partition_implILS5_5ELb0ES3_mN6hipcub16HIPCUB_304000_NS21CountingInputIteratorIllEEPS6_NSA_22TransformInputIteratorIb7NonZeroIdEPdlEENS0_5tupleIJPlS6_EEENSJ_IJSD_SD_EEES6_SK_JS6_EEE10hipError_tPvRmT3_T4_T5_T6_T7_T9_mT8_P12ihipStream_tbDpT10_ENKUlT_T0_E_clISt17integral_constantIbLb1EES16_EEDaS11_S12_EUlS11_E_NS1_11comp_targetILNS1_3genE3ELNS1_11target_archE908ELNS1_3gpuE7ELNS1_3repE0EEENS1_30default_config_static_selectorELNS0_4arch9wavefront6targetE1EEEvT1_,"axG",@progbits,_ZN7rocprim17ROCPRIM_400000_NS6detail17trampoline_kernelINS0_14default_configENS1_25partition_config_selectorILNS1_17partition_subalgoE5ElNS0_10empty_typeEbEEZZNS1_14partition_implILS5_5ELb0ES3_mN6hipcub16HIPCUB_304000_NS21CountingInputIteratorIllEEPS6_NSA_22TransformInputIteratorIb7NonZeroIdEPdlEENS0_5tupleIJPlS6_EEENSJ_IJSD_SD_EEES6_SK_JS6_EEE10hipError_tPvRmT3_T4_T5_T6_T7_T9_mT8_P12ihipStream_tbDpT10_ENKUlT_T0_E_clISt17integral_constantIbLb1EES16_EEDaS11_S12_EUlS11_E_NS1_11comp_targetILNS1_3genE3ELNS1_11target_archE908ELNS1_3gpuE7ELNS1_3repE0EEENS1_30default_config_static_selectorELNS0_4arch9wavefront6targetE1EEEvT1_,comdat
.Lfunc_end332:
	.size	_ZN7rocprim17ROCPRIM_400000_NS6detail17trampoline_kernelINS0_14default_configENS1_25partition_config_selectorILNS1_17partition_subalgoE5ElNS0_10empty_typeEbEEZZNS1_14partition_implILS5_5ELb0ES3_mN6hipcub16HIPCUB_304000_NS21CountingInputIteratorIllEEPS6_NSA_22TransformInputIteratorIb7NonZeroIdEPdlEENS0_5tupleIJPlS6_EEENSJ_IJSD_SD_EEES6_SK_JS6_EEE10hipError_tPvRmT3_T4_T5_T6_T7_T9_mT8_P12ihipStream_tbDpT10_ENKUlT_T0_E_clISt17integral_constantIbLb1EES16_EEDaS11_S12_EUlS11_E_NS1_11comp_targetILNS1_3genE3ELNS1_11target_archE908ELNS1_3gpuE7ELNS1_3repE0EEENS1_30default_config_static_selectorELNS0_4arch9wavefront6targetE1EEEvT1_, .Lfunc_end332-_ZN7rocprim17ROCPRIM_400000_NS6detail17trampoline_kernelINS0_14default_configENS1_25partition_config_selectorILNS1_17partition_subalgoE5ElNS0_10empty_typeEbEEZZNS1_14partition_implILS5_5ELb0ES3_mN6hipcub16HIPCUB_304000_NS21CountingInputIteratorIllEEPS6_NSA_22TransformInputIteratorIb7NonZeroIdEPdlEENS0_5tupleIJPlS6_EEENSJ_IJSD_SD_EEES6_SK_JS6_EEE10hipError_tPvRmT3_T4_T5_T6_T7_T9_mT8_P12ihipStream_tbDpT10_ENKUlT_T0_E_clISt17integral_constantIbLb1EES16_EEDaS11_S12_EUlS11_E_NS1_11comp_targetILNS1_3genE3ELNS1_11target_archE908ELNS1_3gpuE7ELNS1_3repE0EEENS1_30default_config_static_selectorELNS0_4arch9wavefront6targetE1EEEvT1_
                                        ; -- End function
	.set _ZN7rocprim17ROCPRIM_400000_NS6detail17trampoline_kernelINS0_14default_configENS1_25partition_config_selectorILNS1_17partition_subalgoE5ElNS0_10empty_typeEbEEZZNS1_14partition_implILS5_5ELb0ES3_mN6hipcub16HIPCUB_304000_NS21CountingInputIteratorIllEEPS6_NSA_22TransformInputIteratorIb7NonZeroIdEPdlEENS0_5tupleIJPlS6_EEENSJ_IJSD_SD_EEES6_SK_JS6_EEE10hipError_tPvRmT3_T4_T5_T6_T7_T9_mT8_P12ihipStream_tbDpT10_ENKUlT_T0_E_clISt17integral_constantIbLb1EES16_EEDaS11_S12_EUlS11_E_NS1_11comp_targetILNS1_3genE3ELNS1_11target_archE908ELNS1_3gpuE7ELNS1_3repE0EEENS1_30default_config_static_selectorELNS0_4arch9wavefront6targetE1EEEvT1_.num_vgpr, 0
	.set _ZN7rocprim17ROCPRIM_400000_NS6detail17trampoline_kernelINS0_14default_configENS1_25partition_config_selectorILNS1_17partition_subalgoE5ElNS0_10empty_typeEbEEZZNS1_14partition_implILS5_5ELb0ES3_mN6hipcub16HIPCUB_304000_NS21CountingInputIteratorIllEEPS6_NSA_22TransformInputIteratorIb7NonZeroIdEPdlEENS0_5tupleIJPlS6_EEENSJ_IJSD_SD_EEES6_SK_JS6_EEE10hipError_tPvRmT3_T4_T5_T6_T7_T9_mT8_P12ihipStream_tbDpT10_ENKUlT_T0_E_clISt17integral_constantIbLb1EES16_EEDaS11_S12_EUlS11_E_NS1_11comp_targetILNS1_3genE3ELNS1_11target_archE908ELNS1_3gpuE7ELNS1_3repE0EEENS1_30default_config_static_selectorELNS0_4arch9wavefront6targetE1EEEvT1_.num_agpr, 0
	.set _ZN7rocprim17ROCPRIM_400000_NS6detail17trampoline_kernelINS0_14default_configENS1_25partition_config_selectorILNS1_17partition_subalgoE5ElNS0_10empty_typeEbEEZZNS1_14partition_implILS5_5ELb0ES3_mN6hipcub16HIPCUB_304000_NS21CountingInputIteratorIllEEPS6_NSA_22TransformInputIteratorIb7NonZeroIdEPdlEENS0_5tupleIJPlS6_EEENSJ_IJSD_SD_EEES6_SK_JS6_EEE10hipError_tPvRmT3_T4_T5_T6_T7_T9_mT8_P12ihipStream_tbDpT10_ENKUlT_T0_E_clISt17integral_constantIbLb1EES16_EEDaS11_S12_EUlS11_E_NS1_11comp_targetILNS1_3genE3ELNS1_11target_archE908ELNS1_3gpuE7ELNS1_3repE0EEENS1_30default_config_static_selectorELNS0_4arch9wavefront6targetE1EEEvT1_.numbered_sgpr, 0
	.set _ZN7rocprim17ROCPRIM_400000_NS6detail17trampoline_kernelINS0_14default_configENS1_25partition_config_selectorILNS1_17partition_subalgoE5ElNS0_10empty_typeEbEEZZNS1_14partition_implILS5_5ELb0ES3_mN6hipcub16HIPCUB_304000_NS21CountingInputIteratorIllEEPS6_NSA_22TransformInputIteratorIb7NonZeroIdEPdlEENS0_5tupleIJPlS6_EEENSJ_IJSD_SD_EEES6_SK_JS6_EEE10hipError_tPvRmT3_T4_T5_T6_T7_T9_mT8_P12ihipStream_tbDpT10_ENKUlT_T0_E_clISt17integral_constantIbLb1EES16_EEDaS11_S12_EUlS11_E_NS1_11comp_targetILNS1_3genE3ELNS1_11target_archE908ELNS1_3gpuE7ELNS1_3repE0EEENS1_30default_config_static_selectorELNS0_4arch9wavefront6targetE1EEEvT1_.num_named_barrier, 0
	.set _ZN7rocprim17ROCPRIM_400000_NS6detail17trampoline_kernelINS0_14default_configENS1_25partition_config_selectorILNS1_17partition_subalgoE5ElNS0_10empty_typeEbEEZZNS1_14partition_implILS5_5ELb0ES3_mN6hipcub16HIPCUB_304000_NS21CountingInputIteratorIllEEPS6_NSA_22TransformInputIteratorIb7NonZeroIdEPdlEENS0_5tupleIJPlS6_EEENSJ_IJSD_SD_EEES6_SK_JS6_EEE10hipError_tPvRmT3_T4_T5_T6_T7_T9_mT8_P12ihipStream_tbDpT10_ENKUlT_T0_E_clISt17integral_constantIbLb1EES16_EEDaS11_S12_EUlS11_E_NS1_11comp_targetILNS1_3genE3ELNS1_11target_archE908ELNS1_3gpuE7ELNS1_3repE0EEENS1_30default_config_static_selectorELNS0_4arch9wavefront6targetE1EEEvT1_.private_seg_size, 0
	.set _ZN7rocprim17ROCPRIM_400000_NS6detail17trampoline_kernelINS0_14default_configENS1_25partition_config_selectorILNS1_17partition_subalgoE5ElNS0_10empty_typeEbEEZZNS1_14partition_implILS5_5ELb0ES3_mN6hipcub16HIPCUB_304000_NS21CountingInputIteratorIllEEPS6_NSA_22TransformInputIteratorIb7NonZeroIdEPdlEENS0_5tupleIJPlS6_EEENSJ_IJSD_SD_EEES6_SK_JS6_EEE10hipError_tPvRmT3_T4_T5_T6_T7_T9_mT8_P12ihipStream_tbDpT10_ENKUlT_T0_E_clISt17integral_constantIbLb1EES16_EEDaS11_S12_EUlS11_E_NS1_11comp_targetILNS1_3genE3ELNS1_11target_archE908ELNS1_3gpuE7ELNS1_3repE0EEENS1_30default_config_static_selectorELNS0_4arch9wavefront6targetE1EEEvT1_.uses_vcc, 0
	.set _ZN7rocprim17ROCPRIM_400000_NS6detail17trampoline_kernelINS0_14default_configENS1_25partition_config_selectorILNS1_17partition_subalgoE5ElNS0_10empty_typeEbEEZZNS1_14partition_implILS5_5ELb0ES3_mN6hipcub16HIPCUB_304000_NS21CountingInputIteratorIllEEPS6_NSA_22TransformInputIteratorIb7NonZeroIdEPdlEENS0_5tupleIJPlS6_EEENSJ_IJSD_SD_EEES6_SK_JS6_EEE10hipError_tPvRmT3_T4_T5_T6_T7_T9_mT8_P12ihipStream_tbDpT10_ENKUlT_T0_E_clISt17integral_constantIbLb1EES16_EEDaS11_S12_EUlS11_E_NS1_11comp_targetILNS1_3genE3ELNS1_11target_archE908ELNS1_3gpuE7ELNS1_3repE0EEENS1_30default_config_static_selectorELNS0_4arch9wavefront6targetE1EEEvT1_.uses_flat_scratch, 0
	.set _ZN7rocprim17ROCPRIM_400000_NS6detail17trampoline_kernelINS0_14default_configENS1_25partition_config_selectorILNS1_17partition_subalgoE5ElNS0_10empty_typeEbEEZZNS1_14partition_implILS5_5ELb0ES3_mN6hipcub16HIPCUB_304000_NS21CountingInputIteratorIllEEPS6_NSA_22TransformInputIteratorIb7NonZeroIdEPdlEENS0_5tupleIJPlS6_EEENSJ_IJSD_SD_EEES6_SK_JS6_EEE10hipError_tPvRmT3_T4_T5_T6_T7_T9_mT8_P12ihipStream_tbDpT10_ENKUlT_T0_E_clISt17integral_constantIbLb1EES16_EEDaS11_S12_EUlS11_E_NS1_11comp_targetILNS1_3genE3ELNS1_11target_archE908ELNS1_3gpuE7ELNS1_3repE0EEENS1_30default_config_static_selectorELNS0_4arch9wavefront6targetE1EEEvT1_.has_dyn_sized_stack, 0
	.set _ZN7rocprim17ROCPRIM_400000_NS6detail17trampoline_kernelINS0_14default_configENS1_25partition_config_selectorILNS1_17partition_subalgoE5ElNS0_10empty_typeEbEEZZNS1_14partition_implILS5_5ELb0ES3_mN6hipcub16HIPCUB_304000_NS21CountingInputIteratorIllEEPS6_NSA_22TransformInputIteratorIb7NonZeroIdEPdlEENS0_5tupleIJPlS6_EEENSJ_IJSD_SD_EEES6_SK_JS6_EEE10hipError_tPvRmT3_T4_T5_T6_T7_T9_mT8_P12ihipStream_tbDpT10_ENKUlT_T0_E_clISt17integral_constantIbLb1EES16_EEDaS11_S12_EUlS11_E_NS1_11comp_targetILNS1_3genE3ELNS1_11target_archE908ELNS1_3gpuE7ELNS1_3repE0EEENS1_30default_config_static_selectorELNS0_4arch9wavefront6targetE1EEEvT1_.has_recursion, 0
	.set _ZN7rocprim17ROCPRIM_400000_NS6detail17trampoline_kernelINS0_14default_configENS1_25partition_config_selectorILNS1_17partition_subalgoE5ElNS0_10empty_typeEbEEZZNS1_14partition_implILS5_5ELb0ES3_mN6hipcub16HIPCUB_304000_NS21CountingInputIteratorIllEEPS6_NSA_22TransformInputIteratorIb7NonZeroIdEPdlEENS0_5tupleIJPlS6_EEENSJ_IJSD_SD_EEES6_SK_JS6_EEE10hipError_tPvRmT3_T4_T5_T6_T7_T9_mT8_P12ihipStream_tbDpT10_ENKUlT_T0_E_clISt17integral_constantIbLb1EES16_EEDaS11_S12_EUlS11_E_NS1_11comp_targetILNS1_3genE3ELNS1_11target_archE908ELNS1_3gpuE7ELNS1_3repE0EEENS1_30default_config_static_selectorELNS0_4arch9wavefront6targetE1EEEvT1_.has_indirect_call, 0
	.section	.AMDGPU.csdata,"",@progbits
; Kernel info:
; codeLenInByte = 0
; TotalNumSgprs: 6
; NumVgprs: 0
; NumAgprs: 0
; TotalNumVgprs: 0
; ScratchSize: 0
; MemoryBound: 0
; FloatMode: 240
; IeeeMode: 1
; LDSByteSize: 0 bytes/workgroup (compile time only)
; SGPRBlocks: 0
; VGPRBlocks: 0
; NumSGPRsForWavesPerEU: 6
; NumVGPRsForWavesPerEU: 1
; AccumOffset: 4
; Occupancy: 8
; WaveLimiterHint : 0
; COMPUTE_PGM_RSRC2:SCRATCH_EN: 0
; COMPUTE_PGM_RSRC2:USER_SGPR: 2
; COMPUTE_PGM_RSRC2:TRAP_HANDLER: 0
; COMPUTE_PGM_RSRC2:TGID_X_EN: 1
; COMPUTE_PGM_RSRC2:TGID_Y_EN: 0
; COMPUTE_PGM_RSRC2:TGID_Z_EN: 0
; COMPUTE_PGM_RSRC2:TIDIG_COMP_CNT: 0
; COMPUTE_PGM_RSRC3_GFX90A:ACCUM_OFFSET: 0
; COMPUTE_PGM_RSRC3_GFX90A:TG_SPLIT: 0
	.section	.text._ZN7rocprim17ROCPRIM_400000_NS6detail17trampoline_kernelINS0_14default_configENS1_25partition_config_selectorILNS1_17partition_subalgoE5ElNS0_10empty_typeEbEEZZNS1_14partition_implILS5_5ELb0ES3_mN6hipcub16HIPCUB_304000_NS21CountingInputIteratorIllEEPS6_NSA_22TransformInputIteratorIb7NonZeroIdEPdlEENS0_5tupleIJPlS6_EEENSJ_IJSD_SD_EEES6_SK_JS6_EEE10hipError_tPvRmT3_T4_T5_T6_T7_T9_mT8_P12ihipStream_tbDpT10_ENKUlT_T0_E_clISt17integral_constantIbLb1EES16_EEDaS11_S12_EUlS11_E_NS1_11comp_targetILNS1_3genE2ELNS1_11target_archE906ELNS1_3gpuE6ELNS1_3repE0EEENS1_30default_config_static_selectorELNS0_4arch9wavefront6targetE1EEEvT1_,"axG",@progbits,_ZN7rocprim17ROCPRIM_400000_NS6detail17trampoline_kernelINS0_14default_configENS1_25partition_config_selectorILNS1_17partition_subalgoE5ElNS0_10empty_typeEbEEZZNS1_14partition_implILS5_5ELb0ES3_mN6hipcub16HIPCUB_304000_NS21CountingInputIteratorIllEEPS6_NSA_22TransformInputIteratorIb7NonZeroIdEPdlEENS0_5tupleIJPlS6_EEENSJ_IJSD_SD_EEES6_SK_JS6_EEE10hipError_tPvRmT3_T4_T5_T6_T7_T9_mT8_P12ihipStream_tbDpT10_ENKUlT_T0_E_clISt17integral_constantIbLb1EES16_EEDaS11_S12_EUlS11_E_NS1_11comp_targetILNS1_3genE2ELNS1_11target_archE906ELNS1_3gpuE6ELNS1_3repE0EEENS1_30default_config_static_selectorELNS0_4arch9wavefront6targetE1EEEvT1_,comdat
	.protected	_ZN7rocprim17ROCPRIM_400000_NS6detail17trampoline_kernelINS0_14default_configENS1_25partition_config_selectorILNS1_17partition_subalgoE5ElNS0_10empty_typeEbEEZZNS1_14partition_implILS5_5ELb0ES3_mN6hipcub16HIPCUB_304000_NS21CountingInputIteratorIllEEPS6_NSA_22TransformInputIteratorIb7NonZeroIdEPdlEENS0_5tupleIJPlS6_EEENSJ_IJSD_SD_EEES6_SK_JS6_EEE10hipError_tPvRmT3_T4_T5_T6_T7_T9_mT8_P12ihipStream_tbDpT10_ENKUlT_T0_E_clISt17integral_constantIbLb1EES16_EEDaS11_S12_EUlS11_E_NS1_11comp_targetILNS1_3genE2ELNS1_11target_archE906ELNS1_3gpuE6ELNS1_3repE0EEENS1_30default_config_static_selectorELNS0_4arch9wavefront6targetE1EEEvT1_ ; -- Begin function _ZN7rocprim17ROCPRIM_400000_NS6detail17trampoline_kernelINS0_14default_configENS1_25partition_config_selectorILNS1_17partition_subalgoE5ElNS0_10empty_typeEbEEZZNS1_14partition_implILS5_5ELb0ES3_mN6hipcub16HIPCUB_304000_NS21CountingInputIteratorIllEEPS6_NSA_22TransformInputIteratorIb7NonZeroIdEPdlEENS0_5tupleIJPlS6_EEENSJ_IJSD_SD_EEES6_SK_JS6_EEE10hipError_tPvRmT3_T4_T5_T6_T7_T9_mT8_P12ihipStream_tbDpT10_ENKUlT_T0_E_clISt17integral_constantIbLb1EES16_EEDaS11_S12_EUlS11_E_NS1_11comp_targetILNS1_3genE2ELNS1_11target_archE906ELNS1_3gpuE6ELNS1_3repE0EEENS1_30default_config_static_selectorELNS0_4arch9wavefront6targetE1EEEvT1_
	.globl	_ZN7rocprim17ROCPRIM_400000_NS6detail17trampoline_kernelINS0_14default_configENS1_25partition_config_selectorILNS1_17partition_subalgoE5ElNS0_10empty_typeEbEEZZNS1_14partition_implILS5_5ELb0ES3_mN6hipcub16HIPCUB_304000_NS21CountingInputIteratorIllEEPS6_NSA_22TransformInputIteratorIb7NonZeroIdEPdlEENS0_5tupleIJPlS6_EEENSJ_IJSD_SD_EEES6_SK_JS6_EEE10hipError_tPvRmT3_T4_T5_T6_T7_T9_mT8_P12ihipStream_tbDpT10_ENKUlT_T0_E_clISt17integral_constantIbLb1EES16_EEDaS11_S12_EUlS11_E_NS1_11comp_targetILNS1_3genE2ELNS1_11target_archE906ELNS1_3gpuE6ELNS1_3repE0EEENS1_30default_config_static_selectorELNS0_4arch9wavefront6targetE1EEEvT1_
	.p2align	8
	.type	_ZN7rocprim17ROCPRIM_400000_NS6detail17trampoline_kernelINS0_14default_configENS1_25partition_config_selectorILNS1_17partition_subalgoE5ElNS0_10empty_typeEbEEZZNS1_14partition_implILS5_5ELb0ES3_mN6hipcub16HIPCUB_304000_NS21CountingInputIteratorIllEEPS6_NSA_22TransformInputIteratorIb7NonZeroIdEPdlEENS0_5tupleIJPlS6_EEENSJ_IJSD_SD_EEES6_SK_JS6_EEE10hipError_tPvRmT3_T4_T5_T6_T7_T9_mT8_P12ihipStream_tbDpT10_ENKUlT_T0_E_clISt17integral_constantIbLb1EES16_EEDaS11_S12_EUlS11_E_NS1_11comp_targetILNS1_3genE2ELNS1_11target_archE906ELNS1_3gpuE6ELNS1_3repE0EEENS1_30default_config_static_selectorELNS0_4arch9wavefront6targetE1EEEvT1_,@function
_ZN7rocprim17ROCPRIM_400000_NS6detail17trampoline_kernelINS0_14default_configENS1_25partition_config_selectorILNS1_17partition_subalgoE5ElNS0_10empty_typeEbEEZZNS1_14partition_implILS5_5ELb0ES3_mN6hipcub16HIPCUB_304000_NS21CountingInputIteratorIllEEPS6_NSA_22TransformInputIteratorIb7NonZeroIdEPdlEENS0_5tupleIJPlS6_EEENSJ_IJSD_SD_EEES6_SK_JS6_EEE10hipError_tPvRmT3_T4_T5_T6_T7_T9_mT8_P12ihipStream_tbDpT10_ENKUlT_T0_E_clISt17integral_constantIbLb1EES16_EEDaS11_S12_EUlS11_E_NS1_11comp_targetILNS1_3genE2ELNS1_11target_archE906ELNS1_3gpuE6ELNS1_3repE0EEENS1_30default_config_static_selectorELNS0_4arch9wavefront6targetE1EEEvT1_: ; @_ZN7rocprim17ROCPRIM_400000_NS6detail17trampoline_kernelINS0_14default_configENS1_25partition_config_selectorILNS1_17partition_subalgoE5ElNS0_10empty_typeEbEEZZNS1_14partition_implILS5_5ELb0ES3_mN6hipcub16HIPCUB_304000_NS21CountingInputIteratorIllEEPS6_NSA_22TransformInputIteratorIb7NonZeroIdEPdlEENS0_5tupleIJPlS6_EEENSJ_IJSD_SD_EEES6_SK_JS6_EEE10hipError_tPvRmT3_T4_T5_T6_T7_T9_mT8_P12ihipStream_tbDpT10_ENKUlT_T0_E_clISt17integral_constantIbLb1EES16_EEDaS11_S12_EUlS11_E_NS1_11comp_targetILNS1_3genE2ELNS1_11target_archE906ELNS1_3gpuE6ELNS1_3repE0EEENS1_30default_config_static_selectorELNS0_4arch9wavefront6targetE1EEEvT1_
; %bb.0:
	.section	.rodata,"a",@progbits
	.p2align	6, 0x0
	.amdhsa_kernel _ZN7rocprim17ROCPRIM_400000_NS6detail17trampoline_kernelINS0_14default_configENS1_25partition_config_selectorILNS1_17partition_subalgoE5ElNS0_10empty_typeEbEEZZNS1_14partition_implILS5_5ELb0ES3_mN6hipcub16HIPCUB_304000_NS21CountingInputIteratorIllEEPS6_NSA_22TransformInputIteratorIb7NonZeroIdEPdlEENS0_5tupleIJPlS6_EEENSJ_IJSD_SD_EEES6_SK_JS6_EEE10hipError_tPvRmT3_T4_T5_T6_T7_T9_mT8_P12ihipStream_tbDpT10_ENKUlT_T0_E_clISt17integral_constantIbLb1EES16_EEDaS11_S12_EUlS11_E_NS1_11comp_targetILNS1_3genE2ELNS1_11target_archE906ELNS1_3gpuE6ELNS1_3repE0EEENS1_30default_config_static_selectorELNS0_4arch9wavefront6targetE1EEEvT1_
		.amdhsa_group_segment_fixed_size 0
		.amdhsa_private_segment_fixed_size 0
		.amdhsa_kernarg_size 136
		.amdhsa_user_sgpr_count 2
		.amdhsa_user_sgpr_dispatch_ptr 0
		.amdhsa_user_sgpr_queue_ptr 0
		.amdhsa_user_sgpr_kernarg_segment_ptr 1
		.amdhsa_user_sgpr_dispatch_id 0
		.amdhsa_user_sgpr_kernarg_preload_length 0
		.amdhsa_user_sgpr_kernarg_preload_offset 0
		.amdhsa_user_sgpr_private_segment_size 0
		.amdhsa_uses_dynamic_stack 0
		.amdhsa_enable_private_segment 0
		.amdhsa_system_sgpr_workgroup_id_x 1
		.amdhsa_system_sgpr_workgroup_id_y 0
		.amdhsa_system_sgpr_workgroup_id_z 0
		.amdhsa_system_sgpr_workgroup_info 0
		.amdhsa_system_vgpr_workitem_id 0
		.amdhsa_next_free_vgpr 1
		.amdhsa_next_free_sgpr 0
		.amdhsa_accum_offset 4
		.amdhsa_reserve_vcc 0
		.amdhsa_float_round_mode_32 0
		.amdhsa_float_round_mode_16_64 0
		.amdhsa_float_denorm_mode_32 3
		.amdhsa_float_denorm_mode_16_64 3
		.amdhsa_dx10_clamp 1
		.amdhsa_ieee_mode 1
		.amdhsa_fp16_overflow 0
		.amdhsa_tg_split 0
		.amdhsa_exception_fp_ieee_invalid_op 0
		.amdhsa_exception_fp_denorm_src 0
		.amdhsa_exception_fp_ieee_div_zero 0
		.amdhsa_exception_fp_ieee_overflow 0
		.amdhsa_exception_fp_ieee_underflow 0
		.amdhsa_exception_fp_ieee_inexact 0
		.amdhsa_exception_int_div_zero 0
	.end_amdhsa_kernel
	.section	.text._ZN7rocprim17ROCPRIM_400000_NS6detail17trampoline_kernelINS0_14default_configENS1_25partition_config_selectorILNS1_17partition_subalgoE5ElNS0_10empty_typeEbEEZZNS1_14partition_implILS5_5ELb0ES3_mN6hipcub16HIPCUB_304000_NS21CountingInputIteratorIllEEPS6_NSA_22TransformInputIteratorIb7NonZeroIdEPdlEENS0_5tupleIJPlS6_EEENSJ_IJSD_SD_EEES6_SK_JS6_EEE10hipError_tPvRmT3_T4_T5_T6_T7_T9_mT8_P12ihipStream_tbDpT10_ENKUlT_T0_E_clISt17integral_constantIbLb1EES16_EEDaS11_S12_EUlS11_E_NS1_11comp_targetILNS1_3genE2ELNS1_11target_archE906ELNS1_3gpuE6ELNS1_3repE0EEENS1_30default_config_static_selectorELNS0_4arch9wavefront6targetE1EEEvT1_,"axG",@progbits,_ZN7rocprim17ROCPRIM_400000_NS6detail17trampoline_kernelINS0_14default_configENS1_25partition_config_selectorILNS1_17partition_subalgoE5ElNS0_10empty_typeEbEEZZNS1_14partition_implILS5_5ELb0ES3_mN6hipcub16HIPCUB_304000_NS21CountingInputIteratorIllEEPS6_NSA_22TransformInputIteratorIb7NonZeroIdEPdlEENS0_5tupleIJPlS6_EEENSJ_IJSD_SD_EEES6_SK_JS6_EEE10hipError_tPvRmT3_T4_T5_T6_T7_T9_mT8_P12ihipStream_tbDpT10_ENKUlT_T0_E_clISt17integral_constantIbLb1EES16_EEDaS11_S12_EUlS11_E_NS1_11comp_targetILNS1_3genE2ELNS1_11target_archE906ELNS1_3gpuE6ELNS1_3repE0EEENS1_30default_config_static_selectorELNS0_4arch9wavefront6targetE1EEEvT1_,comdat
.Lfunc_end333:
	.size	_ZN7rocprim17ROCPRIM_400000_NS6detail17trampoline_kernelINS0_14default_configENS1_25partition_config_selectorILNS1_17partition_subalgoE5ElNS0_10empty_typeEbEEZZNS1_14partition_implILS5_5ELb0ES3_mN6hipcub16HIPCUB_304000_NS21CountingInputIteratorIllEEPS6_NSA_22TransformInputIteratorIb7NonZeroIdEPdlEENS0_5tupleIJPlS6_EEENSJ_IJSD_SD_EEES6_SK_JS6_EEE10hipError_tPvRmT3_T4_T5_T6_T7_T9_mT8_P12ihipStream_tbDpT10_ENKUlT_T0_E_clISt17integral_constantIbLb1EES16_EEDaS11_S12_EUlS11_E_NS1_11comp_targetILNS1_3genE2ELNS1_11target_archE906ELNS1_3gpuE6ELNS1_3repE0EEENS1_30default_config_static_selectorELNS0_4arch9wavefront6targetE1EEEvT1_, .Lfunc_end333-_ZN7rocprim17ROCPRIM_400000_NS6detail17trampoline_kernelINS0_14default_configENS1_25partition_config_selectorILNS1_17partition_subalgoE5ElNS0_10empty_typeEbEEZZNS1_14partition_implILS5_5ELb0ES3_mN6hipcub16HIPCUB_304000_NS21CountingInputIteratorIllEEPS6_NSA_22TransformInputIteratorIb7NonZeroIdEPdlEENS0_5tupleIJPlS6_EEENSJ_IJSD_SD_EEES6_SK_JS6_EEE10hipError_tPvRmT3_T4_T5_T6_T7_T9_mT8_P12ihipStream_tbDpT10_ENKUlT_T0_E_clISt17integral_constantIbLb1EES16_EEDaS11_S12_EUlS11_E_NS1_11comp_targetILNS1_3genE2ELNS1_11target_archE906ELNS1_3gpuE6ELNS1_3repE0EEENS1_30default_config_static_selectorELNS0_4arch9wavefront6targetE1EEEvT1_
                                        ; -- End function
	.set _ZN7rocprim17ROCPRIM_400000_NS6detail17trampoline_kernelINS0_14default_configENS1_25partition_config_selectorILNS1_17partition_subalgoE5ElNS0_10empty_typeEbEEZZNS1_14partition_implILS5_5ELb0ES3_mN6hipcub16HIPCUB_304000_NS21CountingInputIteratorIllEEPS6_NSA_22TransformInputIteratorIb7NonZeroIdEPdlEENS0_5tupleIJPlS6_EEENSJ_IJSD_SD_EEES6_SK_JS6_EEE10hipError_tPvRmT3_T4_T5_T6_T7_T9_mT8_P12ihipStream_tbDpT10_ENKUlT_T0_E_clISt17integral_constantIbLb1EES16_EEDaS11_S12_EUlS11_E_NS1_11comp_targetILNS1_3genE2ELNS1_11target_archE906ELNS1_3gpuE6ELNS1_3repE0EEENS1_30default_config_static_selectorELNS0_4arch9wavefront6targetE1EEEvT1_.num_vgpr, 0
	.set _ZN7rocprim17ROCPRIM_400000_NS6detail17trampoline_kernelINS0_14default_configENS1_25partition_config_selectorILNS1_17partition_subalgoE5ElNS0_10empty_typeEbEEZZNS1_14partition_implILS5_5ELb0ES3_mN6hipcub16HIPCUB_304000_NS21CountingInputIteratorIllEEPS6_NSA_22TransformInputIteratorIb7NonZeroIdEPdlEENS0_5tupleIJPlS6_EEENSJ_IJSD_SD_EEES6_SK_JS6_EEE10hipError_tPvRmT3_T4_T5_T6_T7_T9_mT8_P12ihipStream_tbDpT10_ENKUlT_T0_E_clISt17integral_constantIbLb1EES16_EEDaS11_S12_EUlS11_E_NS1_11comp_targetILNS1_3genE2ELNS1_11target_archE906ELNS1_3gpuE6ELNS1_3repE0EEENS1_30default_config_static_selectorELNS0_4arch9wavefront6targetE1EEEvT1_.num_agpr, 0
	.set _ZN7rocprim17ROCPRIM_400000_NS6detail17trampoline_kernelINS0_14default_configENS1_25partition_config_selectorILNS1_17partition_subalgoE5ElNS0_10empty_typeEbEEZZNS1_14partition_implILS5_5ELb0ES3_mN6hipcub16HIPCUB_304000_NS21CountingInputIteratorIllEEPS6_NSA_22TransformInputIteratorIb7NonZeroIdEPdlEENS0_5tupleIJPlS6_EEENSJ_IJSD_SD_EEES6_SK_JS6_EEE10hipError_tPvRmT3_T4_T5_T6_T7_T9_mT8_P12ihipStream_tbDpT10_ENKUlT_T0_E_clISt17integral_constantIbLb1EES16_EEDaS11_S12_EUlS11_E_NS1_11comp_targetILNS1_3genE2ELNS1_11target_archE906ELNS1_3gpuE6ELNS1_3repE0EEENS1_30default_config_static_selectorELNS0_4arch9wavefront6targetE1EEEvT1_.numbered_sgpr, 0
	.set _ZN7rocprim17ROCPRIM_400000_NS6detail17trampoline_kernelINS0_14default_configENS1_25partition_config_selectorILNS1_17partition_subalgoE5ElNS0_10empty_typeEbEEZZNS1_14partition_implILS5_5ELb0ES3_mN6hipcub16HIPCUB_304000_NS21CountingInputIteratorIllEEPS6_NSA_22TransformInputIteratorIb7NonZeroIdEPdlEENS0_5tupleIJPlS6_EEENSJ_IJSD_SD_EEES6_SK_JS6_EEE10hipError_tPvRmT3_T4_T5_T6_T7_T9_mT8_P12ihipStream_tbDpT10_ENKUlT_T0_E_clISt17integral_constantIbLb1EES16_EEDaS11_S12_EUlS11_E_NS1_11comp_targetILNS1_3genE2ELNS1_11target_archE906ELNS1_3gpuE6ELNS1_3repE0EEENS1_30default_config_static_selectorELNS0_4arch9wavefront6targetE1EEEvT1_.num_named_barrier, 0
	.set _ZN7rocprim17ROCPRIM_400000_NS6detail17trampoline_kernelINS0_14default_configENS1_25partition_config_selectorILNS1_17partition_subalgoE5ElNS0_10empty_typeEbEEZZNS1_14partition_implILS5_5ELb0ES3_mN6hipcub16HIPCUB_304000_NS21CountingInputIteratorIllEEPS6_NSA_22TransformInputIteratorIb7NonZeroIdEPdlEENS0_5tupleIJPlS6_EEENSJ_IJSD_SD_EEES6_SK_JS6_EEE10hipError_tPvRmT3_T4_T5_T6_T7_T9_mT8_P12ihipStream_tbDpT10_ENKUlT_T0_E_clISt17integral_constantIbLb1EES16_EEDaS11_S12_EUlS11_E_NS1_11comp_targetILNS1_3genE2ELNS1_11target_archE906ELNS1_3gpuE6ELNS1_3repE0EEENS1_30default_config_static_selectorELNS0_4arch9wavefront6targetE1EEEvT1_.private_seg_size, 0
	.set _ZN7rocprim17ROCPRIM_400000_NS6detail17trampoline_kernelINS0_14default_configENS1_25partition_config_selectorILNS1_17partition_subalgoE5ElNS0_10empty_typeEbEEZZNS1_14partition_implILS5_5ELb0ES3_mN6hipcub16HIPCUB_304000_NS21CountingInputIteratorIllEEPS6_NSA_22TransformInputIteratorIb7NonZeroIdEPdlEENS0_5tupleIJPlS6_EEENSJ_IJSD_SD_EEES6_SK_JS6_EEE10hipError_tPvRmT3_T4_T5_T6_T7_T9_mT8_P12ihipStream_tbDpT10_ENKUlT_T0_E_clISt17integral_constantIbLb1EES16_EEDaS11_S12_EUlS11_E_NS1_11comp_targetILNS1_3genE2ELNS1_11target_archE906ELNS1_3gpuE6ELNS1_3repE0EEENS1_30default_config_static_selectorELNS0_4arch9wavefront6targetE1EEEvT1_.uses_vcc, 0
	.set _ZN7rocprim17ROCPRIM_400000_NS6detail17trampoline_kernelINS0_14default_configENS1_25partition_config_selectorILNS1_17partition_subalgoE5ElNS0_10empty_typeEbEEZZNS1_14partition_implILS5_5ELb0ES3_mN6hipcub16HIPCUB_304000_NS21CountingInputIteratorIllEEPS6_NSA_22TransformInputIteratorIb7NonZeroIdEPdlEENS0_5tupleIJPlS6_EEENSJ_IJSD_SD_EEES6_SK_JS6_EEE10hipError_tPvRmT3_T4_T5_T6_T7_T9_mT8_P12ihipStream_tbDpT10_ENKUlT_T0_E_clISt17integral_constantIbLb1EES16_EEDaS11_S12_EUlS11_E_NS1_11comp_targetILNS1_3genE2ELNS1_11target_archE906ELNS1_3gpuE6ELNS1_3repE0EEENS1_30default_config_static_selectorELNS0_4arch9wavefront6targetE1EEEvT1_.uses_flat_scratch, 0
	.set _ZN7rocprim17ROCPRIM_400000_NS6detail17trampoline_kernelINS0_14default_configENS1_25partition_config_selectorILNS1_17partition_subalgoE5ElNS0_10empty_typeEbEEZZNS1_14partition_implILS5_5ELb0ES3_mN6hipcub16HIPCUB_304000_NS21CountingInputIteratorIllEEPS6_NSA_22TransformInputIteratorIb7NonZeroIdEPdlEENS0_5tupleIJPlS6_EEENSJ_IJSD_SD_EEES6_SK_JS6_EEE10hipError_tPvRmT3_T4_T5_T6_T7_T9_mT8_P12ihipStream_tbDpT10_ENKUlT_T0_E_clISt17integral_constantIbLb1EES16_EEDaS11_S12_EUlS11_E_NS1_11comp_targetILNS1_3genE2ELNS1_11target_archE906ELNS1_3gpuE6ELNS1_3repE0EEENS1_30default_config_static_selectorELNS0_4arch9wavefront6targetE1EEEvT1_.has_dyn_sized_stack, 0
	.set _ZN7rocprim17ROCPRIM_400000_NS6detail17trampoline_kernelINS0_14default_configENS1_25partition_config_selectorILNS1_17partition_subalgoE5ElNS0_10empty_typeEbEEZZNS1_14partition_implILS5_5ELb0ES3_mN6hipcub16HIPCUB_304000_NS21CountingInputIteratorIllEEPS6_NSA_22TransformInputIteratorIb7NonZeroIdEPdlEENS0_5tupleIJPlS6_EEENSJ_IJSD_SD_EEES6_SK_JS6_EEE10hipError_tPvRmT3_T4_T5_T6_T7_T9_mT8_P12ihipStream_tbDpT10_ENKUlT_T0_E_clISt17integral_constantIbLb1EES16_EEDaS11_S12_EUlS11_E_NS1_11comp_targetILNS1_3genE2ELNS1_11target_archE906ELNS1_3gpuE6ELNS1_3repE0EEENS1_30default_config_static_selectorELNS0_4arch9wavefront6targetE1EEEvT1_.has_recursion, 0
	.set _ZN7rocprim17ROCPRIM_400000_NS6detail17trampoline_kernelINS0_14default_configENS1_25partition_config_selectorILNS1_17partition_subalgoE5ElNS0_10empty_typeEbEEZZNS1_14partition_implILS5_5ELb0ES3_mN6hipcub16HIPCUB_304000_NS21CountingInputIteratorIllEEPS6_NSA_22TransformInputIteratorIb7NonZeroIdEPdlEENS0_5tupleIJPlS6_EEENSJ_IJSD_SD_EEES6_SK_JS6_EEE10hipError_tPvRmT3_T4_T5_T6_T7_T9_mT8_P12ihipStream_tbDpT10_ENKUlT_T0_E_clISt17integral_constantIbLb1EES16_EEDaS11_S12_EUlS11_E_NS1_11comp_targetILNS1_3genE2ELNS1_11target_archE906ELNS1_3gpuE6ELNS1_3repE0EEENS1_30default_config_static_selectorELNS0_4arch9wavefront6targetE1EEEvT1_.has_indirect_call, 0
	.section	.AMDGPU.csdata,"",@progbits
; Kernel info:
; codeLenInByte = 0
; TotalNumSgprs: 6
; NumVgprs: 0
; NumAgprs: 0
; TotalNumVgprs: 0
; ScratchSize: 0
; MemoryBound: 0
; FloatMode: 240
; IeeeMode: 1
; LDSByteSize: 0 bytes/workgroup (compile time only)
; SGPRBlocks: 0
; VGPRBlocks: 0
; NumSGPRsForWavesPerEU: 6
; NumVGPRsForWavesPerEU: 1
; AccumOffset: 4
; Occupancy: 8
; WaveLimiterHint : 0
; COMPUTE_PGM_RSRC2:SCRATCH_EN: 0
; COMPUTE_PGM_RSRC2:USER_SGPR: 2
; COMPUTE_PGM_RSRC2:TRAP_HANDLER: 0
; COMPUTE_PGM_RSRC2:TGID_X_EN: 1
; COMPUTE_PGM_RSRC2:TGID_Y_EN: 0
; COMPUTE_PGM_RSRC2:TGID_Z_EN: 0
; COMPUTE_PGM_RSRC2:TIDIG_COMP_CNT: 0
; COMPUTE_PGM_RSRC3_GFX90A:ACCUM_OFFSET: 0
; COMPUTE_PGM_RSRC3_GFX90A:TG_SPLIT: 0
	.section	.text._ZN7rocprim17ROCPRIM_400000_NS6detail17trampoline_kernelINS0_14default_configENS1_25partition_config_selectorILNS1_17partition_subalgoE5ElNS0_10empty_typeEbEEZZNS1_14partition_implILS5_5ELb0ES3_mN6hipcub16HIPCUB_304000_NS21CountingInputIteratorIllEEPS6_NSA_22TransformInputIteratorIb7NonZeroIdEPdlEENS0_5tupleIJPlS6_EEENSJ_IJSD_SD_EEES6_SK_JS6_EEE10hipError_tPvRmT3_T4_T5_T6_T7_T9_mT8_P12ihipStream_tbDpT10_ENKUlT_T0_E_clISt17integral_constantIbLb1EES16_EEDaS11_S12_EUlS11_E_NS1_11comp_targetILNS1_3genE10ELNS1_11target_archE1200ELNS1_3gpuE4ELNS1_3repE0EEENS1_30default_config_static_selectorELNS0_4arch9wavefront6targetE1EEEvT1_,"axG",@progbits,_ZN7rocprim17ROCPRIM_400000_NS6detail17trampoline_kernelINS0_14default_configENS1_25partition_config_selectorILNS1_17partition_subalgoE5ElNS0_10empty_typeEbEEZZNS1_14partition_implILS5_5ELb0ES3_mN6hipcub16HIPCUB_304000_NS21CountingInputIteratorIllEEPS6_NSA_22TransformInputIteratorIb7NonZeroIdEPdlEENS0_5tupleIJPlS6_EEENSJ_IJSD_SD_EEES6_SK_JS6_EEE10hipError_tPvRmT3_T4_T5_T6_T7_T9_mT8_P12ihipStream_tbDpT10_ENKUlT_T0_E_clISt17integral_constantIbLb1EES16_EEDaS11_S12_EUlS11_E_NS1_11comp_targetILNS1_3genE10ELNS1_11target_archE1200ELNS1_3gpuE4ELNS1_3repE0EEENS1_30default_config_static_selectorELNS0_4arch9wavefront6targetE1EEEvT1_,comdat
	.protected	_ZN7rocprim17ROCPRIM_400000_NS6detail17trampoline_kernelINS0_14default_configENS1_25partition_config_selectorILNS1_17partition_subalgoE5ElNS0_10empty_typeEbEEZZNS1_14partition_implILS5_5ELb0ES3_mN6hipcub16HIPCUB_304000_NS21CountingInputIteratorIllEEPS6_NSA_22TransformInputIteratorIb7NonZeroIdEPdlEENS0_5tupleIJPlS6_EEENSJ_IJSD_SD_EEES6_SK_JS6_EEE10hipError_tPvRmT3_T4_T5_T6_T7_T9_mT8_P12ihipStream_tbDpT10_ENKUlT_T0_E_clISt17integral_constantIbLb1EES16_EEDaS11_S12_EUlS11_E_NS1_11comp_targetILNS1_3genE10ELNS1_11target_archE1200ELNS1_3gpuE4ELNS1_3repE0EEENS1_30default_config_static_selectorELNS0_4arch9wavefront6targetE1EEEvT1_ ; -- Begin function _ZN7rocprim17ROCPRIM_400000_NS6detail17trampoline_kernelINS0_14default_configENS1_25partition_config_selectorILNS1_17partition_subalgoE5ElNS0_10empty_typeEbEEZZNS1_14partition_implILS5_5ELb0ES3_mN6hipcub16HIPCUB_304000_NS21CountingInputIteratorIllEEPS6_NSA_22TransformInputIteratorIb7NonZeroIdEPdlEENS0_5tupleIJPlS6_EEENSJ_IJSD_SD_EEES6_SK_JS6_EEE10hipError_tPvRmT3_T4_T5_T6_T7_T9_mT8_P12ihipStream_tbDpT10_ENKUlT_T0_E_clISt17integral_constantIbLb1EES16_EEDaS11_S12_EUlS11_E_NS1_11comp_targetILNS1_3genE10ELNS1_11target_archE1200ELNS1_3gpuE4ELNS1_3repE0EEENS1_30default_config_static_selectorELNS0_4arch9wavefront6targetE1EEEvT1_
	.globl	_ZN7rocprim17ROCPRIM_400000_NS6detail17trampoline_kernelINS0_14default_configENS1_25partition_config_selectorILNS1_17partition_subalgoE5ElNS0_10empty_typeEbEEZZNS1_14partition_implILS5_5ELb0ES3_mN6hipcub16HIPCUB_304000_NS21CountingInputIteratorIllEEPS6_NSA_22TransformInputIteratorIb7NonZeroIdEPdlEENS0_5tupleIJPlS6_EEENSJ_IJSD_SD_EEES6_SK_JS6_EEE10hipError_tPvRmT3_T4_T5_T6_T7_T9_mT8_P12ihipStream_tbDpT10_ENKUlT_T0_E_clISt17integral_constantIbLb1EES16_EEDaS11_S12_EUlS11_E_NS1_11comp_targetILNS1_3genE10ELNS1_11target_archE1200ELNS1_3gpuE4ELNS1_3repE0EEENS1_30default_config_static_selectorELNS0_4arch9wavefront6targetE1EEEvT1_
	.p2align	8
	.type	_ZN7rocprim17ROCPRIM_400000_NS6detail17trampoline_kernelINS0_14default_configENS1_25partition_config_selectorILNS1_17partition_subalgoE5ElNS0_10empty_typeEbEEZZNS1_14partition_implILS5_5ELb0ES3_mN6hipcub16HIPCUB_304000_NS21CountingInputIteratorIllEEPS6_NSA_22TransformInputIteratorIb7NonZeroIdEPdlEENS0_5tupleIJPlS6_EEENSJ_IJSD_SD_EEES6_SK_JS6_EEE10hipError_tPvRmT3_T4_T5_T6_T7_T9_mT8_P12ihipStream_tbDpT10_ENKUlT_T0_E_clISt17integral_constantIbLb1EES16_EEDaS11_S12_EUlS11_E_NS1_11comp_targetILNS1_3genE10ELNS1_11target_archE1200ELNS1_3gpuE4ELNS1_3repE0EEENS1_30default_config_static_selectorELNS0_4arch9wavefront6targetE1EEEvT1_,@function
_ZN7rocprim17ROCPRIM_400000_NS6detail17trampoline_kernelINS0_14default_configENS1_25partition_config_selectorILNS1_17partition_subalgoE5ElNS0_10empty_typeEbEEZZNS1_14partition_implILS5_5ELb0ES3_mN6hipcub16HIPCUB_304000_NS21CountingInputIteratorIllEEPS6_NSA_22TransformInputIteratorIb7NonZeroIdEPdlEENS0_5tupleIJPlS6_EEENSJ_IJSD_SD_EEES6_SK_JS6_EEE10hipError_tPvRmT3_T4_T5_T6_T7_T9_mT8_P12ihipStream_tbDpT10_ENKUlT_T0_E_clISt17integral_constantIbLb1EES16_EEDaS11_S12_EUlS11_E_NS1_11comp_targetILNS1_3genE10ELNS1_11target_archE1200ELNS1_3gpuE4ELNS1_3repE0EEENS1_30default_config_static_selectorELNS0_4arch9wavefront6targetE1EEEvT1_: ; @_ZN7rocprim17ROCPRIM_400000_NS6detail17trampoline_kernelINS0_14default_configENS1_25partition_config_selectorILNS1_17partition_subalgoE5ElNS0_10empty_typeEbEEZZNS1_14partition_implILS5_5ELb0ES3_mN6hipcub16HIPCUB_304000_NS21CountingInputIteratorIllEEPS6_NSA_22TransformInputIteratorIb7NonZeroIdEPdlEENS0_5tupleIJPlS6_EEENSJ_IJSD_SD_EEES6_SK_JS6_EEE10hipError_tPvRmT3_T4_T5_T6_T7_T9_mT8_P12ihipStream_tbDpT10_ENKUlT_T0_E_clISt17integral_constantIbLb1EES16_EEDaS11_S12_EUlS11_E_NS1_11comp_targetILNS1_3genE10ELNS1_11target_archE1200ELNS1_3gpuE4ELNS1_3repE0EEENS1_30default_config_static_selectorELNS0_4arch9wavefront6targetE1EEEvT1_
; %bb.0:
	.section	.rodata,"a",@progbits
	.p2align	6, 0x0
	.amdhsa_kernel _ZN7rocprim17ROCPRIM_400000_NS6detail17trampoline_kernelINS0_14default_configENS1_25partition_config_selectorILNS1_17partition_subalgoE5ElNS0_10empty_typeEbEEZZNS1_14partition_implILS5_5ELb0ES3_mN6hipcub16HIPCUB_304000_NS21CountingInputIteratorIllEEPS6_NSA_22TransformInputIteratorIb7NonZeroIdEPdlEENS0_5tupleIJPlS6_EEENSJ_IJSD_SD_EEES6_SK_JS6_EEE10hipError_tPvRmT3_T4_T5_T6_T7_T9_mT8_P12ihipStream_tbDpT10_ENKUlT_T0_E_clISt17integral_constantIbLb1EES16_EEDaS11_S12_EUlS11_E_NS1_11comp_targetILNS1_3genE10ELNS1_11target_archE1200ELNS1_3gpuE4ELNS1_3repE0EEENS1_30default_config_static_selectorELNS0_4arch9wavefront6targetE1EEEvT1_
		.amdhsa_group_segment_fixed_size 0
		.amdhsa_private_segment_fixed_size 0
		.amdhsa_kernarg_size 136
		.amdhsa_user_sgpr_count 2
		.amdhsa_user_sgpr_dispatch_ptr 0
		.amdhsa_user_sgpr_queue_ptr 0
		.amdhsa_user_sgpr_kernarg_segment_ptr 1
		.amdhsa_user_sgpr_dispatch_id 0
		.amdhsa_user_sgpr_kernarg_preload_length 0
		.amdhsa_user_sgpr_kernarg_preload_offset 0
		.amdhsa_user_sgpr_private_segment_size 0
		.amdhsa_uses_dynamic_stack 0
		.amdhsa_enable_private_segment 0
		.amdhsa_system_sgpr_workgroup_id_x 1
		.amdhsa_system_sgpr_workgroup_id_y 0
		.amdhsa_system_sgpr_workgroup_id_z 0
		.amdhsa_system_sgpr_workgroup_info 0
		.amdhsa_system_vgpr_workitem_id 0
		.amdhsa_next_free_vgpr 1
		.amdhsa_next_free_sgpr 0
		.amdhsa_accum_offset 4
		.amdhsa_reserve_vcc 0
		.amdhsa_float_round_mode_32 0
		.amdhsa_float_round_mode_16_64 0
		.amdhsa_float_denorm_mode_32 3
		.amdhsa_float_denorm_mode_16_64 3
		.amdhsa_dx10_clamp 1
		.amdhsa_ieee_mode 1
		.amdhsa_fp16_overflow 0
		.amdhsa_tg_split 0
		.amdhsa_exception_fp_ieee_invalid_op 0
		.amdhsa_exception_fp_denorm_src 0
		.amdhsa_exception_fp_ieee_div_zero 0
		.amdhsa_exception_fp_ieee_overflow 0
		.amdhsa_exception_fp_ieee_underflow 0
		.amdhsa_exception_fp_ieee_inexact 0
		.amdhsa_exception_int_div_zero 0
	.end_amdhsa_kernel
	.section	.text._ZN7rocprim17ROCPRIM_400000_NS6detail17trampoline_kernelINS0_14default_configENS1_25partition_config_selectorILNS1_17partition_subalgoE5ElNS0_10empty_typeEbEEZZNS1_14partition_implILS5_5ELb0ES3_mN6hipcub16HIPCUB_304000_NS21CountingInputIteratorIllEEPS6_NSA_22TransformInputIteratorIb7NonZeroIdEPdlEENS0_5tupleIJPlS6_EEENSJ_IJSD_SD_EEES6_SK_JS6_EEE10hipError_tPvRmT3_T4_T5_T6_T7_T9_mT8_P12ihipStream_tbDpT10_ENKUlT_T0_E_clISt17integral_constantIbLb1EES16_EEDaS11_S12_EUlS11_E_NS1_11comp_targetILNS1_3genE10ELNS1_11target_archE1200ELNS1_3gpuE4ELNS1_3repE0EEENS1_30default_config_static_selectorELNS0_4arch9wavefront6targetE1EEEvT1_,"axG",@progbits,_ZN7rocprim17ROCPRIM_400000_NS6detail17trampoline_kernelINS0_14default_configENS1_25partition_config_selectorILNS1_17partition_subalgoE5ElNS0_10empty_typeEbEEZZNS1_14partition_implILS5_5ELb0ES3_mN6hipcub16HIPCUB_304000_NS21CountingInputIteratorIllEEPS6_NSA_22TransformInputIteratorIb7NonZeroIdEPdlEENS0_5tupleIJPlS6_EEENSJ_IJSD_SD_EEES6_SK_JS6_EEE10hipError_tPvRmT3_T4_T5_T6_T7_T9_mT8_P12ihipStream_tbDpT10_ENKUlT_T0_E_clISt17integral_constantIbLb1EES16_EEDaS11_S12_EUlS11_E_NS1_11comp_targetILNS1_3genE10ELNS1_11target_archE1200ELNS1_3gpuE4ELNS1_3repE0EEENS1_30default_config_static_selectorELNS0_4arch9wavefront6targetE1EEEvT1_,comdat
.Lfunc_end334:
	.size	_ZN7rocprim17ROCPRIM_400000_NS6detail17trampoline_kernelINS0_14default_configENS1_25partition_config_selectorILNS1_17partition_subalgoE5ElNS0_10empty_typeEbEEZZNS1_14partition_implILS5_5ELb0ES3_mN6hipcub16HIPCUB_304000_NS21CountingInputIteratorIllEEPS6_NSA_22TransformInputIteratorIb7NonZeroIdEPdlEENS0_5tupleIJPlS6_EEENSJ_IJSD_SD_EEES6_SK_JS6_EEE10hipError_tPvRmT3_T4_T5_T6_T7_T9_mT8_P12ihipStream_tbDpT10_ENKUlT_T0_E_clISt17integral_constantIbLb1EES16_EEDaS11_S12_EUlS11_E_NS1_11comp_targetILNS1_3genE10ELNS1_11target_archE1200ELNS1_3gpuE4ELNS1_3repE0EEENS1_30default_config_static_selectorELNS0_4arch9wavefront6targetE1EEEvT1_, .Lfunc_end334-_ZN7rocprim17ROCPRIM_400000_NS6detail17trampoline_kernelINS0_14default_configENS1_25partition_config_selectorILNS1_17partition_subalgoE5ElNS0_10empty_typeEbEEZZNS1_14partition_implILS5_5ELb0ES3_mN6hipcub16HIPCUB_304000_NS21CountingInputIteratorIllEEPS6_NSA_22TransformInputIteratorIb7NonZeroIdEPdlEENS0_5tupleIJPlS6_EEENSJ_IJSD_SD_EEES6_SK_JS6_EEE10hipError_tPvRmT3_T4_T5_T6_T7_T9_mT8_P12ihipStream_tbDpT10_ENKUlT_T0_E_clISt17integral_constantIbLb1EES16_EEDaS11_S12_EUlS11_E_NS1_11comp_targetILNS1_3genE10ELNS1_11target_archE1200ELNS1_3gpuE4ELNS1_3repE0EEENS1_30default_config_static_selectorELNS0_4arch9wavefront6targetE1EEEvT1_
                                        ; -- End function
	.set _ZN7rocprim17ROCPRIM_400000_NS6detail17trampoline_kernelINS0_14default_configENS1_25partition_config_selectorILNS1_17partition_subalgoE5ElNS0_10empty_typeEbEEZZNS1_14partition_implILS5_5ELb0ES3_mN6hipcub16HIPCUB_304000_NS21CountingInputIteratorIllEEPS6_NSA_22TransformInputIteratorIb7NonZeroIdEPdlEENS0_5tupleIJPlS6_EEENSJ_IJSD_SD_EEES6_SK_JS6_EEE10hipError_tPvRmT3_T4_T5_T6_T7_T9_mT8_P12ihipStream_tbDpT10_ENKUlT_T0_E_clISt17integral_constantIbLb1EES16_EEDaS11_S12_EUlS11_E_NS1_11comp_targetILNS1_3genE10ELNS1_11target_archE1200ELNS1_3gpuE4ELNS1_3repE0EEENS1_30default_config_static_selectorELNS0_4arch9wavefront6targetE1EEEvT1_.num_vgpr, 0
	.set _ZN7rocprim17ROCPRIM_400000_NS6detail17trampoline_kernelINS0_14default_configENS1_25partition_config_selectorILNS1_17partition_subalgoE5ElNS0_10empty_typeEbEEZZNS1_14partition_implILS5_5ELb0ES3_mN6hipcub16HIPCUB_304000_NS21CountingInputIteratorIllEEPS6_NSA_22TransformInputIteratorIb7NonZeroIdEPdlEENS0_5tupleIJPlS6_EEENSJ_IJSD_SD_EEES6_SK_JS6_EEE10hipError_tPvRmT3_T4_T5_T6_T7_T9_mT8_P12ihipStream_tbDpT10_ENKUlT_T0_E_clISt17integral_constantIbLb1EES16_EEDaS11_S12_EUlS11_E_NS1_11comp_targetILNS1_3genE10ELNS1_11target_archE1200ELNS1_3gpuE4ELNS1_3repE0EEENS1_30default_config_static_selectorELNS0_4arch9wavefront6targetE1EEEvT1_.num_agpr, 0
	.set _ZN7rocprim17ROCPRIM_400000_NS6detail17trampoline_kernelINS0_14default_configENS1_25partition_config_selectorILNS1_17partition_subalgoE5ElNS0_10empty_typeEbEEZZNS1_14partition_implILS5_5ELb0ES3_mN6hipcub16HIPCUB_304000_NS21CountingInputIteratorIllEEPS6_NSA_22TransformInputIteratorIb7NonZeroIdEPdlEENS0_5tupleIJPlS6_EEENSJ_IJSD_SD_EEES6_SK_JS6_EEE10hipError_tPvRmT3_T4_T5_T6_T7_T9_mT8_P12ihipStream_tbDpT10_ENKUlT_T0_E_clISt17integral_constantIbLb1EES16_EEDaS11_S12_EUlS11_E_NS1_11comp_targetILNS1_3genE10ELNS1_11target_archE1200ELNS1_3gpuE4ELNS1_3repE0EEENS1_30default_config_static_selectorELNS0_4arch9wavefront6targetE1EEEvT1_.numbered_sgpr, 0
	.set _ZN7rocprim17ROCPRIM_400000_NS6detail17trampoline_kernelINS0_14default_configENS1_25partition_config_selectorILNS1_17partition_subalgoE5ElNS0_10empty_typeEbEEZZNS1_14partition_implILS5_5ELb0ES3_mN6hipcub16HIPCUB_304000_NS21CountingInputIteratorIllEEPS6_NSA_22TransformInputIteratorIb7NonZeroIdEPdlEENS0_5tupleIJPlS6_EEENSJ_IJSD_SD_EEES6_SK_JS6_EEE10hipError_tPvRmT3_T4_T5_T6_T7_T9_mT8_P12ihipStream_tbDpT10_ENKUlT_T0_E_clISt17integral_constantIbLb1EES16_EEDaS11_S12_EUlS11_E_NS1_11comp_targetILNS1_3genE10ELNS1_11target_archE1200ELNS1_3gpuE4ELNS1_3repE0EEENS1_30default_config_static_selectorELNS0_4arch9wavefront6targetE1EEEvT1_.num_named_barrier, 0
	.set _ZN7rocprim17ROCPRIM_400000_NS6detail17trampoline_kernelINS0_14default_configENS1_25partition_config_selectorILNS1_17partition_subalgoE5ElNS0_10empty_typeEbEEZZNS1_14partition_implILS5_5ELb0ES3_mN6hipcub16HIPCUB_304000_NS21CountingInputIteratorIllEEPS6_NSA_22TransformInputIteratorIb7NonZeroIdEPdlEENS0_5tupleIJPlS6_EEENSJ_IJSD_SD_EEES6_SK_JS6_EEE10hipError_tPvRmT3_T4_T5_T6_T7_T9_mT8_P12ihipStream_tbDpT10_ENKUlT_T0_E_clISt17integral_constantIbLb1EES16_EEDaS11_S12_EUlS11_E_NS1_11comp_targetILNS1_3genE10ELNS1_11target_archE1200ELNS1_3gpuE4ELNS1_3repE0EEENS1_30default_config_static_selectorELNS0_4arch9wavefront6targetE1EEEvT1_.private_seg_size, 0
	.set _ZN7rocprim17ROCPRIM_400000_NS6detail17trampoline_kernelINS0_14default_configENS1_25partition_config_selectorILNS1_17partition_subalgoE5ElNS0_10empty_typeEbEEZZNS1_14partition_implILS5_5ELb0ES3_mN6hipcub16HIPCUB_304000_NS21CountingInputIteratorIllEEPS6_NSA_22TransformInputIteratorIb7NonZeroIdEPdlEENS0_5tupleIJPlS6_EEENSJ_IJSD_SD_EEES6_SK_JS6_EEE10hipError_tPvRmT3_T4_T5_T6_T7_T9_mT8_P12ihipStream_tbDpT10_ENKUlT_T0_E_clISt17integral_constantIbLb1EES16_EEDaS11_S12_EUlS11_E_NS1_11comp_targetILNS1_3genE10ELNS1_11target_archE1200ELNS1_3gpuE4ELNS1_3repE0EEENS1_30default_config_static_selectorELNS0_4arch9wavefront6targetE1EEEvT1_.uses_vcc, 0
	.set _ZN7rocprim17ROCPRIM_400000_NS6detail17trampoline_kernelINS0_14default_configENS1_25partition_config_selectorILNS1_17partition_subalgoE5ElNS0_10empty_typeEbEEZZNS1_14partition_implILS5_5ELb0ES3_mN6hipcub16HIPCUB_304000_NS21CountingInputIteratorIllEEPS6_NSA_22TransformInputIteratorIb7NonZeroIdEPdlEENS0_5tupleIJPlS6_EEENSJ_IJSD_SD_EEES6_SK_JS6_EEE10hipError_tPvRmT3_T4_T5_T6_T7_T9_mT8_P12ihipStream_tbDpT10_ENKUlT_T0_E_clISt17integral_constantIbLb1EES16_EEDaS11_S12_EUlS11_E_NS1_11comp_targetILNS1_3genE10ELNS1_11target_archE1200ELNS1_3gpuE4ELNS1_3repE0EEENS1_30default_config_static_selectorELNS0_4arch9wavefront6targetE1EEEvT1_.uses_flat_scratch, 0
	.set _ZN7rocprim17ROCPRIM_400000_NS6detail17trampoline_kernelINS0_14default_configENS1_25partition_config_selectorILNS1_17partition_subalgoE5ElNS0_10empty_typeEbEEZZNS1_14partition_implILS5_5ELb0ES3_mN6hipcub16HIPCUB_304000_NS21CountingInputIteratorIllEEPS6_NSA_22TransformInputIteratorIb7NonZeroIdEPdlEENS0_5tupleIJPlS6_EEENSJ_IJSD_SD_EEES6_SK_JS6_EEE10hipError_tPvRmT3_T4_T5_T6_T7_T9_mT8_P12ihipStream_tbDpT10_ENKUlT_T0_E_clISt17integral_constantIbLb1EES16_EEDaS11_S12_EUlS11_E_NS1_11comp_targetILNS1_3genE10ELNS1_11target_archE1200ELNS1_3gpuE4ELNS1_3repE0EEENS1_30default_config_static_selectorELNS0_4arch9wavefront6targetE1EEEvT1_.has_dyn_sized_stack, 0
	.set _ZN7rocprim17ROCPRIM_400000_NS6detail17trampoline_kernelINS0_14default_configENS1_25partition_config_selectorILNS1_17partition_subalgoE5ElNS0_10empty_typeEbEEZZNS1_14partition_implILS5_5ELb0ES3_mN6hipcub16HIPCUB_304000_NS21CountingInputIteratorIllEEPS6_NSA_22TransformInputIteratorIb7NonZeroIdEPdlEENS0_5tupleIJPlS6_EEENSJ_IJSD_SD_EEES6_SK_JS6_EEE10hipError_tPvRmT3_T4_T5_T6_T7_T9_mT8_P12ihipStream_tbDpT10_ENKUlT_T0_E_clISt17integral_constantIbLb1EES16_EEDaS11_S12_EUlS11_E_NS1_11comp_targetILNS1_3genE10ELNS1_11target_archE1200ELNS1_3gpuE4ELNS1_3repE0EEENS1_30default_config_static_selectorELNS0_4arch9wavefront6targetE1EEEvT1_.has_recursion, 0
	.set _ZN7rocprim17ROCPRIM_400000_NS6detail17trampoline_kernelINS0_14default_configENS1_25partition_config_selectorILNS1_17partition_subalgoE5ElNS0_10empty_typeEbEEZZNS1_14partition_implILS5_5ELb0ES3_mN6hipcub16HIPCUB_304000_NS21CountingInputIteratorIllEEPS6_NSA_22TransformInputIteratorIb7NonZeroIdEPdlEENS0_5tupleIJPlS6_EEENSJ_IJSD_SD_EEES6_SK_JS6_EEE10hipError_tPvRmT3_T4_T5_T6_T7_T9_mT8_P12ihipStream_tbDpT10_ENKUlT_T0_E_clISt17integral_constantIbLb1EES16_EEDaS11_S12_EUlS11_E_NS1_11comp_targetILNS1_3genE10ELNS1_11target_archE1200ELNS1_3gpuE4ELNS1_3repE0EEENS1_30default_config_static_selectorELNS0_4arch9wavefront6targetE1EEEvT1_.has_indirect_call, 0
	.section	.AMDGPU.csdata,"",@progbits
; Kernel info:
; codeLenInByte = 0
; TotalNumSgprs: 6
; NumVgprs: 0
; NumAgprs: 0
; TotalNumVgprs: 0
; ScratchSize: 0
; MemoryBound: 0
; FloatMode: 240
; IeeeMode: 1
; LDSByteSize: 0 bytes/workgroup (compile time only)
; SGPRBlocks: 0
; VGPRBlocks: 0
; NumSGPRsForWavesPerEU: 6
; NumVGPRsForWavesPerEU: 1
; AccumOffset: 4
; Occupancy: 8
; WaveLimiterHint : 0
; COMPUTE_PGM_RSRC2:SCRATCH_EN: 0
; COMPUTE_PGM_RSRC2:USER_SGPR: 2
; COMPUTE_PGM_RSRC2:TRAP_HANDLER: 0
; COMPUTE_PGM_RSRC2:TGID_X_EN: 1
; COMPUTE_PGM_RSRC2:TGID_Y_EN: 0
; COMPUTE_PGM_RSRC2:TGID_Z_EN: 0
; COMPUTE_PGM_RSRC2:TIDIG_COMP_CNT: 0
; COMPUTE_PGM_RSRC3_GFX90A:ACCUM_OFFSET: 0
; COMPUTE_PGM_RSRC3_GFX90A:TG_SPLIT: 0
	.section	.text._ZN7rocprim17ROCPRIM_400000_NS6detail17trampoline_kernelINS0_14default_configENS1_25partition_config_selectorILNS1_17partition_subalgoE5ElNS0_10empty_typeEbEEZZNS1_14partition_implILS5_5ELb0ES3_mN6hipcub16HIPCUB_304000_NS21CountingInputIteratorIllEEPS6_NSA_22TransformInputIteratorIb7NonZeroIdEPdlEENS0_5tupleIJPlS6_EEENSJ_IJSD_SD_EEES6_SK_JS6_EEE10hipError_tPvRmT3_T4_T5_T6_T7_T9_mT8_P12ihipStream_tbDpT10_ENKUlT_T0_E_clISt17integral_constantIbLb1EES16_EEDaS11_S12_EUlS11_E_NS1_11comp_targetILNS1_3genE9ELNS1_11target_archE1100ELNS1_3gpuE3ELNS1_3repE0EEENS1_30default_config_static_selectorELNS0_4arch9wavefront6targetE1EEEvT1_,"axG",@progbits,_ZN7rocprim17ROCPRIM_400000_NS6detail17trampoline_kernelINS0_14default_configENS1_25partition_config_selectorILNS1_17partition_subalgoE5ElNS0_10empty_typeEbEEZZNS1_14partition_implILS5_5ELb0ES3_mN6hipcub16HIPCUB_304000_NS21CountingInputIteratorIllEEPS6_NSA_22TransformInputIteratorIb7NonZeroIdEPdlEENS0_5tupleIJPlS6_EEENSJ_IJSD_SD_EEES6_SK_JS6_EEE10hipError_tPvRmT3_T4_T5_T6_T7_T9_mT8_P12ihipStream_tbDpT10_ENKUlT_T0_E_clISt17integral_constantIbLb1EES16_EEDaS11_S12_EUlS11_E_NS1_11comp_targetILNS1_3genE9ELNS1_11target_archE1100ELNS1_3gpuE3ELNS1_3repE0EEENS1_30default_config_static_selectorELNS0_4arch9wavefront6targetE1EEEvT1_,comdat
	.protected	_ZN7rocprim17ROCPRIM_400000_NS6detail17trampoline_kernelINS0_14default_configENS1_25partition_config_selectorILNS1_17partition_subalgoE5ElNS0_10empty_typeEbEEZZNS1_14partition_implILS5_5ELb0ES3_mN6hipcub16HIPCUB_304000_NS21CountingInputIteratorIllEEPS6_NSA_22TransformInputIteratorIb7NonZeroIdEPdlEENS0_5tupleIJPlS6_EEENSJ_IJSD_SD_EEES6_SK_JS6_EEE10hipError_tPvRmT3_T4_T5_T6_T7_T9_mT8_P12ihipStream_tbDpT10_ENKUlT_T0_E_clISt17integral_constantIbLb1EES16_EEDaS11_S12_EUlS11_E_NS1_11comp_targetILNS1_3genE9ELNS1_11target_archE1100ELNS1_3gpuE3ELNS1_3repE0EEENS1_30default_config_static_selectorELNS0_4arch9wavefront6targetE1EEEvT1_ ; -- Begin function _ZN7rocprim17ROCPRIM_400000_NS6detail17trampoline_kernelINS0_14default_configENS1_25partition_config_selectorILNS1_17partition_subalgoE5ElNS0_10empty_typeEbEEZZNS1_14partition_implILS5_5ELb0ES3_mN6hipcub16HIPCUB_304000_NS21CountingInputIteratorIllEEPS6_NSA_22TransformInputIteratorIb7NonZeroIdEPdlEENS0_5tupleIJPlS6_EEENSJ_IJSD_SD_EEES6_SK_JS6_EEE10hipError_tPvRmT3_T4_T5_T6_T7_T9_mT8_P12ihipStream_tbDpT10_ENKUlT_T0_E_clISt17integral_constantIbLb1EES16_EEDaS11_S12_EUlS11_E_NS1_11comp_targetILNS1_3genE9ELNS1_11target_archE1100ELNS1_3gpuE3ELNS1_3repE0EEENS1_30default_config_static_selectorELNS0_4arch9wavefront6targetE1EEEvT1_
	.globl	_ZN7rocprim17ROCPRIM_400000_NS6detail17trampoline_kernelINS0_14default_configENS1_25partition_config_selectorILNS1_17partition_subalgoE5ElNS0_10empty_typeEbEEZZNS1_14partition_implILS5_5ELb0ES3_mN6hipcub16HIPCUB_304000_NS21CountingInputIteratorIllEEPS6_NSA_22TransformInputIteratorIb7NonZeroIdEPdlEENS0_5tupleIJPlS6_EEENSJ_IJSD_SD_EEES6_SK_JS6_EEE10hipError_tPvRmT3_T4_T5_T6_T7_T9_mT8_P12ihipStream_tbDpT10_ENKUlT_T0_E_clISt17integral_constantIbLb1EES16_EEDaS11_S12_EUlS11_E_NS1_11comp_targetILNS1_3genE9ELNS1_11target_archE1100ELNS1_3gpuE3ELNS1_3repE0EEENS1_30default_config_static_selectorELNS0_4arch9wavefront6targetE1EEEvT1_
	.p2align	8
	.type	_ZN7rocprim17ROCPRIM_400000_NS6detail17trampoline_kernelINS0_14default_configENS1_25partition_config_selectorILNS1_17partition_subalgoE5ElNS0_10empty_typeEbEEZZNS1_14partition_implILS5_5ELb0ES3_mN6hipcub16HIPCUB_304000_NS21CountingInputIteratorIllEEPS6_NSA_22TransformInputIteratorIb7NonZeroIdEPdlEENS0_5tupleIJPlS6_EEENSJ_IJSD_SD_EEES6_SK_JS6_EEE10hipError_tPvRmT3_T4_T5_T6_T7_T9_mT8_P12ihipStream_tbDpT10_ENKUlT_T0_E_clISt17integral_constantIbLb1EES16_EEDaS11_S12_EUlS11_E_NS1_11comp_targetILNS1_3genE9ELNS1_11target_archE1100ELNS1_3gpuE3ELNS1_3repE0EEENS1_30default_config_static_selectorELNS0_4arch9wavefront6targetE1EEEvT1_,@function
_ZN7rocprim17ROCPRIM_400000_NS6detail17trampoline_kernelINS0_14default_configENS1_25partition_config_selectorILNS1_17partition_subalgoE5ElNS0_10empty_typeEbEEZZNS1_14partition_implILS5_5ELb0ES3_mN6hipcub16HIPCUB_304000_NS21CountingInputIteratorIllEEPS6_NSA_22TransformInputIteratorIb7NonZeroIdEPdlEENS0_5tupleIJPlS6_EEENSJ_IJSD_SD_EEES6_SK_JS6_EEE10hipError_tPvRmT3_T4_T5_T6_T7_T9_mT8_P12ihipStream_tbDpT10_ENKUlT_T0_E_clISt17integral_constantIbLb1EES16_EEDaS11_S12_EUlS11_E_NS1_11comp_targetILNS1_3genE9ELNS1_11target_archE1100ELNS1_3gpuE3ELNS1_3repE0EEENS1_30default_config_static_selectorELNS0_4arch9wavefront6targetE1EEEvT1_: ; @_ZN7rocprim17ROCPRIM_400000_NS6detail17trampoline_kernelINS0_14default_configENS1_25partition_config_selectorILNS1_17partition_subalgoE5ElNS0_10empty_typeEbEEZZNS1_14partition_implILS5_5ELb0ES3_mN6hipcub16HIPCUB_304000_NS21CountingInputIteratorIllEEPS6_NSA_22TransformInputIteratorIb7NonZeroIdEPdlEENS0_5tupleIJPlS6_EEENSJ_IJSD_SD_EEES6_SK_JS6_EEE10hipError_tPvRmT3_T4_T5_T6_T7_T9_mT8_P12ihipStream_tbDpT10_ENKUlT_T0_E_clISt17integral_constantIbLb1EES16_EEDaS11_S12_EUlS11_E_NS1_11comp_targetILNS1_3genE9ELNS1_11target_archE1100ELNS1_3gpuE3ELNS1_3repE0EEENS1_30default_config_static_selectorELNS0_4arch9wavefront6targetE1EEEvT1_
; %bb.0:
	.section	.rodata,"a",@progbits
	.p2align	6, 0x0
	.amdhsa_kernel _ZN7rocprim17ROCPRIM_400000_NS6detail17trampoline_kernelINS0_14default_configENS1_25partition_config_selectorILNS1_17partition_subalgoE5ElNS0_10empty_typeEbEEZZNS1_14partition_implILS5_5ELb0ES3_mN6hipcub16HIPCUB_304000_NS21CountingInputIteratorIllEEPS6_NSA_22TransformInputIteratorIb7NonZeroIdEPdlEENS0_5tupleIJPlS6_EEENSJ_IJSD_SD_EEES6_SK_JS6_EEE10hipError_tPvRmT3_T4_T5_T6_T7_T9_mT8_P12ihipStream_tbDpT10_ENKUlT_T0_E_clISt17integral_constantIbLb1EES16_EEDaS11_S12_EUlS11_E_NS1_11comp_targetILNS1_3genE9ELNS1_11target_archE1100ELNS1_3gpuE3ELNS1_3repE0EEENS1_30default_config_static_selectorELNS0_4arch9wavefront6targetE1EEEvT1_
		.amdhsa_group_segment_fixed_size 0
		.amdhsa_private_segment_fixed_size 0
		.amdhsa_kernarg_size 136
		.amdhsa_user_sgpr_count 2
		.amdhsa_user_sgpr_dispatch_ptr 0
		.amdhsa_user_sgpr_queue_ptr 0
		.amdhsa_user_sgpr_kernarg_segment_ptr 1
		.amdhsa_user_sgpr_dispatch_id 0
		.amdhsa_user_sgpr_kernarg_preload_length 0
		.amdhsa_user_sgpr_kernarg_preload_offset 0
		.amdhsa_user_sgpr_private_segment_size 0
		.amdhsa_uses_dynamic_stack 0
		.amdhsa_enable_private_segment 0
		.amdhsa_system_sgpr_workgroup_id_x 1
		.amdhsa_system_sgpr_workgroup_id_y 0
		.amdhsa_system_sgpr_workgroup_id_z 0
		.amdhsa_system_sgpr_workgroup_info 0
		.amdhsa_system_vgpr_workitem_id 0
		.amdhsa_next_free_vgpr 1
		.amdhsa_next_free_sgpr 0
		.amdhsa_accum_offset 4
		.amdhsa_reserve_vcc 0
		.amdhsa_float_round_mode_32 0
		.amdhsa_float_round_mode_16_64 0
		.amdhsa_float_denorm_mode_32 3
		.amdhsa_float_denorm_mode_16_64 3
		.amdhsa_dx10_clamp 1
		.amdhsa_ieee_mode 1
		.amdhsa_fp16_overflow 0
		.amdhsa_tg_split 0
		.amdhsa_exception_fp_ieee_invalid_op 0
		.amdhsa_exception_fp_denorm_src 0
		.amdhsa_exception_fp_ieee_div_zero 0
		.amdhsa_exception_fp_ieee_overflow 0
		.amdhsa_exception_fp_ieee_underflow 0
		.amdhsa_exception_fp_ieee_inexact 0
		.amdhsa_exception_int_div_zero 0
	.end_amdhsa_kernel
	.section	.text._ZN7rocprim17ROCPRIM_400000_NS6detail17trampoline_kernelINS0_14default_configENS1_25partition_config_selectorILNS1_17partition_subalgoE5ElNS0_10empty_typeEbEEZZNS1_14partition_implILS5_5ELb0ES3_mN6hipcub16HIPCUB_304000_NS21CountingInputIteratorIllEEPS6_NSA_22TransformInputIteratorIb7NonZeroIdEPdlEENS0_5tupleIJPlS6_EEENSJ_IJSD_SD_EEES6_SK_JS6_EEE10hipError_tPvRmT3_T4_T5_T6_T7_T9_mT8_P12ihipStream_tbDpT10_ENKUlT_T0_E_clISt17integral_constantIbLb1EES16_EEDaS11_S12_EUlS11_E_NS1_11comp_targetILNS1_3genE9ELNS1_11target_archE1100ELNS1_3gpuE3ELNS1_3repE0EEENS1_30default_config_static_selectorELNS0_4arch9wavefront6targetE1EEEvT1_,"axG",@progbits,_ZN7rocprim17ROCPRIM_400000_NS6detail17trampoline_kernelINS0_14default_configENS1_25partition_config_selectorILNS1_17partition_subalgoE5ElNS0_10empty_typeEbEEZZNS1_14partition_implILS5_5ELb0ES3_mN6hipcub16HIPCUB_304000_NS21CountingInputIteratorIllEEPS6_NSA_22TransformInputIteratorIb7NonZeroIdEPdlEENS0_5tupleIJPlS6_EEENSJ_IJSD_SD_EEES6_SK_JS6_EEE10hipError_tPvRmT3_T4_T5_T6_T7_T9_mT8_P12ihipStream_tbDpT10_ENKUlT_T0_E_clISt17integral_constantIbLb1EES16_EEDaS11_S12_EUlS11_E_NS1_11comp_targetILNS1_3genE9ELNS1_11target_archE1100ELNS1_3gpuE3ELNS1_3repE0EEENS1_30default_config_static_selectorELNS0_4arch9wavefront6targetE1EEEvT1_,comdat
.Lfunc_end335:
	.size	_ZN7rocprim17ROCPRIM_400000_NS6detail17trampoline_kernelINS0_14default_configENS1_25partition_config_selectorILNS1_17partition_subalgoE5ElNS0_10empty_typeEbEEZZNS1_14partition_implILS5_5ELb0ES3_mN6hipcub16HIPCUB_304000_NS21CountingInputIteratorIllEEPS6_NSA_22TransformInputIteratorIb7NonZeroIdEPdlEENS0_5tupleIJPlS6_EEENSJ_IJSD_SD_EEES6_SK_JS6_EEE10hipError_tPvRmT3_T4_T5_T6_T7_T9_mT8_P12ihipStream_tbDpT10_ENKUlT_T0_E_clISt17integral_constantIbLb1EES16_EEDaS11_S12_EUlS11_E_NS1_11comp_targetILNS1_3genE9ELNS1_11target_archE1100ELNS1_3gpuE3ELNS1_3repE0EEENS1_30default_config_static_selectorELNS0_4arch9wavefront6targetE1EEEvT1_, .Lfunc_end335-_ZN7rocprim17ROCPRIM_400000_NS6detail17trampoline_kernelINS0_14default_configENS1_25partition_config_selectorILNS1_17partition_subalgoE5ElNS0_10empty_typeEbEEZZNS1_14partition_implILS5_5ELb0ES3_mN6hipcub16HIPCUB_304000_NS21CountingInputIteratorIllEEPS6_NSA_22TransformInputIteratorIb7NonZeroIdEPdlEENS0_5tupleIJPlS6_EEENSJ_IJSD_SD_EEES6_SK_JS6_EEE10hipError_tPvRmT3_T4_T5_T6_T7_T9_mT8_P12ihipStream_tbDpT10_ENKUlT_T0_E_clISt17integral_constantIbLb1EES16_EEDaS11_S12_EUlS11_E_NS1_11comp_targetILNS1_3genE9ELNS1_11target_archE1100ELNS1_3gpuE3ELNS1_3repE0EEENS1_30default_config_static_selectorELNS0_4arch9wavefront6targetE1EEEvT1_
                                        ; -- End function
	.set _ZN7rocprim17ROCPRIM_400000_NS6detail17trampoline_kernelINS0_14default_configENS1_25partition_config_selectorILNS1_17partition_subalgoE5ElNS0_10empty_typeEbEEZZNS1_14partition_implILS5_5ELb0ES3_mN6hipcub16HIPCUB_304000_NS21CountingInputIteratorIllEEPS6_NSA_22TransformInputIteratorIb7NonZeroIdEPdlEENS0_5tupleIJPlS6_EEENSJ_IJSD_SD_EEES6_SK_JS6_EEE10hipError_tPvRmT3_T4_T5_T6_T7_T9_mT8_P12ihipStream_tbDpT10_ENKUlT_T0_E_clISt17integral_constantIbLb1EES16_EEDaS11_S12_EUlS11_E_NS1_11comp_targetILNS1_3genE9ELNS1_11target_archE1100ELNS1_3gpuE3ELNS1_3repE0EEENS1_30default_config_static_selectorELNS0_4arch9wavefront6targetE1EEEvT1_.num_vgpr, 0
	.set _ZN7rocprim17ROCPRIM_400000_NS6detail17trampoline_kernelINS0_14default_configENS1_25partition_config_selectorILNS1_17partition_subalgoE5ElNS0_10empty_typeEbEEZZNS1_14partition_implILS5_5ELb0ES3_mN6hipcub16HIPCUB_304000_NS21CountingInputIteratorIllEEPS6_NSA_22TransformInputIteratorIb7NonZeroIdEPdlEENS0_5tupleIJPlS6_EEENSJ_IJSD_SD_EEES6_SK_JS6_EEE10hipError_tPvRmT3_T4_T5_T6_T7_T9_mT8_P12ihipStream_tbDpT10_ENKUlT_T0_E_clISt17integral_constantIbLb1EES16_EEDaS11_S12_EUlS11_E_NS1_11comp_targetILNS1_3genE9ELNS1_11target_archE1100ELNS1_3gpuE3ELNS1_3repE0EEENS1_30default_config_static_selectorELNS0_4arch9wavefront6targetE1EEEvT1_.num_agpr, 0
	.set _ZN7rocprim17ROCPRIM_400000_NS6detail17trampoline_kernelINS0_14default_configENS1_25partition_config_selectorILNS1_17partition_subalgoE5ElNS0_10empty_typeEbEEZZNS1_14partition_implILS5_5ELb0ES3_mN6hipcub16HIPCUB_304000_NS21CountingInputIteratorIllEEPS6_NSA_22TransformInputIteratorIb7NonZeroIdEPdlEENS0_5tupleIJPlS6_EEENSJ_IJSD_SD_EEES6_SK_JS6_EEE10hipError_tPvRmT3_T4_T5_T6_T7_T9_mT8_P12ihipStream_tbDpT10_ENKUlT_T0_E_clISt17integral_constantIbLb1EES16_EEDaS11_S12_EUlS11_E_NS1_11comp_targetILNS1_3genE9ELNS1_11target_archE1100ELNS1_3gpuE3ELNS1_3repE0EEENS1_30default_config_static_selectorELNS0_4arch9wavefront6targetE1EEEvT1_.numbered_sgpr, 0
	.set _ZN7rocprim17ROCPRIM_400000_NS6detail17trampoline_kernelINS0_14default_configENS1_25partition_config_selectorILNS1_17partition_subalgoE5ElNS0_10empty_typeEbEEZZNS1_14partition_implILS5_5ELb0ES3_mN6hipcub16HIPCUB_304000_NS21CountingInputIteratorIllEEPS6_NSA_22TransformInputIteratorIb7NonZeroIdEPdlEENS0_5tupleIJPlS6_EEENSJ_IJSD_SD_EEES6_SK_JS6_EEE10hipError_tPvRmT3_T4_T5_T6_T7_T9_mT8_P12ihipStream_tbDpT10_ENKUlT_T0_E_clISt17integral_constantIbLb1EES16_EEDaS11_S12_EUlS11_E_NS1_11comp_targetILNS1_3genE9ELNS1_11target_archE1100ELNS1_3gpuE3ELNS1_3repE0EEENS1_30default_config_static_selectorELNS0_4arch9wavefront6targetE1EEEvT1_.num_named_barrier, 0
	.set _ZN7rocprim17ROCPRIM_400000_NS6detail17trampoline_kernelINS0_14default_configENS1_25partition_config_selectorILNS1_17partition_subalgoE5ElNS0_10empty_typeEbEEZZNS1_14partition_implILS5_5ELb0ES3_mN6hipcub16HIPCUB_304000_NS21CountingInputIteratorIllEEPS6_NSA_22TransformInputIteratorIb7NonZeroIdEPdlEENS0_5tupleIJPlS6_EEENSJ_IJSD_SD_EEES6_SK_JS6_EEE10hipError_tPvRmT3_T4_T5_T6_T7_T9_mT8_P12ihipStream_tbDpT10_ENKUlT_T0_E_clISt17integral_constantIbLb1EES16_EEDaS11_S12_EUlS11_E_NS1_11comp_targetILNS1_3genE9ELNS1_11target_archE1100ELNS1_3gpuE3ELNS1_3repE0EEENS1_30default_config_static_selectorELNS0_4arch9wavefront6targetE1EEEvT1_.private_seg_size, 0
	.set _ZN7rocprim17ROCPRIM_400000_NS6detail17trampoline_kernelINS0_14default_configENS1_25partition_config_selectorILNS1_17partition_subalgoE5ElNS0_10empty_typeEbEEZZNS1_14partition_implILS5_5ELb0ES3_mN6hipcub16HIPCUB_304000_NS21CountingInputIteratorIllEEPS6_NSA_22TransformInputIteratorIb7NonZeroIdEPdlEENS0_5tupleIJPlS6_EEENSJ_IJSD_SD_EEES6_SK_JS6_EEE10hipError_tPvRmT3_T4_T5_T6_T7_T9_mT8_P12ihipStream_tbDpT10_ENKUlT_T0_E_clISt17integral_constantIbLb1EES16_EEDaS11_S12_EUlS11_E_NS1_11comp_targetILNS1_3genE9ELNS1_11target_archE1100ELNS1_3gpuE3ELNS1_3repE0EEENS1_30default_config_static_selectorELNS0_4arch9wavefront6targetE1EEEvT1_.uses_vcc, 0
	.set _ZN7rocprim17ROCPRIM_400000_NS6detail17trampoline_kernelINS0_14default_configENS1_25partition_config_selectorILNS1_17partition_subalgoE5ElNS0_10empty_typeEbEEZZNS1_14partition_implILS5_5ELb0ES3_mN6hipcub16HIPCUB_304000_NS21CountingInputIteratorIllEEPS6_NSA_22TransformInputIteratorIb7NonZeroIdEPdlEENS0_5tupleIJPlS6_EEENSJ_IJSD_SD_EEES6_SK_JS6_EEE10hipError_tPvRmT3_T4_T5_T6_T7_T9_mT8_P12ihipStream_tbDpT10_ENKUlT_T0_E_clISt17integral_constantIbLb1EES16_EEDaS11_S12_EUlS11_E_NS1_11comp_targetILNS1_3genE9ELNS1_11target_archE1100ELNS1_3gpuE3ELNS1_3repE0EEENS1_30default_config_static_selectorELNS0_4arch9wavefront6targetE1EEEvT1_.uses_flat_scratch, 0
	.set _ZN7rocprim17ROCPRIM_400000_NS6detail17trampoline_kernelINS0_14default_configENS1_25partition_config_selectorILNS1_17partition_subalgoE5ElNS0_10empty_typeEbEEZZNS1_14partition_implILS5_5ELb0ES3_mN6hipcub16HIPCUB_304000_NS21CountingInputIteratorIllEEPS6_NSA_22TransformInputIteratorIb7NonZeroIdEPdlEENS0_5tupleIJPlS6_EEENSJ_IJSD_SD_EEES6_SK_JS6_EEE10hipError_tPvRmT3_T4_T5_T6_T7_T9_mT8_P12ihipStream_tbDpT10_ENKUlT_T0_E_clISt17integral_constantIbLb1EES16_EEDaS11_S12_EUlS11_E_NS1_11comp_targetILNS1_3genE9ELNS1_11target_archE1100ELNS1_3gpuE3ELNS1_3repE0EEENS1_30default_config_static_selectorELNS0_4arch9wavefront6targetE1EEEvT1_.has_dyn_sized_stack, 0
	.set _ZN7rocprim17ROCPRIM_400000_NS6detail17trampoline_kernelINS0_14default_configENS1_25partition_config_selectorILNS1_17partition_subalgoE5ElNS0_10empty_typeEbEEZZNS1_14partition_implILS5_5ELb0ES3_mN6hipcub16HIPCUB_304000_NS21CountingInputIteratorIllEEPS6_NSA_22TransformInputIteratorIb7NonZeroIdEPdlEENS0_5tupleIJPlS6_EEENSJ_IJSD_SD_EEES6_SK_JS6_EEE10hipError_tPvRmT3_T4_T5_T6_T7_T9_mT8_P12ihipStream_tbDpT10_ENKUlT_T0_E_clISt17integral_constantIbLb1EES16_EEDaS11_S12_EUlS11_E_NS1_11comp_targetILNS1_3genE9ELNS1_11target_archE1100ELNS1_3gpuE3ELNS1_3repE0EEENS1_30default_config_static_selectorELNS0_4arch9wavefront6targetE1EEEvT1_.has_recursion, 0
	.set _ZN7rocprim17ROCPRIM_400000_NS6detail17trampoline_kernelINS0_14default_configENS1_25partition_config_selectorILNS1_17partition_subalgoE5ElNS0_10empty_typeEbEEZZNS1_14partition_implILS5_5ELb0ES3_mN6hipcub16HIPCUB_304000_NS21CountingInputIteratorIllEEPS6_NSA_22TransformInputIteratorIb7NonZeroIdEPdlEENS0_5tupleIJPlS6_EEENSJ_IJSD_SD_EEES6_SK_JS6_EEE10hipError_tPvRmT3_T4_T5_T6_T7_T9_mT8_P12ihipStream_tbDpT10_ENKUlT_T0_E_clISt17integral_constantIbLb1EES16_EEDaS11_S12_EUlS11_E_NS1_11comp_targetILNS1_3genE9ELNS1_11target_archE1100ELNS1_3gpuE3ELNS1_3repE0EEENS1_30default_config_static_selectorELNS0_4arch9wavefront6targetE1EEEvT1_.has_indirect_call, 0
	.section	.AMDGPU.csdata,"",@progbits
; Kernel info:
; codeLenInByte = 0
; TotalNumSgprs: 6
; NumVgprs: 0
; NumAgprs: 0
; TotalNumVgprs: 0
; ScratchSize: 0
; MemoryBound: 0
; FloatMode: 240
; IeeeMode: 1
; LDSByteSize: 0 bytes/workgroup (compile time only)
; SGPRBlocks: 0
; VGPRBlocks: 0
; NumSGPRsForWavesPerEU: 6
; NumVGPRsForWavesPerEU: 1
; AccumOffset: 4
; Occupancy: 8
; WaveLimiterHint : 0
; COMPUTE_PGM_RSRC2:SCRATCH_EN: 0
; COMPUTE_PGM_RSRC2:USER_SGPR: 2
; COMPUTE_PGM_RSRC2:TRAP_HANDLER: 0
; COMPUTE_PGM_RSRC2:TGID_X_EN: 1
; COMPUTE_PGM_RSRC2:TGID_Y_EN: 0
; COMPUTE_PGM_RSRC2:TGID_Z_EN: 0
; COMPUTE_PGM_RSRC2:TIDIG_COMP_CNT: 0
; COMPUTE_PGM_RSRC3_GFX90A:ACCUM_OFFSET: 0
; COMPUTE_PGM_RSRC3_GFX90A:TG_SPLIT: 0
	.section	.text._ZN7rocprim17ROCPRIM_400000_NS6detail17trampoline_kernelINS0_14default_configENS1_25partition_config_selectorILNS1_17partition_subalgoE5ElNS0_10empty_typeEbEEZZNS1_14partition_implILS5_5ELb0ES3_mN6hipcub16HIPCUB_304000_NS21CountingInputIteratorIllEEPS6_NSA_22TransformInputIteratorIb7NonZeroIdEPdlEENS0_5tupleIJPlS6_EEENSJ_IJSD_SD_EEES6_SK_JS6_EEE10hipError_tPvRmT3_T4_T5_T6_T7_T9_mT8_P12ihipStream_tbDpT10_ENKUlT_T0_E_clISt17integral_constantIbLb1EES16_EEDaS11_S12_EUlS11_E_NS1_11comp_targetILNS1_3genE8ELNS1_11target_archE1030ELNS1_3gpuE2ELNS1_3repE0EEENS1_30default_config_static_selectorELNS0_4arch9wavefront6targetE1EEEvT1_,"axG",@progbits,_ZN7rocprim17ROCPRIM_400000_NS6detail17trampoline_kernelINS0_14default_configENS1_25partition_config_selectorILNS1_17partition_subalgoE5ElNS0_10empty_typeEbEEZZNS1_14partition_implILS5_5ELb0ES3_mN6hipcub16HIPCUB_304000_NS21CountingInputIteratorIllEEPS6_NSA_22TransformInputIteratorIb7NonZeroIdEPdlEENS0_5tupleIJPlS6_EEENSJ_IJSD_SD_EEES6_SK_JS6_EEE10hipError_tPvRmT3_T4_T5_T6_T7_T9_mT8_P12ihipStream_tbDpT10_ENKUlT_T0_E_clISt17integral_constantIbLb1EES16_EEDaS11_S12_EUlS11_E_NS1_11comp_targetILNS1_3genE8ELNS1_11target_archE1030ELNS1_3gpuE2ELNS1_3repE0EEENS1_30default_config_static_selectorELNS0_4arch9wavefront6targetE1EEEvT1_,comdat
	.protected	_ZN7rocprim17ROCPRIM_400000_NS6detail17trampoline_kernelINS0_14default_configENS1_25partition_config_selectorILNS1_17partition_subalgoE5ElNS0_10empty_typeEbEEZZNS1_14partition_implILS5_5ELb0ES3_mN6hipcub16HIPCUB_304000_NS21CountingInputIteratorIllEEPS6_NSA_22TransformInputIteratorIb7NonZeroIdEPdlEENS0_5tupleIJPlS6_EEENSJ_IJSD_SD_EEES6_SK_JS6_EEE10hipError_tPvRmT3_T4_T5_T6_T7_T9_mT8_P12ihipStream_tbDpT10_ENKUlT_T0_E_clISt17integral_constantIbLb1EES16_EEDaS11_S12_EUlS11_E_NS1_11comp_targetILNS1_3genE8ELNS1_11target_archE1030ELNS1_3gpuE2ELNS1_3repE0EEENS1_30default_config_static_selectorELNS0_4arch9wavefront6targetE1EEEvT1_ ; -- Begin function _ZN7rocprim17ROCPRIM_400000_NS6detail17trampoline_kernelINS0_14default_configENS1_25partition_config_selectorILNS1_17partition_subalgoE5ElNS0_10empty_typeEbEEZZNS1_14partition_implILS5_5ELb0ES3_mN6hipcub16HIPCUB_304000_NS21CountingInputIteratorIllEEPS6_NSA_22TransformInputIteratorIb7NonZeroIdEPdlEENS0_5tupleIJPlS6_EEENSJ_IJSD_SD_EEES6_SK_JS6_EEE10hipError_tPvRmT3_T4_T5_T6_T7_T9_mT8_P12ihipStream_tbDpT10_ENKUlT_T0_E_clISt17integral_constantIbLb1EES16_EEDaS11_S12_EUlS11_E_NS1_11comp_targetILNS1_3genE8ELNS1_11target_archE1030ELNS1_3gpuE2ELNS1_3repE0EEENS1_30default_config_static_selectorELNS0_4arch9wavefront6targetE1EEEvT1_
	.globl	_ZN7rocprim17ROCPRIM_400000_NS6detail17trampoline_kernelINS0_14default_configENS1_25partition_config_selectorILNS1_17partition_subalgoE5ElNS0_10empty_typeEbEEZZNS1_14partition_implILS5_5ELb0ES3_mN6hipcub16HIPCUB_304000_NS21CountingInputIteratorIllEEPS6_NSA_22TransformInputIteratorIb7NonZeroIdEPdlEENS0_5tupleIJPlS6_EEENSJ_IJSD_SD_EEES6_SK_JS6_EEE10hipError_tPvRmT3_T4_T5_T6_T7_T9_mT8_P12ihipStream_tbDpT10_ENKUlT_T0_E_clISt17integral_constantIbLb1EES16_EEDaS11_S12_EUlS11_E_NS1_11comp_targetILNS1_3genE8ELNS1_11target_archE1030ELNS1_3gpuE2ELNS1_3repE0EEENS1_30default_config_static_selectorELNS0_4arch9wavefront6targetE1EEEvT1_
	.p2align	8
	.type	_ZN7rocprim17ROCPRIM_400000_NS6detail17trampoline_kernelINS0_14default_configENS1_25partition_config_selectorILNS1_17partition_subalgoE5ElNS0_10empty_typeEbEEZZNS1_14partition_implILS5_5ELb0ES3_mN6hipcub16HIPCUB_304000_NS21CountingInputIteratorIllEEPS6_NSA_22TransformInputIteratorIb7NonZeroIdEPdlEENS0_5tupleIJPlS6_EEENSJ_IJSD_SD_EEES6_SK_JS6_EEE10hipError_tPvRmT3_T4_T5_T6_T7_T9_mT8_P12ihipStream_tbDpT10_ENKUlT_T0_E_clISt17integral_constantIbLb1EES16_EEDaS11_S12_EUlS11_E_NS1_11comp_targetILNS1_3genE8ELNS1_11target_archE1030ELNS1_3gpuE2ELNS1_3repE0EEENS1_30default_config_static_selectorELNS0_4arch9wavefront6targetE1EEEvT1_,@function
_ZN7rocprim17ROCPRIM_400000_NS6detail17trampoline_kernelINS0_14default_configENS1_25partition_config_selectorILNS1_17partition_subalgoE5ElNS0_10empty_typeEbEEZZNS1_14partition_implILS5_5ELb0ES3_mN6hipcub16HIPCUB_304000_NS21CountingInputIteratorIllEEPS6_NSA_22TransformInputIteratorIb7NonZeroIdEPdlEENS0_5tupleIJPlS6_EEENSJ_IJSD_SD_EEES6_SK_JS6_EEE10hipError_tPvRmT3_T4_T5_T6_T7_T9_mT8_P12ihipStream_tbDpT10_ENKUlT_T0_E_clISt17integral_constantIbLb1EES16_EEDaS11_S12_EUlS11_E_NS1_11comp_targetILNS1_3genE8ELNS1_11target_archE1030ELNS1_3gpuE2ELNS1_3repE0EEENS1_30default_config_static_selectorELNS0_4arch9wavefront6targetE1EEEvT1_: ; @_ZN7rocprim17ROCPRIM_400000_NS6detail17trampoline_kernelINS0_14default_configENS1_25partition_config_selectorILNS1_17partition_subalgoE5ElNS0_10empty_typeEbEEZZNS1_14partition_implILS5_5ELb0ES3_mN6hipcub16HIPCUB_304000_NS21CountingInputIteratorIllEEPS6_NSA_22TransformInputIteratorIb7NonZeroIdEPdlEENS0_5tupleIJPlS6_EEENSJ_IJSD_SD_EEES6_SK_JS6_EEE10hipError_tPvRmT3_T4_T5_T6_T7_T9_mT8_P12ihipStream_tbDpT10_ENKUlT_T0_E_clISt17integral_constantIbLb1EES16_EEDaS11_S12_EUlS11_E_NS1_11comp_targetILNS1_3genE8ELNS1_11target_archE1030ELNS1_3gpuE2ELNS1_3repE0EEENS1_30default_config_static_selectorELNS0_4arch9wavefront6targetE1EEEvT1_
; %bb.0:
	.section	.rodata,"a",@progbits
	.p2align	6, 0x0
	.amdhsa_kernel _ZN7rocprim17ROCPRIM_400000_NS6detail17trampoline_kernelINS0_14default_configENS1_25partition_config_selectorILNS1_17partition_subalgoE5ElNS0_10empty_typeEbEEZZNS1_14partition_implILS5_5ELb0ES3_mN6hipcub16HIPCUB_304000_NS21CountingInputIteratorIllEEPS6_NSA_22TransformInputIteratorIb7NonZeroIdEPdlEENS0_5tupleIJPlS6_EEENSJ_IJSD_SD_EEES6_SK_JS6_EEE10hipError_tPvRmT3_T4_T5_T6_T7_T9_mT8_P12ihipStream_tbDpT10_ENKUlT_T0_E_clISt17integral_constantIbLb1EES16_EEDaS11_S12_EUlS11_E_NS1_11comp_targetILNS1_3genE8ELNS1_11target_archE1030ELNS1_3gpuE2ELNS1_3repE0EEENS1_30default_config_static_selectorELNS0_4arch9wavefront6targetE1EEEvT1_
		.amdhsa_group_segment_fixed_size 0
		.amdhsa_private_segment_fixed_size 0
		.amdhsa_kernarg_size 136
		.amdhsa_user_sgpr_count 2
		.amdhsa_user_sgpr_dispatch_ptr 0
		.amdhsa_user_sgpr_queue_ptr 0
		.amdhsa_user_sgpr_kernarg_segment_ptr 1
		.amdhsa_user_sgpr_dispatch_id 0
		.amdhsa_user_sgpr_kernarg_preload_length 0
		.amdhsa_user_sgpr_kernarg_preload_offset 0
		.amdhsa_user_sgpr_private_segment_size 0
		.amdhsa_uses_dynamic_stack 0
		.amdhsa_enable_private_segment 0
		.amdhsa_system_sgpr_workgroup_id_x 1
		.amdhsa_system_sgpr_workgroup_id_y 0
		.amdhsa_system_sgpr_workgroup_id_z 0
		.amdhsa_system_sgpr_workgroup_info 0
		.amdhsa_system_vgpr_workitem_id 0
		.amdhsa_next_free_vgpr 1
		.amdhsa_next_free_sgpr 0
		.amdhsa_accum_offset 4
		.amdhsa_reserve_vcc 0
		.amdhsa_float_round_mode_32 0
		.amdhsa_float_round_mode_16_64 0
		.amdhsa_float_denorm_mode_32 3
		.amdhsa_float_denorm_mode_16_64 3
		.amdhsa_dx10_clamp 1
		.amdhsa_ieee_mode 1
		.amdhsa_fp16_overflow 0
		.amdhsa_tg_split 0
		.amdhsa_exception_fp_ieee_invalid_op 0
		.amdhsa_exception_fp_denorm_src 0
		.amdhsa_exception_fp_ieee_div_zero 0
		.amdhsa_exception_fp_ieee_overflow 0
		.amdhsa_exception_fp_ieee_underflow 0
		.amdhsa_exception_fp_ieee_inexact 0
		.amdhsa_exception_int_div_zero 0
	.end_amdhsa_kernel
	.section	.text._ZN7rocprim17ROCPRIM_400000_NS6detail17trampoline_kernelINS0_14default_configENS1_25partition_config_selectorILNS1_17partition_subalgoE5ElNS0_10empty_typeEbEEZZNS1_14partition_implILS5_5ELb0ES3_mN6hipcub16HIPCUB_304000_NS21CountingInputIteratorIllEEPS6_NSA_22TransformInputIteratorIb7NonZeroIdEPdlEENS0_5tupleIJPlS6_EEENSJ_IJSD_SD_EEES6_SK_JS6_EEE10hipError_tPvRmT3_T4_T5_T6_T7_T9_mT8_P12ihipStream_tbDpT10_ENKUlT_T0_E_clISt17integral_constantIbLb1EES16_EEDaS11_S12_EUlS11_E_NS1_11comp_targetILNS1_3genE8ELNS1_11target_archE1030ELNS1_3gpuE2ELNS1_3repE0EEENS1_30default_config_static_selectorELNS0_4arch9wavefront6targetE1EEEvT1_,"axG",@progbits,_ZN7rocprim17ROCPRIM_400000_NS6detail17trampoline_kernelINS0_14default_configENS1_25partition_config_selectorILNS1_17partition_subalgoE5ElNS0_10empty_typeEbEEZZNS1_14partition_implILS5_5ELb0ES3_mN6hipcub16HIPCUB_304000_NS21CountingInputIteratorIllEEPS6_NSA_22TransformInputIteratorIb7NonZeroIdEPdlEENS0_5tupleIJPlS6_EEENSJ_IJSD_SD_EEES6_SK_JS6_EEE10hipError_tPvRmT3_T4_T5_T6_T7_T9_mT8_P12ihipStream_tbDpT10_ENKUlT_T0_E_clISt17integral_constantIbLb1EES16_EEDaS11_S12_EUlS11_E_NS1_11comp_targetILNS1_3genE8ELNS1_11target_archE1030ELNS1_3gpuE2ELNS1_3repE0EEENS1_30default_config_static_selectorELNS0_4arch9wavefront6targetE1EEEvT1_,comdat
.Lfunc_end336:
	.size	_ZN7rocprim17ROCPRIM_400000_NS6detail17trampoline_kernelINS0_14default_configENS1_25partition_config_selectorILNS1_17partition_subalgoE5ElNS0_10empty_typeEbEEZZNS1_14partition_implILS5_5ELb0ES3_mN6hipcub16HIPCUB_304000_NS21CountingInputIteratorIllEEPS6_NSA_22TransformInputIteratorIb7NonZeroIdEPdlEENS0_5tupleIJPlS6_EEENSJ_IJSD_SD_EEES6_SK_JS6_EEE10hipError_tPvRmT3_T4_T5_T6_T7_T9_mT8_P12ihipStream_tbDpT10_ENKUlT_T0_E_clISt17integral_constantIbLb1EES16_EEDaS11_S12_EUlS11_E_NS1_11comp_targetILNS1_3genE8ELNS1_11target_archE1030ELNS1_3gpuE2ELNS1_3repE0EEENS1_30default_config_static_selectorELNS0_4arch9wavefront6targetE1EEEvT1_, .Lfunc_end336-_ZN7rocprim17ROCPRIM_400000_NS6detail17trampoline_kernelINS0_14default_configENS1_25partition_config_selectorILNS1_17partition_subalgoE5ElNS0_10empty_typeEbEEZZNS1_14partition_implILS5_5ELb0ES3_mN6hipcub16HIPCUB_304000_NS21CountingInputIteratorIllEEPS6_NSA_22TransformInputIteratorIb7NonZeroIdEPdlEENS0_5tupleIJPlS6_EEENSJ_IJSD_SD_EEES6_SK_JS6_EEE10hipError_tPvRmT3_T4_T5_T6_T7_T9_mT8_P12ihipStream_tbDpT10_ENKUlT_T0_E_clISt17integral_constantIbLb1EES16_EEDaS11_S12_EUlS11_E_NS1_11comp_targetILNS1_3genE8ELNS1_11target_archE1030ELNS1_3gpuE2ELNS1_3repE0EEENS1_30default_config_static_selectorELNS0_4arch9wavefront6targetE1EEEvT1_
                                        ; -- End function
	.set _ZN7rocprim17ROCPRIM_400000_NS6detail17trampoline_kernelINS0_14default_configENS1_25partition_config_selectorILNS1_17partition_subalgoE5ElNS0_10empty_typeEbEEZZNS1_14partition_implILS5_5ELb0ES3_mN6hipcub16HIPCUB_304000_NS21CountingInputIteratorIllEEPS6_NSA_22TransformInputIteratorIb7NonZeroIdEPdlEENS0_5tupleIJPlS6_EEENSJ_IJSD_SD_EEES6_SK_JS6_EEE10hipError_tPvRmT3_T4_T5_T6_T7_T9_mT8_P12ihipStream_tbDpT10_ENKUlT_T0_E_clISt17integral_constantIbLb1EES16_EEDaS11_S12_EUlS11_E_NS1_11comp_targetILNS1_3genE8ELNS1_11target_archE1030ELNS1_3gpuE2ELNS1_3repE0EEENS1_30default_config_static_selectorELNS0_4arch9wavefront6targetE1EEEvT1_.num_vgpr, 0
	.set _ZN7rocprim17ROCPRIM_400000_NS6detail17trampoline_kernelINS0_14default_configENS1_25partition_config_selectorILNS1_17partition_subalgoE5ElNS0_10empty_typeEbEEZZNS1_14partition_implILS5_5ELb0ES3_mN6hipcub16HIPCUB_304000_NS21CountingInputIteratorIllEEPS6_NSA_22TransformInputIteratorIb7NonZeroIdEPdlEENS0_5tupleIJPlS6_EEENSJ_IJSD_SD_EEES6_SK_JS6_EEE10hipError_tPvRmT3_T4_T5_T6_T7_T9_mT8_P12ihipStream_tbDpT10_ENKUlT_T0_E_clISt17integral_constantIbLb1EES16_EEDaS11_S12_EUlS11_E_NS1_11comp_targetILNS1_3genE8ELNS1_11target_archE1030ELNS1_3gpuE2ELNS1_3repE0EEENS1_30default_config_static_selectorELNS0_4arch9wavefront6targetE1EEEvT1_.num_agpr, 0
	.set _ZN7rocprim17ROCPRIM_400000_NS6detail17trampoline_kernelINS0_14default_configENS1_25partition_config_selectorILNS1_17partition_subalgoE5ElNS0_10empty_typeEbEEZZNS1_14partition_implILS5_5ELb0ES3_mN6hipcub16HIPCUB_304000_NS21CountingInputIteratorIllEEPS6_NSA_22TransformInputIteratorIb7NonZeroIdEPdlEENS0_5tupleIJPlS6_EEENSJ_IJSD_SD_EEES6_SK_JS6_EEE10hipError_tPvRmT3_T4_T5_T6_T7_T9_mT8_P12ihipStream_tbDpT10_ENKUlT_T0_E_clISt17integral_constantIbLb1EES16_EEDaS11_S12_EUlS11_E_NS1_11comp_targetILNS1_3genE8ELNS1_11target_archE1030ELNS1_3gpuE2ELNS1_3repE0EEENS1_30default_config_static_selectorELNS0_4arch9wavefront6targetE1EEEvT1_.numbered_sgpr, 0
	.set _ZN7rocprim17ROCPRIM_400000_NS6detail17trampoline_kernelINS0_14default_configENS1_25partition_config_selectorILNS1_17partition_subalgoE5ElNS0_10empty_typeEbEEZZNS1_14partition_implILS5_5ELb0ES3_mN6hipcub16HIPCUB_304000_NS21CountingInputIteratorIllEEPS6_NSA_22TransformInputIteratorIb7NonZeroIdEPdlEENS0_5tupleIJPlS6_EEENSJ_IJSD_SD_EEES6_SK_JS6_EEE10hipError_tPvRmT3_T4_T5_T6_T7_T9_mT8_P12ihipStream_tbDpT10_ENKUlT_T0_E_clISt17integral_constantIbLb1EES16_EEDaS11_S12_EUlS11_E_NS1_11comp_targetILNS1_3genE8ELNS1_11target_archE1030ELNS1_3gpuE2ELNS1_3repE0EEENS1_30default_config_static_selectorELNS0_4arch9wavefront6targetE1EEEvT1_.num_named_barrier, 0
	.set _ZN7rocprim17ROCPRIM_400000_NS6detail17trampoline_kernelINS0_14default_configENS1_25partition_config_selectorILNS1_17partition_subalgoE5ElNS0_10empty_typeEbEEZZNS1_14partition_implILS5_5ELb0ES3_mN6hipcub16HIPCUB_304000_NS21CountingInputIteratorIllEEPS6_NSA_22TransformInputIteratorIb7NonZeroIdEPdlEENS0_5tupleIJPlS6_EEENSJ_IJSD_SD_EEES6_SK_JS6_EEE10hipError_tPvRmT3_T4_T5_T6_T7_T9_mT8_P12ihipStream_tbDpT10_ENKUlT_T0_E_clISt17integral_constantIbLb1EES16_EEDaS11_S12_EUlS11_E_NS1_11comp_targetILNS1_3genE8ELNS1_11target_archE1030ELNS1_3gpuE2ELNS1_3repE0EEENS1_30default_config_static_selectorELNS0_4arch9wavefront6targetE1EEEvT1_.private_seg_size, 0
	.set _ZN7rocprim17ROCPRIM_400000_NS6detail17trampoline_kernelINS0_14default_configENS1_25partition_config_selectorILNS1_17partition_subalgoE5ElNS0_10empty_typeEbEEZZNS1_14partition_implILS5_5ELb0ES3_mN6hipcub16HIPCUB_304000_NS21CountingInputIteratorIllEEPS6_NSA_22TransformInputIteratorIb7NonZeroIdEPdlEENS0_5tupleIJPlS6_EEENSJ_IJSD_SD_EEES6_SK_JS6_EEE10hipError_tPvRmT3_T4_T5_T6_T7_T9_mT8_P12ihipStream_tbDpT10_ENKUlT_T0_E_clISt17integral_constantIbLb1EES16_EEDaS11_S12_EUlS11_E_NS1_11comp_targetILNS1_3genE8ELNS1_11target_archE1030ELNS1_3gpuE2ELNS1_3repE0EEENS1_30default_config_static_selectorELNS0_4arch9wavefront6targetE1EEEvT1_.uses_vcc, 0
	.set _ZN7rocprim17ROCPRIM_400000_NS6detail17trampoline_kernelINS0_14default_configENS1_25partition_config_selectorILNS1_17partition_subalgoE5ElNS0_10empty_typeEbEEZZNS1_14partition_implILS5_5ELb0ES3_mN6hipcub16HIPCUB_304000_NS21CountingInputIteratorIllEEPS6_NSA_22TransformInputIteratorIb7NonZeroIdEPdlEENS0_5tupleIJPlS6_EEENSJ_IJSD_SD_EEES6_SK_JS6_EEE10hipError_tPvRmT3_T4_T5_T6_T7_T9_mT8_P12ihipStream_tbDpT10_ENKUlT_T0_E_clISt17integral_constantIbLb1EES16_EEDaS11_S12_EUlS11_E_NS1_11comp_targetILNS1_3genE8ELNS1_11target_archE1030ELNS1_3gpuE2ELNS1_3repE0EEENS1_30default_config_static_selectorELNS0_4arch9wavefront6targetE1EEEvT1_.uses_flat_scratch, 0
	.set _ZN7rocprim17ROCPRIM_400000_NS6detail17trampoline_kernelINS0_14default_configENS1_25partition_config_selectorILNS1_17partition_subalgoE5ElNS0_10empty_typeEbEEZZNS1_14partition_implILS5_5ELb0ES3_mN6hipcub16HIPCUB_304000_NS21CountingInputIteratorIllEEPS6_NSA_22TransformInputIteratorIb7NonZeroIdEPdlEENS0_5tupleIJPlS6_EEENSJ_IJSD_SD_EEES6_SK_JS6_EEE10hipError_tPvRmT3_T4_T5_T6_T7_T9_mT8_P12ihipStream_tbDpT10_ENKUlT_T0_E_clISt17integral_constantIbLb1EES16_EEDaS11_S12_EUlS11_E_NS1_11comp_targetILNS1_3genE8ELNS1_11target_archE1030ELNS1_3gpuE2ELNS1_3repE0EEENS1_30default_config_static_selectorELNS0_4arch9wavefront6targetE1EEEvT1_.has_dyn_sized_stack, 0
	.set _ZN7rocprim17ROCPRIM_400000_NS6detail17trampoline_kernelINS0_14default_configENS1_25partition_config_selectorILNS1_17partition_subalgoE5ElNS0_10empty_typeEbEEZZNS1_14partition_implILS5_5ELb0ES3_mN6hipcub16HIPCUB_304000_NS21CountingInputIteratorIllEEPS6_NSA_22TransformInputIteratorIb7NonZeroIdEPdlEENS0_5tupleIJPlS6_EEENSJ_IJSD_SD_EEES6_SK_JS6_EEE10hipError_tPvRmT3_T4_T5_T6_T7_T9_mT8_P12ihipStream_tbDpT10_ENKUlT_T0_E_clISt17integral_constantIbLb1EES16_EEDaS11_S12_EUlS11_E_NS1_11comp_targetILNS1_3genE8ELNS1_11target_archE1030ELNS1_3gpuE2ELNS1_3repE0EEENS1_30default_config_static_selectorELNS0_4arch9wavefront6targetE1EEEvT1_.has_recursion, 0
	.set _ZN7rocprim17ROCPRIM_400000_NS6detail17trampoline_kernelINS0_14default_configENS1_25partition_config_selectorILNS1_17partition_subalgoE5ElNS0_10empty_typeEbEEZZNS1_14partition_implILS5_5ELb0ES3_mN6hipcub16HIPCUB_304000_NS21CountingInputIteratorIllEEPS6_NSA_22TransformInputIteratorIb7NonZeroIdEPdlEENS0_5tupleIJPlS6_EEENSJ_IJSD_SD_EEES6_SK_JS6_EEE10hipError_tPvRmT3_T4_T5_T6_T7_T9_mT8_P12ihipStream_tbDpT10_ENKUlT_T0_E_clISt17integral_constantIbLb1EES16_EEDaS11_S12_EUlS11_E_NS1_11comp_targetILNS1_3genE8ELNS1_11target_archE1030ELNS1_3gpuE2ELNS1_3repE0EEENS1_30default_config_static_selectorELNS0_4arch9wavefront6targetE1EEEvT1_.has_indirect_call, 0
	.section	.AMDGPU.csdata,"",@progbits
; Kernel info:
; codeLenInByte = 0
; TotalNumSgprs: 6
; NumVgprs: 0
; NumAgprs: 0
; TotalNumVgprs: 0
; ScratchSize: 0
; MemoryBound: 0
; FloatMode: 240
; IeeeMode: 1
; LDSByteSize: 0 bytes/workgroup (compile time only)
; SGPRBlocks: 0
; VGPRBlocks: 0
; NumSGPRsForWavesPerEU: 6
; NumVGPRsForWavesPerEU: 1
; AccumOffset: 4
; Occupancy: 8
; WaveLimiterHint : 0
; COMPUTE_PGM_RSRC2:SCRATCH_EN: 0
; COMPUTE_PGM_RSRC2:USER_SGPR: 2
; COMPUTE_PGM_RSRC2:TRAP_HANDLER: 0
; COMPUTE_PGM_RSRC2:TGID_X_EN: 1
; COMPUTE_PGM_RSRC2:TGID_Y_EN: 0
; COMPUTE_PGM_RSRC2:TGID_Z_EN: 0
; COMPUTE_PGM_RSRC2:TIDIG_COMP_CNT: 0
; COMPUTE_PGM_RSRC3_GFX90A:ACCUM_OFFSET: 0
; COMPUTE_PGM_RSRC3_GFX90A:TG_SPLIT: 0
	.section	.text._ZN7rocprim17ROCPRIM_400000_NS6detail17trampoline_kernelINS0_14default_configENS1_25partition_config_selectorILNS1_17partition_subalgoE5ElNS0_10empty_typeEbEEZZNS1_14partition_implILS5_5ELb0ES3_mN6hipcub16HIPCUB_304000_NS21CountingInputIteratorIllEEPS6_NSA_22TransformInputIteratorIb7NonZeroIdEPdlEENS0_5tupleIJPlS6_EEENSJ_IJSD_SD_EEES6_SK_JS6_EEE10hipError_tPvRmT3_T4_T5_T6_T7_T9_mT8_P12ihipStream_tbDpT10_ENKUlT_T0_E_clISt17integral_constantIbLb1EES15_IbLb0EEEEDaS11_S12_EUlS11_E_NS1_11comp_targetILNS1_3genE0ELNS1_11target_archE4294967295ELNS1_3gpuE0ELNS1_3repE0EEENS1_30default_config_static_selectorELNS0_4arch9wavefront6targetE1EEEvT1_,"axG",@progbits,_ZN7rocprim17ROCPRIM_400000_NS6detail17trampoline_kernelINS0_14default_configENS1_25partition_config_selectorILNS1_17partition_subalgoE5ElNS0_10empty_typeEbEEZZNS1_14partition_implILS5_5ELb0ES3_mN6hipcub16HIPCUB_304000_NS21CountingInputIteratorIllEEPS6_NSA_22TransformInputIteratorIb7NonZeroIdEPdlEENS0_5tupleIJPlS6_EEENSJ_IJSD_SD_EEES6_SK_JS6_EEE10hipError_tPvRmT3_T4_T5_T6_T7_T9_mT8_P12ihipStream_tbDpT10_ENKUlT_T0_E_clISt17integral_constantIbLb1EES15_IbLb0EEEEDaS11_S12_EUlS11_E_NS1_11comp_targetILNS1_3genE0ELNS1_11target_archE4294967295ELNS1_3gpuE0ELNS1_3repE0EEENS1_30default_config_static_selectorELNS0_4arch9wavefront6targetE1EEEvT1_,comdat
	.protected	_ZN7rocprim17ROCPRIM_400000_NS6detail17trampoline_kernelINS0_14default_configENS1_25partition_config_selectorILNS1_17partition_subalgoE5ElNS0_10empty_typeEbEEZZNS1_14partition_implILS5_5ELb0ES3_mN6hipcub16HIPCUB_304000_NS21CountingInputIteratorIllEEPS6_NSA_22TransformInputIteratorIb7NonZeroIdEPdlEENS0_5tupleIJPlS6_EEENSJ_IJSD_SD_EEES6_SK_JS6_EEE10hipError_tPvRmT3_T4_T5_T6_T7_T9_mT8_P12ihipStream_tbDpT10_ENKUlT_T0_E_clISt17integral_constantIbLb1EES15_IbLb0EEEEDaS11_S12_EUlS11_E_NS1_11comp_targetILNS1_3genE0ELNS1_11target_archE4294967295ELNS1_3gpuE0ELNS1_3repE0EEENS1_30default_config_static_selectorELNS0_4arch9wavefront6targetE1EEEvT1_ ; -- Begin function _ZN7rocprim17ROCPRIM_400000_NS6detail17trampoline_kernelINS0_14default_configENS1_25partition_config_selectorILNS1_17partition_subalgoE5ElNS0_10empty_typeEbEEZZNS1_14partition_implILS5_5ELb0ES3_mN6hipcub16HIPCUB_304000_NS21CountingInputIteratorIllEEPS6_NSA_22TransformInputIteratorIb7NonZeroIdEPdlEENS0_5tupleIJPlS6_EEENSJ_IJSD_SD_EEES6_SK_JS6_EEE10hipError_tPvRmT3_T4_T5_T6_T7_T9_mT8_P12ihipStream_tbDpT10_ENKUlT_T0_E_clISt17integral_constantIbLb1EES15_IbLb0EEEEDaS11_S12_EUlS11_E_NS1_11comp_targetILNS1_3genE0ELNS1_11target_archE4294967295ELNS1_3gpuE0ELNS1_3repE0EEENS1_30default_config_static_selectorELNS0_4arch9wavefront6targetE1EEEvT1_
	.globl	_ZN7rocprim17ROCPRIM_400000_NS6detail17trampoline_kernelINS0_14default_configENS1_25partition_config_selectorILNS1_17partition_subalgoE5ElNS0_10empty_typeEbEEZZNS1_14partition_implILS5_5ELb0ES3_mN6hipcub16HIPCUB_304000_NS21CountingInputIteratorIllEEPS6_NSA_22TransformInputIteratorIb7NonZeroIdEPdlEENS0_5tupleIJPlS6_EEENSJ_IJSD_SD_EEES6_SK_JS6_EEE10hipError_tPvRmT3_T4_T5_T6_T7_T9_mT8_P12ihipStream_tbDpT10_ENKUlT_T0_E_clISt17integral_constantIbLb1EES15_IbLb0EEEEDaS11_S12_EUlS11_E_NS1_11comp_targetILNS1_3genE0ELNS1_11target_archE4294967295ELNS1_3gpuE0ELNS1_3repE0EEENS1_30default_config_static_selectorELNS0_4arch9wavefront6targetE1EEEvT1_
	.p2align	8
	.type	_ZN7rocprim17ROCPRIM_400000_NS6detail17trampoline_kernelINS0_14default_configENS1_25partition_config_selectorILNS1_17partition_subalgoE5ElNS0_10empty_typeEbEEZZNS1_14partition_implILS5_5ELb0ES3_mN6hipcub16HIPCUB_304000_NS21CountingInputIteratorIllEEPS6_NSA_22TransformInputIteratorIb7NonZeroIdEPdlEENS0_5tupleIJPlS6_EEENSJ_IJSD_SD_EEES6_SK_JS6_EEE10hipError_tPvRmT3_T4_T5_T6_T7_T9_mT8_P12ihipStream_tbDpT10_ENKUlT_T0_E_clISt17integral_constantIbLb1EES15_IbLb0EEEEDaS11_S12_EUlS11_E_NS1_11comp_targetILNS1_3genE0ELNS1_11target_archE4294967295ELNS1_3gpuE0ELNS1_3repE0EEENS1_30default_config_static_selectorELNS0_4arch9wavefront6targetE1EEEvT1_,@function
_ZN7rocprim17ROCPRIM_400000_NS6detail17trampoline_kernelINS0_14default_configENS1_25partition_config_selectorILNS1_17partition_subalgoE5ElNS0_10empty_typeEbEEZZNS1_14partition_implILS5_5ELb0ES3_mN6hipcub16HIPCUB_304000_NS21CountingInputIteratorIllEEPS6_NSA_22TransformInputIteratorIb7NonZeroIdEPdlEENS0_5tupleIJPlS6_EEENSJ_IJSD_SD_EEES6_SK_JS6_EEE10hipError_tPvRmT3_T4_T5_T6_T7_T9_mT8_P12ihipStream_tbDpT10_ENKUlT_T0_E_clISt17integral_constantIbLb1EES15_IbLb0EEEEDaS11_S12_EUlS11_E_NS1_11comp_targetILNS1_3genE0ELNS1_11target_archE4294967295ELNS1_3gpuE0ELNS1_3repE0EEENS1_30default_config_static_selectorELNS0_4arch9wavefront6targetE1EEEvT1_: ; @_ZN7rocprim17ROCPRIM_400000_NS6detail17trampoline_kernelINS0_14default_configENS1_25partition_config_selectorILNS1_17partition_subalgoE5ElNS0_10empty_typeEbEEZZNS1_14partition_implILS5_5ELb0ES3_mN6hipcub16HIPCUB_304000_NS21CountingInputIteratorIllEEPS6_NSA_22TransformInputIteratorIb7NonZeroIdEPdlEENS0_5tupleIJPlS6_EEENSJ_IJSD_SD_EEES6_SK_JS6_EEE10hipError_tPvRmT3_T4_T5_T6_T7_T9_mT8_P12ihipStream_tbDpT10_ENKUlT_T0_E_clISt17integral_constantIbLb1EES15_IbLb0EEEEDaS11_S12_EUlS11_E_NS1_11comp_targetILNS1_3genE0ELNS1_11target_archE4294967295ELNS1_3gpuE0ELNS1_3repE0EEENS1_30default_config_static_selectorELNS0_4arch9wavefront6targetE1EEEvT1_
; %bb.0:
	s_endpgm
	.section	.rodata,"a",@progbits
	.p2align	6, 0x0
	.amdhsa_kernel _ZN7rocprim17ROCPRIM_400000_NS6detail17trampoline_kernelINS0_14default_configENS1_25partition_config_selectorILNS1_17partition_subalgoE5ElNS0_10empty_typeEbEEZZNS1_14partition_implILS5_5ELb0ES3_mN6hipcub16HIPCUB_304000_NS21CountingInputIteratorIllEEPS6_NSA_22TransformInputIteratorIb7NonZeroIdEPdlEENS0_5tupleIJPlS6_EEENSJ_IJSD_SD_EEES6_SK_JS6_EEE10hipError_tPvRmT3_T4_T5_T6_T7_T9_mT8_P12ihipStream_tbDpT10_ENKUlT_T0_E_clISt17integral_constantIbLb1EES15_IbLb0EEEEDaS11_S12_EUlS11_E_NS1_11comp_targetILNS1_3genE0ELNS1_11target_archE4294967295ELNS1_3gpuE0ELNS1_3repE0EEENS1_30default_config_static_selectorELNS0_4arch9wavefront6targetE1EEEvT1_
		.amdhsa_group_segment_fixed_size 0
		.amdhsa_private_segment_fixed_size 0
		.amdhsa_kernarg_size 120
		.amdhsa_user_sgpr_count 2
		.amdhsa_user_sgpr_dispatch_ptr 0
		.amdhsa_user_sgpr_queue_ptr 0
		.amdhsa_user_sgpr_kernarg_segment_ptr 1
		.amdhsa_user_sgpr_dispatch_id 0
		.amdhsa_user_sgpr_kernarg_preload_length 0
		.amdhsa_user_sgpr_kernarg_preload_offset 0
		.amdhsa_user_sgpr_private_segment_size 0
		.amdhsa_uses_dynamic_stack 0
		.amdhsa_enable_private_segment 0
		.amdhsa_system_sgpr_workgroup_id_x 1
		.amdhsa_system_sgpr_workgroup_id_y 0
		.amdhsa_system_sgpr_workgroup_id_z 0
		.amdhsa_system_sgpr_workgroup_info 0
		.amdhsa_system_vgpr_workitem_id 0
		.amdhsa_next_free_vgpr 1
		.amdhsa_next_free_sgpr 0
		.amdhsa_accum_offset 4
		.amdhsa_reserve_vcc 0
		.amdhsa_float_round_mode_32 0
		.amdhsa_float_round_mode_16_64 0
		.amdhsa_float_denorm_mode_32 3
		.amdhsa_float_denorm_mode_16_64 3
		.amdhsa_dx10_clamp 1
		.amdhsa_ieee_mode 1
		.amdhsa_fp16_overflow 0
		.amdhsa_tg_split 0
		.amdhsa_exception_fp_ieee_invalid_op 0
		.amdhsa_exception_fp_denorm_src 0
		.amdhsa_exception_fp_ieee_div_zero 0
		.amdhsa_exception_fp_ieee_overflow 0
		.amdhsa_exception_fp_ieee_underflow 0
		.amdhsa_exception_fp_ieee_inexact 0
		.amdhsa_exception_int_div_zero 0
	.end_amdhsa_kernel
	.section	.text._ZN7rocprim17ROCPRIM_400000_NS6detail17trampoline_kernelINS0_14default_configENS1_25partition_config_selectorILNS1_17partition_subalgoE5ElNS0_10empty_typeEbEEZZNS1_14partition_implILS5_5ELb0ES3_mN6hipcub16HIPCUB_304000_NS21CountingInputIteratorIllEEPS6_NSA_22TransformInputIteratorIb7NonZeroIdEPdlEENS0_5tupleIJPlS6_EEENSJ_IJSD_SD_EEES6_SK_JS6_EEE10hipError_tPvRmT3_T4_T5_T6_T7_T9_mT8_P12ihipStream_tbDpT10_ENKUlT_T0_E_clISt17integral_constantIbLb1EES15_IbLb0EEEEDaS11_S12_EUlS11_E_NS1_11comp_targetILNS1_3genE0ELNS1_11target_archE4294967295ELNS1_3gpuE0ELNS1_3repE0EEENS1_30default_config_static_selectorELNS0_4arch9wavefront6targetE1EEEvT1_,"axG",@progbits,_ZN7rocprim17ROCPRIM_400000_NS6detail17trampoline_kernelINS0_14default_configENS1_25partition_config_selectorILNS1_17partition_subalgoE5ElNS0_10empty_typeEbEEZZNS1_14partition_implILS5_5ELb0ES3_mN6hipcub16HIPCUB_304000_NS21CountingInputIteratorIllEEPS6_NSA_22TransformInputIteratorIb7NonZeroIdEPdlEENS0_5tupleIJPlS6_EEENSJ_IJSD_SD_EEES6_SK_JS6_EEE10hipError_tPvRmT3_T4_T5_T6_T7_T9_mT8_P12ihipStream_tbDpT10_ENKUlT_T0_E_clISt17integral_constantIbLb1EES15_IbLb0EEEEDaS11_S12_EUlS11_E_NS1_11comp_targetILNS1_3genE0ELNS1_11target_archE4294967295ELNS1_3gpuE0ELNS1_3repE0EEENS1_30default_config_static_selectorELNS0_4arch9wavefront6targetE1EEEvT1_,comdat
.Lfunc_end337:
	.size	_ZN7rocprim17ROCPRIM_400000_NS6detail17trampoline_kernelINS0_14default_configENS1_25partition_config_selectorILNS1_17partition_subalgoE5ElNS0_10empty_typeEbEEZZNS1_14partition_implILS5_5ELb0ES3_mN6hipcub16HIPCUB_304000_NS21CountingInputIteratorIllEEPS6_NSA_22TransformInputIteratorIb7NonZeroIdEPdlEENS0_5tupleIJPlS6_EEENSJ_IJSD_SD_EEES6_SK_JS6_EEE10hipError_tPvRmT3_T4_T5_T6_T7_T9_mT8_P12ihipStream_tbDpT10_ENKUlT_T0_E_clISt17integral_constantIbLb1EES15_IbLb0EEEEDaS11_S12_EUlS11_E_NS1_11comp_targetILNS1_3genE0ELNS1_11target_archE4294967295ELNS1_3gpuE0ELNS1_3repE0EEENS1_30default_config_static_selectorELNS0_4arch9wavefront6targetE1EEEvT1_, .Lfunc_end337-_ZN7rocprim17ROCPRIM_400000_NS6detail17trampoline_kernelINS0_14default_configENS1_25partition_config_selectorILNS1_17partition_subalgoE5ElNS0_10empty_typeEbEEZZNS1_14partition_implILS5_5ELb0ES3_mN6hipcub16HIPCUB_304000_NS21CountingInputIteratorIllEEPS6_NSA_22TransformInputIteratorIb7NonZeroIdEPdlEENS0_5tupleIJPlS6_EEENSJ_IJSD_SD_EEES6_SK_JS6_EEE10hipError_tPvRmT3_T4_T5_T6_T7_T9_mT8_P12ihipStream_tbDpT10_ENKUlT_T0_E_clISt17integral_constantIbLb1EES15_IbLb0EEEEDaS11_S12_EUlS11_E_NS1_11comp_targetILNS1_3genE0ELNS1_11target_archE4294967295ELNS1_3gpuE0ELNS1_3repE0EEENS1_30default_config_static_selectorELNS0_4arch9wavefront6targetE1EEEvT1_
                                        ; -- End function
	.set _ZN7rocprim17ROCPRIM_400000_NS6detail17trampoline_kernelINS0_14default_configENS1_25partition_config_selectorILNS1_17partition_subalgoE5ElNS0_10empty_typeEbEEZZNS1_14partition_implILS5_5ELb0ES3_mN6hipcub16HIPCUB_304000_NS21CountingInputIteratorIllEEPS6_NSA_22TransformInputIteratorIb7NonZeroIdEPdlEENS0_5tupleIJPlS6_EEENSJ_IJSD_SD_EEES6_SK_JS6_EEE10hipError_tPvRmT3_T4_T5_T6_T7_T9_mT8_P12ihipStream_tbDpT10_ENKUlT_T0_E_clISt17integral_constantIbLb1EES15_IbLb0EEEEDaS11_S12_EUlS11_E_NS1_11comp_targetILNS1_3genE0ELNS1_11target_archE4294967295ELNS1_3gpuE0ELNS1_3repE0EEENS1_30default_config_static_selectorELNS0_4arch9wavefront6targetE1EEEvT1_.num_vgpr, 0
	.set _ZN7rocprim17ROCPRIM_400000_NS6detail17trampoline_kernelINS0_14default_configENS1_25partition_config_selectorILNS1_17partition_subalgoE5ElNS0_10empty_typeEbEEZZNS1_14partition_implILS5_5ELb0ES3_mN6hipcub16HIPCUB_304000_NS21CountingInputIteratorIllEEPS6_NSA_22TransformInputIteratorIb7NonZeroIdEPdlEENS0_5tupleIJPlS6_EEENSJ_IJSD_SD_EEES6_SK_JS6_EEE10hipError_tPvRmT3_T4_T5_T6_T7_T9_mT8_P12ihipStream_tbDpT10_ENKUlT_T0_E_clISt17integral_constantIbLb1EES15_IbLb0EEEEDaS11_S12_EUlS11_E_NS1_11comp_targetILNS1_3genE0ELNS1_11target_archE4294967295ELNS1_3gpuE0ELNS1_3repE0EEENS1_30default_config_static_selectorELNS0_4arch9wavefront6targetE1EEEvT1_.num_agpr, 0
	.set _ZN7rocprim17ROCPRIM_400000_NS6detail17trampoline_kernelINS0_14default_configENS1_25partition_config_selectorILNS1_17partition_subalgoE5ElNS0_10empty_typeEbEEZZNS1_14partition_implILS5_5ELb0ES3_mN6hipcub16HIPCUB_304000_NS21CountingInputIteratorIllEEPS6_NSA_22TransformInputIteratorIb7NonZeroIdEPdlEENS0_5tupleIJPlS6_EEENSJ_IJSD_SD_EEES6_SK_JS6_EEE10hipError_tPvRmT3_T4_T5_T6_T7_T9_mT8_P12ihipStream_tbDpT10_ENKUlT_T0_E_clISt17integral_constantIbLb1EES15_IbLb0EEEEDaS11_S12_EUlS11_E_NS1_11comp_targetILNS1_3genE0ELNS1_11target_archE4294967295ELNS1_3gpuE0ELNS1_3repE0EEENS1_30default_config_static_selectorELNS0_4arch9wavefront6targetE1EEEvT1_.numbered_sgpr, 0
	.set _ZN7rocprim17ROCPRIM_400000_NS6detail17trampoline_kernelINS0_14default_configENS1_25partition_config_selectorILNS1_17partition_subalgoE5ElNS0_10empty_typeEbEEZZNS1_14partition_implILS5_5ELb0ES3_mN6hipcub16HIPCUB_304000_NS21CountingInputIteratorIllEEPS6_NSA_22TransformInputIteratorIb7NonZeroIdEPdlEENS0_5tupleIJPlS6_EEENSJ_IJSD_SD_EEES6_SK_JS6_EEE10hipError_tPvRmT3_T4_T5_T6_T7_T9_mT8_P12ihipStream_tbDpT10_ENKUlT_T0_E_clISt17integral_constantIbLb1EES15_IbLb0EEEEDaS11_S12_EUlS11_E_NS1_11comp_targetILNS1_3genE0ELNS1_11target_archE4294967295ELNS1_3gpuE0ELNS1_3repE0EEENS1_30default_config_static_selectorELNS0_4arch9wavefront6targetE1EEEvT1_.num_named_barrier, 0
	.set _ZN7rocprim17ROCPRIM_400000_NS6detail17trampoline_kernelINS0_14default_configENS1_25partition_config_selectorILNS1_17partition_subalgoE5ElNS0_10empty_typeEbEEZZNS1_14partition_implILS5_5ELb0ES3_mN6hipcub16HIPCUB_304000_NS21CountingInputIteratorIllEEPS6_NSA_22TransformInputIteratorIb7NonZeroIdEPdlEENS0_5tupleIJPlS6_EEENSJ_IJSD_SD_EEES6_SK_JS6_EEE10hipError_tPvRmT3_T4_T5_T6_T7_T9_mT8_P12ihipStream_tbDpT10_ENKUlT_T0_E_clISt17integral_constantIbLb1EES15_IbLb0EEEEDaS11_S12_EUlS11_E_NS1_11comp_targetILNS1_3genE0ELNS1_11target_archE4294967295ELNS1_3gpuE0ELNS1_3repE0EEENS1_30default_config_static_selectorELNS0_4arch9wavefront6targetE1EEEvT1_.private_seg_size, 0
	.set _ZN7rocprim17ROCPRIM_400000_NS6detail17trampoline_kernelINS0_14default_configENS1_25partition_config_selectorILNS1_17partition_subalgoE5ElNS0_10empty_typeEbEEZZNS1_14partition_implILS5_5ELb0ES3_mN6hipcub16HIPCUB_304000_NS21CountingInputIteratorIllEEPS6_NSA_22TransformInputIteratorIb7NonZeroIdEPdlEENS0_5tupleIJPlS6_EEENSJ_IJSD_SD_EEES6_SK_JS6_EEE10hipError_tPvRmT3_T4_T5_T6_T7_T9_mT8_P12ihipStream_tbDpT10_ENKUlT_T0_E_clISt17integral_constantIbLb1EES15_IbLb0EEEEDaS11_S12_EUlS11_E_NS1_11comp_targetILNS1_3genE0ELNS1_11target_archE4294967295ELNS1_3gpuE0ELNS1_3repE0EEENS1_30default_config_static_selectorELNS0_4arch9wavefront6targetE1EEEvT1_.uses_vcc, 0
	.set _ZN7rocprim17ROCPRIM_400000_NS6detail17trampoline_kernelINS0_14default_configENS1_25partition_config_selectorILNS1_17partition_subalgoE5ElNS0_10empty_typeEbEEZZNS1_14partition_implILS5_5ELb0ES3_mN6hipcub16HIPCUB_304000_NS21CountingInputIteratorIllEEPS6_NSA_22TransformInputIteratorIb7NonZeroIdEPdlEENS0_5tupleIJPlS6_EEENSJ_IJSD_SD_EEES6_SK_JS6_EEE10hipError_tPvRmT3_T4_T5_T6_T7_T9_mT8_P12ihipStream_tbDpT10_ENKUlT_T0_E_clISt17integral_constantIbLb1EES15_IbLb0EEEEDaS11_S12_EUlS11_E_NS1_11comp_targetILNS1_3genE0ELNS1_11target_archE4294967295ELNS1_3gpuE0ELNS1_3repE0EEENS1_30default_config_static_selectorELNS0_4arch9wavefront6targetE1EEEvT1_.uses_flat_scratch, 0
	.set _ZN7rocprim17ROCPRIM_400000_NS6detail17trampoline_kernelINS0_14default_configENS1_25partition_config_selectorILNS1_17partition_subalgoE5ElNS0_10empty_typeEbEEZZNS1_14partition_implILS5_5ELb0ES3_mN6hipcub16HIPCUB_304000_NS21CountingInputIteratorIllEEPS6_NSA_22TransformInputIteratorIb7NonZeroIdEPdlEENS0_5tupleIJPlS6_EEENSJ_IJSD_SD_EEES6_SK_JS6_EEE10hipError_tPvRmT3_T4_T5_T6_T7_T9_mT8_P12ihipStream_tbDpT10_ENKUlT_T0_E_clISt17integral_constantIbLb1EES15_IbLb0EEEEDaS11_S12_EUlS11_E_NS1_11comp_targetILNS1_3genE0ELNS1_11target_archE4294967295ELNS1_3gpuE0ELNS1_3repE0EEENS1_30default_config_static_selectorELNS0_4arch9wavefront6targetE1EEEvT1_.has_dyn_sized_stack, 0
	.set _ZN7rocprim17ROCPRIM_400000_NS6detail17trampoline_kernelINS0_14default_configENS1_25partition_config_selectorILNS1_17partition_subalgoE5ElNS0_10empty_typeEbEEZZNS1_14partition_implILS5_5ELb0ES3_mN6hipcub16HIPCUB_304000_NS21CountingInputIteratorIllEEPS6_NSA_22TransformInputIteratorIb7NonZeroIdEPdlEENS0_5tupleIJPlS6_EEENSJ_IJSD_SD_EEES6_SK_JS6_EEE10hipError_tPvRmT3_T4_T5_T6_T7_T9_mT8_P12ihipStream_tbDpT10_ENKUlT_T0_E_clISt17integral_constantIbLb1EES15_IbLb0EEEEDaS11_S12_EUlS11_E_NS1_11comp_targetILNS1_3genE0ELNS1_11target_archE4294967295ELNS1_3gpuE0ELNS1_3repE0EEENS1_30default_config_static_selectorELNS0_4arch9wavefront6targetE1EEEvT1_.has_recursion, 0
	.set _ZN7rocprim17ROCPRIM_400000_NS6detail17trampoline_kernelINS0_14default_configENS1_25partition_config_selectorILNS1_17partition_subalgoE5ElNS0_10empty_typeEbEEZZNS1_14partition_implILS5_5ELb0ES3_mN6hipcub16HIPCUB_304000_NS21CountingInputIteratorIllEEPS6_NSA_22TransformInputIteratorIb7NonZeroIdEPdlEENS0_5tupleIJPlS6_EEENSJ_IJSD_SD_EEES6_SK_JS6_EEE10hipError_tPvRmT3_T4_T5_T6_T7_T9_mT8_P12ihipStream_tbDpT10_ENKUlT_T0_E_clISt17integral_constantIbLb1EES15_IbLb0EEEEDaS11_S12_EUlS11_E_NS1_11comp_targetILNS1_3genE0ELNS1_11target_archE4294967295ELNS1_3gpuE0ELNS1_3repE0EEENS1_30default_config_static_selectorELNS0_4arch9wavefront6targetE1EEEvT1_.has_indirect_call, 0
	.section	.AMDGPU.csdata,"",@progbits
; Kernel info:
; codeLenInByte = 4
; TotalNumSgprs: 6
; NumVgprs: 0
; NumAgprs: 0
; TotalNumVgprs: 0
; ScratchSize: 0
; MemoryBound: 0
; FloatMode: 240
; IeeeMode: 1
; LDSByteSize: 0 bytes/workgroup (compile time only)
; SGPRBlocks: 0
; VGPRBlocks: 0
; NumSGPRsForWavesPerEU: 6
; NumVGPRsForWavesPerEU: 1
; AccumOffset: 4
; Occupancy: 8
; WaveLimiterHint : 0
; COMPUTE_PGM_RSRC2:SCRATCH_EN: 0
; COMPUTE_PGM_RSRC2:USER_SGPR: 2
; COMPUTE_PGM_RSRC2:TRAP_HANDLER: 0
; COMPUTE_PGM_RSRC2:TGID_X_EN: 1
; COMPUTE_PGM_RSRC2:TGID_Y_EN: 0
; COMPUTE_PGM_RSRC2:TGID_Z_EN: 0
; COMPUTE_PGM_RSRC2:TIDIG_COMP_CNT: 0
; COMPUTE_PGM_RSRC3_GFX90A:ACCUM_OFFSET: 0
; COMPUTE_PGM_RSRC3_GFX90A:TG_SPLIT: 0
	.section	.text._ZN7rocprim17ROCPRIM_400000_NS6detail17trampoline_kernelINS0_14default_configENS1_25partition_config_selectorILNS1_17partition_subalgoE5ElNS0_10empty_typeEbEEZZNS1_14partition_implILS5_5ELb0ES3_mN6hipcub16HIPCUB_304000_NS21CountingInputIteratorIllEEPS6_NSA_22TransformInputIteratorIb7NonZeroIdEPdlEENS0_5tupleIJPlS6_EEENSJ_IJSD_SD_EEES6_SK_JS6_EEE10hipError_tPvRmT3_T4_T5_T6_T7_T9_mT8_P12ihipStream_tbDpT10_ENKUlT_T0_E_clISt17integral_constantIbLb1EES15_IbLb0EEEEDaS11_S12_EUlS11_E_NS1_11comp_targetILNS1_3genE5ELNS1_11target_archE942ELNS1_3gpuE9ELNS1_3repE0EEENS1_30default_config_static_selectorELNS0_4arch9wavefront6targetE1EEEvT1_,"axG",@progbits,_ZN7rocprim17ROCPRIM_400000_NS6detail17trampoline_kernelINS0_14default_configENS1_25partition_config_selectorILNS1_17partition_subalgoE5ElNS0_10empty_typeEbEEZZNS1_14partition_implILS5_5ELb0ES3_mN6hipcub16HIPCUB_304000_NS21CountingInputIteratorIllEEPS6_NSA_22TransformInputIteratorIb7NonZeroIdEPdlEENS0_5tupleIJPlS6_EEENSJ_IJSD_SD_EEES6_SK_JS6_EEE10hipError_tPvRmT3_T4_T5_T6_T7_T9_mT8_P12ihipStream_tbDpT10_ENKUlT_T0_E_clISt17integral_constantIbLb1EES15_IbLb0EEEEDaS11_S12_EUlS11_E_NS1_11comp_targetILNS1_3genE5ELNS1_11target_archE942ELNS1_3gpuE9ELNS1_3repE0EEENS1_30default_config_static_selectorELNS0_4arch9wavefront6targetE1EEEvT1_,comdat
	.protected	_ZN7rocprim17ROCPRIM_400000_NS6detail17trampoline_kernelINS0_14default_configENS1_25partition_config_selectorILNS1_17partition_subalgoE5ElNS0_10empty_typeEbEEZZNS1_14partition_implILS5_5ELb0ES3_mN6hipcub16HIPCUB_304000_NS21CountingInputIteratorIllEEPS6_NSA_22TransformInputIteratorIb7NonZeroIdEPdlEENS0_5tupleIJPlS6_EEENSJ_IJSD_SD_EEES6_SK_JS6_EEE10hipError_tPvRmT3_T4_T5_T6_T7_T9_mT8_P12ihipStream_tbDpT10_ENKUlT_T0_E_clISt17integral_constantIbLb1EES15_IbLb0EEEEDaS11_S12_EUlS11_E_NS1_11comp_targetILNS1_3genE5ELNS1_11target_archE942ELNS1_3gpuE9ELNS1_3repE0EEENS1_30default_config_static_selectorELNS0_4arch9wavefront6targetE1EEEvT1_ ; -- Begin function _ZN7rocprim17ROCPRIM_400000_NS6detail17trampoline_kernelINS0_14default_configENS1_25partition_config_selectorILNS1_17partition_subalgoE5ElNS0_10empty_typeEbEEZZNS1_14partition_implILS5_5ELb0ES3_mN6hipcub16HIPCUB_304000_NS21CountingInputIteratorIllEEPS6_NSA_22TransformInputIteratorIb7NonZeroIdEPdlEENS0_5tupleIJPlS6_EEENSJ_IJSD_SD_EEES6_SK_JS6_EEE10hipError_tPvRmT3_T4_T5_T6_T7_T9_mT8_P12ihipStream_tbDpT10_ENKUlT_T0_E_clISt17integral_constantIbLb1EES15_IbLb0EEEEDaS11_S12_EUlS11_E_NS1_11comp_targetILNS1_3genE5ELNS1_11target_archE942ELNS1_3gpuE9ELNS1_3repE0EEENS1_30default_config_static_selectorELNS0_4arch9wavefront6targetE1EEEvT1_
	.globl	_ZN7rocprim17ROCPRIM_400000_NS6detail17trampoline_kernelINS0_14default_configENS1_25partition_config_selectorILNS1_17partition_subalgoE5ElNS0_10empty_typeEbEEZZNS1_14partition_implILS5_5ELb0ES3_mN6hipcub16HIPCUB_304000_NS21CountingInputIteratorIllEEPS6_NSA_22TransformInputIteratorIb7NonZeroIdEPdlEENS0_5tupleIJPlS6_EEENSJ_IJSD_SD_EEES6_SK_JS6_EEE10hipError_tPvRmT3_T4_T5_T6_T7_T9_mT8_P12ihipStream_tbDpT10_ENKUlT_T0_E_clISt17integral_constantIbLb1EES15_IbLb0EEEEDaS11_S12_EUlS11_E_NS1_11comp_targetILNS1_3genE5ELNS1_11target_archE942ELNS1_3gpuE9ELNS1_3repE0EEENS1_30default_config_static_selectorELNS0_4arch9wavefront6targetE1EEEvT1_
	.p2align	8
	.type	_ZN7rocprim17ROCPRIM_400000_NS6detail17trampoline_kernelINS0_14default_configENS1_25partition_config_selectorILNS1_17partition_subalgoE5ElNS0_10empty_typeEbEEZZNS1_14partition_implILS5_5ELb0ES3_mN6hipcub16HIPCUB_304000_NS21CountingInputIteratorIllEEPS6_NSA_22TransformInputIteratorIb7NonZeroIdEPdlEENS0_5tupleIJPlS6_EEENSJ_IJSD_SD_EEES6_SK_JS6_EEE10hipError_tPvRmT3_T4_T5_T6_T7_T9_mT8_P12ihipStream_tbDpT10_ENKUlT_T0_E_clISt17integral_constantIbLb1EES15_IbLb0EEEEDaS11_S12_EUlS11_E_NS1_11comp_targetILNS1_3genE5ELNS1_11target_archE942ELNS1_3gpuE9ELNS1_3repE0EEENS1_30default_config_static_selectorELNS0_4arch9wavefront6targetE1EEEvT1_,@function
_ZN7rocprim17ROCPRIM_400000_NS6detail17trampoline_kernelINS0_14default_configENS1_25partition_config_selectorILNS1_17partition_subalgoE5ElNS0_10empty_typeEbEEZZNS1_14partition_implILS5_5ELb0ES3_mN6hipcub16HIPCUB_304000_NS21CountingInputIteratorIllEEPS6_NSA_22TransformInputIteratorIb7NonZeroIdEPdlEENS0_5tupleIJPlS6_EEENSJ_IJSD_SD_EEES6_SK_JS6_EEE10hipError_tPvRmT3_T4_T5_T6_T7_T9_mT8_P12ihipStream_tbDpT10_ENKUlT_T0_E_clISt17integral_constantIbLb1EES15_IbLb0EEEEDaS11_S12_EUlS11_E_NS1_11comp_targetILNS1_3genE5ELNS1_11target_archE942ELNS1_3gpuE9ELNS1_3repE0EEENS1_30default_config_static_selectorELNS0_4arch9wavefront6targetE1EEEvT1_: ; @_ZN7rocprim17ROCPRIM_400000_NS6detail17trampoline_kernelINS0_14default_configENS1_25partition_config_selectorILNS1_17partition_subalgoE5ElNS0_10empty_typeEbEEZZNS1_14partition_implILS5_5ELb0ES3_mN6hipcub16HIPCUB_304000_NS21CountingInputIteratorIllEEPS6_NSA_22TransformInputIteratorIb7NonZeroIdEPdlEENS0_5tupleIJPlS6_EEENSJ_IJSD_SD_EEES6_SK_JS6_EEE10hipError_tPvRmT3_T4_T5_T6_T7_T9_mT8_P12ihipStream_tbDpT10_ENKUlT_T0_E_clISt17integral_constantIbLb1EES15_IbLb0EEEEDaS11_S12_EUlS11_E_NS1_11comp_targetILNS1_3genE5ELNS1_11target_archE942ELNS1_3gpuE9ELNS1_3repE0EEENS1_30default_config_static_selectorELNS0_4arch9wavefront6targetE1EEEvT1_
; %bb.0:
	.section	.rodata,"a",@progbits
	.p2align	6, 0x0
	.amdhsa_kernel _ZN7rocprim17ROCPRIM_400000_NS6detail17trampoline_kernelINS0_14default_configENS1_25partition_config_selectorILNS1_17partition_subalgoE5ElNS0_10empty_typeEbEEZZNS1_14partition_implILS5_5ELb0ES3_mN6hipcub16HIPCUB_304000_NS21CountingInputIteratorIllEEPS6_NSA_22TransformInputIteratorIb7NonZeroIdEPdlEENS0_5tupleIJPlS6_EEENSJ_IJSD_SD_EEES6_SK_JS6_EEE10hipError_tPvRmT3_T4_T5_T6_T7_T9_mT8_P12ihipStream_tbDpT10_ENKUlT_T0_E_clISt17integral_constantIbLb1EES15_IbLb0EEEEDaS11_S12_EUlS11_E_NS1_11comp_targetILNS1_3genE5ELNS1_11target_archE942ELNS1_3gpuE9ELNS1_3repE0EEENS1_30default_config_static_selectorELNS0_4arch9wavefront6targetE1EEEvT1_
		.amdhsa_group_segment_fixed_size 0
		.amdhsa_private_segment_fixed_size 0
		.amdhsa_kernarg_size 120
		.amdhsa_user_sgpr_count 2
		.amdhsa_user_sgpr_dispatch_ptr 0
		.amdhsa_user_sgpr_queue_ptr 0
		.amdhsa_user_sgpr_kernarg_segment_ptr 1
		.amdhsa_user_sgpr_dispatch_id 0
		.amdhsa_user_sgpr_kernarg_preload_length 0
		.amdhsa_user_sgpr_kernarg_preload_offset 0
		.amdhsa_user_sgpr_private_segment_size 0
		.amdhsa_uses_dynamic_stack 0
		.amdhsa_enable_private_segment 0
		.amdhsa_system_sgpr_workgroup_id_x 1
		.amdhsa_system_sgpr_workgroup_id_y 0
		.amdhsa_system_sgpr_workgroup_id_z 0
		.amdhsa_system_sgpr_workgroup_info 0
		.amdhsa_system_vgpr_workitem_id 0
		.amdhsa_next_free_vgpr 1
		.amdhsa_next_free_sgpr 0
		.amdhsa_accum_offset 4
		.amdhsa_reserve_vcc 0
		.amdhsa_float_round_mode_32 0
		.amdhsa_float_round_mode_16_64 0
		.amdhsa_float_denorm_mode_32 3
		.amdhsa_float_denorm_mode_16_64 3
		.amdhsa_dx10_clamp 1
		.amdhsa_ieee_mode 1
		.amdhsa_fp16_overflow 0
		.amdhsa_tg_split 0
		.amdhsa_exception_fp_ieee_invalid_op 0
		.amdhsa_exception_fp_denorm_src 0
		.amdhsa_exception_fp_ieee_div_zero 0
		.amdhsa_exception_fp_ieee_overflow 0
		.amdhsa_exception_fp_ieee_underflow 0
		.amdhsa_exception_fp_ieee_inexact 0
		.amdhsa_exception_int_div_zero 0
	.end_amdhsa_kernel
	.section	.text._ZN7rocprim17ROCPRIM_400000_NS6detail17trampoline_kernelINS0_14default_configENS1_25partition_config_selectorILNS1_17partition_subalgoE5ElNS0_10empty_typeEbEEZZNS1_14partition_implILS5_5ELb0ES3_mN6hipcub16HIPCUB_304000_NS21CountingInputIteratorIllEEPS6_NSA_22TransformInputIteratorIb7NonZeroIdEPdlEENS0_5tupleIJPlS6_EEENSJ_IJSD_SD_EEES6_SK_JS6_EEE10hipError_tPvRmT3_T4_T5_T6_T7_T9_mT8_P12ihipStream_tbDpT10_ENKUlT_T0_E_clISt17integral_constantIbLb1EES15_IbLb0EEEEDaS11_S12_EUlS11_E_NS1_11comp_targetILNS1_3genE5ELNS1_11target_archE942ELNS1_3gpuE9ELNS1_3repE0EEENS1_30default_config_static_selectorELNS0_4arch9wavefront6targetE1EEEvT1_,"axG",@progbits,_ZN7rocprim17ROCPRIM_400000_NS6detail17trampoline_kernelINS0_14default_configENS1_25partition_config_selectorILNS1_17partition_subalgoE5ElNS0_10empty_typeEbEEZZNS1_14partition_implILS5_5ELb0ES3_mN6hipcub16HIPCUB_304000_NS21CountingInputIteratorIllEEPS6_NSA_22TransformInputIteratorIb7NonZeroIdEPdlEENS0_5tupleIJPlS6_EEENSJ_IJSD_SD_EEES6_SK_JS6_EEE10hipError_tPvRmT3_T4_T5_T6_T7_T9_mT8_P12ihipStream_tbDpT10_ENKUlT_T0_E_clISt17integral_constantIbLb1EES15_IbLb0EEEEDaS11_S12_EUlS11_E_NS1_11comp_targetILNS1_3genE5ELNS1_11target_archE942ELNS1_3gpuE9ELNS1_3repE0EEENS1_30default_config_static_selectorELNS0_4arch9wavefront6targetE1EEEvT1_,comdat
.Lfunc_end338:
	.size	_ZN7rocprim17ROCPRIM_400000_NS6detail17trampoline_kernelINS0_14default_configENS1_25partition_config_selectorILNS1_17partition_subalgoE5ElNS0_10empty_typeEbEEZZNS1_14partition_implILS5_5ELb0ES3_mN6hipcub16HIPCUB_304000_NS21CountingInputIteratorIllEEPS6_NSA_22TransformInputIteratorIb7NonZeroIdEPdlEENS0_5tupleIJPlS6_EEENSJ_IJSD_SD_EEES6_SK_JS6_EEE10hipError_tPvRmT3_T4_T5_T6_T7_T9_mT8_P12ihipStream_tbDpT10_ENKUlT_T0_E_clISt17integral_constantIbLb1EES15_IbLb0EEEEDaS11_S12_EUlS11_E_NS1_11comp_targetILNS1_3genE5ELNS1_11target_archE942ELNS1_3gpuE9ELNS1_3repE0EEENS1_30default_config_static_selectorELNS0_4arch9wavefront6targetE1EEEvT1_, .Lfunc_end338-_ZN7rocprim17ROCPRIM_400000_NS6detail17trampoline_kernelINS0_14default_configENS1_25partition_config_selectorILNS1_17partition_subalgoE5ElNS0_10empty_typeEbEEZZNS1_14partition_implILS5_5ELb0ES3_mN6hipcub16HIPCUB_304000_NS21CountingInputIteratorIllEEPS6_NSA_22TransformInputIteratorIb7NonZeroIdEPdlEENS0_5tupleIJPlS6_EEENSJ_IJSD_SD_EEES6_SK_JS6_EEE10hipError_tPvRmT3_T4_T5_T6_T7_T9_mT8_P12ihipStream_tbDpT10_ENKUlT_T0_E_clISt17integral_constantIbLb1EES15_IbLb0EEEEDaS11_S12_EUlS11_E_NS1_11comp_targetILNS1_3genE5ELNS1_11target_archE942ELNS1_3gpuE9ELNS1_3repE0EEENS1_30default_config_static_selectorELNS0_4arch9wavefront6targetE1EEEvT1_
                                        ; -- End function
	.set _ZN7rocprim17ROCPRIM_400000_NS6detail17trampoline_kernelINS0_14default_configENS1_25partition_config_selectorILNS1_17partition_subalgoE5ElNS0_10empty_typeEbEEZZNS1_14partition_implILS5_5ELb0ES3_mN6hipcub16HIPCUB_304000_NS21CountingInputIteratorIllEEPS6_NSA_22TransformInputIteratorIb7NonZeroIdEPdlEENS0_5tupleIJPlS6_EEENSJ_IJSD_SD_EEES6_SK_JS6_EEE10hipError_tPvRmT3_T4_T5_T6_T7_T9_mT8_P12ihipStream_tbDpT10_ENKUlT_T0_E_clISt17integral_constantIbLb1EES15_IbLb0EEEEDaS11_S12_EUlS11_E_NS1_11comp_targetILNS1_3genE5ELNS1_11target_archE942ELNS1_3gpuE9ELNS1_3repE0EEENS1_30default_config_static_selectorELNS0_4arch9wavefront6targetE1EEEvT1_.num_vgpr, 0
	.set _ZN7rocprim17ROCPRIM_400000_NS6detail17trampoline_kernelINS0_14default_configENS1_25partition_config_selectorILNS1_17partition_subalgoE5ElNS0_10empty_typeEbEEZZNS1_14partition_implILS5_5ELb0ES3_mN6hipcub16HIPCUB_304000_NS21CountingInputIteratorIllEEPS6_NSA_22TransformInputIteratorIb7NonZeroIdEPdlEENS0_5tupleIJPlS6_EEENSJ_IJSD_SD_EEES6_SK_JS6_EEE10hipError_tPvRmT3_T4_T5_T6_T7_T9_mT8_P12ihipStream_tbDpT10_ENKUlT_T0_E_clISt17integral_constantIbLb1EES15_IbLb0EEEEDaS11_S12_EUlS11_E_NS1_11comp_targetILNS1_3genE5ELNS1_11target_archE942ELNS1_3gpuE9ELNS1_3repE0EEENS1_30default_config_static_selectorELNS0_4arch9wavefront6targetE1EEEvT1_.num_agpr, 0
	.set _ZN7rocprim17ROCPRIM_400000_NS6detail17trampoline_kernelINS0_14default_configENS1_25partition_config_selectorILNS1_17partition_subalgoE5ElNS0_10empty_typeEbEEZZNS1_14partition_implILS5_5ELb0ES3_mN6hipcub16HIPCUB_304000_NS21CountingInputIteratorIllEEPS6_NSA_22TransformInputIteratorIb7NonZeroIdEPdlEENS0_5tupleIJPlS6_EEENSJ_IJSD_SD_EEES6_SK_JS6_EEE10hipError_tPvRmT3_T4_T5_T6_T7_T9_mT8_P12ihipStream_tbDpT10_ENKUlT_T0_E_clISt17integral_constantIbLb1EES15_IbLb0EEEEDaS11_S12_EUlS11_E_NS1_11comp_targetILNS1_3genE5ELNS1_11target_archE942ELNS1_3gpuE9ELNS1_3repE0EEENS1_30default_config_static_selectorELNS0_4arch9wavefront6targetE1EEEvT1_.numbered_sgpr, 0
	.set _ZN7rocprim17ROCPRIM_400000_NS6detail17trampoline_kernelINS0_14default_configENS1_25partition_config_selectorILNS1_17partition_subalgoE5ElNS0_10empty_typeEbEEZZNS1_14partition_implILS5_5ELb0ES3_mN6hipcub16HIPCUB_304000_NS21CountingInputIteratorIllEEPS6_NSA_22TransformInputIteratorIb7NonZeroIdEPdlEENS0_5tupleIJPlS6_EEENSJ_IJSD_SD_EEES6_SK_JS6_EEE10hipError_tPvRmT3_T4_T5_T6_T7_T9_mT8_P12ihipStream_tbDpT10_ENKUlT_T0_E_clISt17integral_constantIbLb1EES15_IbLb0EEEEDaS11_S12_EUlS11_E_NS1_11comp_targetILNS1_3genE5ELNS1_11target_archE942ELNS1_3gpuE9ELNS1_3repE0EEENS1_30default_config_static_selectorELNS0_4arch9wavefront6targetE1EEEvT1_.num_named_barrier, 0
	.set _ZN7rocprim17ROCPRIM_400000_NS6detail17trampoline_kernelINS0_14default_configENS1_25partition_config_selectorILNS1_17partition_subalgoE5ElNS0_10empty_typeEbEEZZNS1_14partition_implILS5_5ELb0ES3_mN6hipcub16HIPCUB_304000_NS21CountingInputIteratorIllEEPS6_NSA_22TransformInputIteratorIb7NonZeroIdEPdlEENS0_5tupleIJPlS6_EEENSJ_IJSD_SD_EEES6_SK_JS6_EEE10hipError_tPvRmT3_T4_T5_T6_T7_T9_mT8_P12ihipStream_tbDpT10_ENKUlT_T0_E_clISt17integral_constantIbLb1EES15_IbLb0EEEEDaS11_S12_EUlS11_E_NS1_11comp_targetILNS1_3genE5ELNS1_11target_archE942ELNS1_3gpuE9ELNS1_3repE0EEENS1_30default_config_static_selectorELNS0_4arch9wavefront6targetE1EEEvT1_.private_seg_size, 0
	.set _ZN7rocprim17ROCPRIM_400000_NS6detail17trampoline_kernelINS0_14default_configENS1_25partition_config_selectorILNS1_17partition_subalgoE5ElNS0_10empty_typeEbEEZZNS1_14partition_implILS5_5ELb0ES3_mN6hipcub16HIPCUB_304000_NS21CountingInputIteratorIllEEPS6_NSA_22TransformInputIteratorIb7NonZeroIdEPdlEENS0_5tupleIJPlS6_EEENSJ_IJSD_SD_EEES6_SK_JS6_EEE10hipError_tPvRmT3_T4_T5_T6_T7_T9_mT8_P12ihipStream_tbDpT10_ENKUlT_T0_E_clISt17integral_constantIbLb1EES15_IbLb0EEEEDaS11_S12_EUlS11_E_NS1_11comp_targetILNS1_3genE5ELNS1_11target_archE942ELNS1_3gpuE9ELNS1_3repE0EEENS1_30default_config_static_selectorELNS0_4arch9wavefront6targetE1EEEvT1_.uses_vcc, 0
	.set _ZN7rocprim17ROCPRIM_400000_NS6detail17trampoline_kernelINS0_14default_configENS1_25partition_config_selectorILNS1_17partition_subalgoE5ElNS0_10empty_typeEbEEZZNS1_14partition_implILS5_5ELb0ES3_mN6hipcub16HIPCUB_304000_NS21CountingInputIteratorIllEEPS6_NSA_22TransformInputIteratorIb7NonZeroIdEPdlEENS0_5tupleIJPlS6_EEENSJ_IJSD_SD_EEES6_SK_JS6_EEE10hipError_tPvRmT3_T4_T5_T6_T7_T9_mT8_P12ihipStream_tbDpT10_ENKUlT_T0_E_clISt17integral_constantIbLb1EES15_IbLb0EEEEDaS11_S12_EUlS11_E_NS1_11comp_targetILNS1_3genE5ELNS1_11target_archE942ELNS1_3gpuE9ELNS1_3repE0EEENS1_30default_config_static_selectorELNS0_4arch9wavefront6targetE1EEEvT1_.uses_flat_scratch, 0
	.set _ZN7rocprim17ROCPRIM_400000_NS6detail17trampoline_kernelINS0_14default_configENS1_25partition_config_selectorILNS1_17partition_subalgoE5ElNS0_10empty_typeEbEEZZNS1_14partition_implILS5_5ELb0ES3_mN6hipcub16HIPCUB_304000_NS21CountingInputIteratorIllEEPS6_NSA_22TransformInputIteratorIb7NonZeroIdEPdlEENS0_5tupleIJPlS6_EEENSJ_IJSD_SD_EEES6_SK_JS6_EEE10hipError_tPvRmT3_T4_T5_T6_T7_T9_mT8_P12ihipStream_tbDpT10_ENKUlT_T0_E_clISt17integral_constantIbLb1EES15_IbLb0EEEEDaS11_S12_EUlS11_E_NS1_11comp_targetILNS1_3genE5ELNS1_11target_archE942ELNS1_3gpuE9ELNS1_3repE0EEENS1_30default_config_static_selectorELNS0_4arch9wavefront6targetE1EEEvT1_.has_dyn_sized_stack, 0
	.set _ZN7rocprim17ROCPRIM_400000_NS6detail17trampoline_kernelINS0_14default_configENS1_25partition_config_selectorILNS1_17partition_subalgoE5ElNS0_10empty_typeEbEEZZNS1_14partition_implILS5_5ELb0ES3_mN6hipcub16HIPCUB_304000_NS21CountingInputIteratorIllEEPS6_NSA_22TransformInputIteratorIb7NonZeroIdEPdlEENS0_5tupleIJPlS6_EEENSJ_IJSD_SD_EEES6_SK_JS6_EEE10hipError_tPvRmT3_T4_T5_T6_T7_T9_mT8_P12ihipStream_tbDpT10_ENKUlT_T0_E_clISt17integral_constantIbLb1EES15_IbLb0EEEEDaS11_S12_EUlS11_E_NS1_11comp_targetILNS1_3genE5ELNS1_11target_archE942ELNS1_3gpuE9ELNS1_3repE0EEENS1_30default_config_static_selectorELNS0_4arch9wavefront6targetE1EEEvT1_.has_recursion, 0
	.set _ZN7rocprim17ROCPRIM_400000_NS6detail17trampoline_kernelINS0_14default_configENS1_25partition_config_selectorILNS1_17partition_subalgoE5ElNS0_10empty_typeEbEEZZNS1_14partition_implILS5_5ELb0ES3_mN6hipcub16HIPCUB_304000_NS21CountingInputIteratorIllEEPS6_NSA_22TransformInputIteratorIb7NonZeroIdEPdlEENS0_5tupleIJPlS6_EEENSJ_IJSD_SD_EEES6_SK_JS6_EEE10hipError_tPvRmT3_T4_T5_T6_T7_T9_mT8_P12ihipStream_tbDpT10_ENKUlT_T0_E_clISt17integral_constantIbLb1EES15_IbLb0EEEEDaS11_S12_EUlS11_E_NS1_11comp_targetILNS1_3genE5ELNS1_11target_archE942ELNS1_3gpuE9ELNS1_3repE0EEENS1_30default_config_static_selectorELNS0_4arch9wavefront6targetE1EEEvT1_.has_indirect_call, 0
	.section	.AMDGPU.csdata,"",@progbits
; Kernel info:
; codeLenInByte = 0
; TotalNumSgprs: 6
; NumVgprs: 0
; NumAgprs: 0
; TotalNumVgprs: 0
; ScratchSize: 0
; MemoryBound: 0
; FloatMode: 240
; IeeeMode: 1
; LDSByteSize: 0 bytes/workgroup (compile time only)
; SGPRBlocks: 0
; VGPRBlocks: 0
; NumSGPRsForWavesPerEU: 6
; NumVGPRsForWavesPerEU: 1
; AccumOffset: 4
; Occupancy: 8
; WaveLimiterHint : 0
; COMPUTE_PGM_RSRC2:SCRATCH_EN: 0
; COMPUTE_PGM_RSRC2:USER_SGPR: 2
; COMPUTE_PGM_RSRC2:TRAP_HANDLER: 0
; COMPUTE_PGM_RSRC2:TGID_X_EN: 1
; COMPUTE_PGM_RSRC2:TGID_Y_EN: 0
; COMPUTE_PGM_RSRC2:TGID_Z_EN: 0
; COMPUTE_PGM_RSRC2:TIDIG_COMP_CNT: 0
; COMPUTE_PGM_RSRC3_GFX90A:ACCUM_OFFSET: 0
; COMPUTE_PGM_RSRC3_GFX90A:TG_SPLIT: 0
	.section	.text._ZN7rocprim17ROCPRIM_400000_NS6detail17trampoline_kernelINS0_14default_configENS1_25partition_config_selectorILNS1_17partition_subalgoE5ElNS0_10empty_typeEbEEZZNS1_14partition_implILS5_5ELb0ES3_mN6hipcub16HIPCUB_304000_NS21CountingInputIteratorIllEEPS6_NSA_22TransformInputIteratorIb7NonZeroIdEPdlEENS0_5tupleIJPlS6_EEENSJ_IJSD_SD_EEES6_SK_JS6_EEE10hipError_tPvRmT3_T4_T5_T6_T7_T9_mT8_P12ihipStream_tbDpT10_ENKUlT_T0_E_clISt17integral_constantIbLb1EES15_IbLb0EEEEDaS11_S12_EUlS11_E_NS1_11comp_targetILNS1_3genE4ELNS1_11target_archE910ELNS1_3gpuE8ELNS1_3repE0EEENS1_30default_config_static_selectorELNS0_4arch9wavefront6targetE1EEEvT1_,"axG",@progbits,_ZN7rocprim17ROCPRIM_400000_NS6detail17trampoline_kernelINS0_14default_configENS1_25partition_config_selectorILNS1_17partition_subalgoE5ElNS0_10empty_typeEbEEZZNS1_14partition_implILS5_5ELb0ES3_mN6hipcub16HIPCUB_304000_NS21CountingInputIteratorIllEEPS6_NSA_22TransformInputIteratorIb7NonZeroIdEPdlEENS0_5tupleIJPlS6_EEENSJ_IJSD_SD_EEES6_SK_JS6_EEE10hipError_tPvRmT3_T4_T5_T6_T7_T9_mT8_P12ihipStream_tbDpT10_ENKUlT_T0_E_clISt17integral_constantIbLb1EES15_IbLb0EEEEDaS11_S12_EUlS11_E_NS1_11comp_targetILNS1_3genE4ELNS1_11target_archE910ELNS1_3gpuE8ELNS1_3repE0EEENS1_30default_config_static_selectorELNS0_4arch9wavefront6targetE1EEEvT1_,comdat
	.protected	_ZN7rocprim17ROCPRIM_400000_NS6detail17trampoline_kernelINS0_14default_configENS1_25partition_config_selectorILNS1_17partition_subalgoE5ElNS0_10empty_typeEbEEZZNS1_14partition_implILS5_5ELb0ES3_mN6hipcub16HIPCUB_304000_NS21CountingInputIteratorIllEEPS6_NSA_22TransformInputIteratorIb7NonZeroIdEPdlEENS0_5tupleIJPlS6_EEENSJ_IJSD_SD_EEES6_SK_JS6_EEE10hipError_tPvRmT3_T4_T5_T6_T7_T9_mT8_P12ihipStream_tbDpT10_ENKUlT_T0_E_clISt17integral_constantIbLb1EES15_IbLb0EEEEDaS11_S12_EUlS11_E_NS1_11comp_targetILNS1_3genE4ELNS1_11target_archE910ELNS1_3gpuE8ELNS1_3repE0EEENS1_30default_config_static_selectorELNS0_4arch9wavefront6targetE1EEEvT1_ ; -- Begin function _ZN7rocprim17ROCPRIM_400000_NS6detail17trampoline_kernelINS0_14default_configENS1_25partition_config_selectorILNS1_17partition_subalgoE5ElNS0_10empty_typeEbEEZZNS1_14partition_implILS5_5ELb0ES3_mN6hipcub16HIPCUB_304000_NS21CountingInputIteratorIllEEPS6_NSA_22TransformInputIteratorIb7NonZeroIdEPdlEENS0_5tupleIJPlS6_EEENSJ_IJSD_SD_EEES6_SK_JS6_EEE10hipError_tPvRmT3_T4_T5_T6_T7_T9_mT8_P12ihipStream_tbDpT10_ENKUlT_T0_E_clISt17integral_constantIbLb1EES15_IbLb0EEEEDaS11_S12_EUlS11_E_NS1_11comp_targetILNS1_3genE4ELNS1_11target_archE910ELNS1_3gpuE8ELNS1_3repE0EEENS1_30default_config_static_selectorELNS0_4arch9wavefront6targetE1EEEvT1_
	.globl	_ZN7rocprim17ROCPRIM_400000_NS6detail17trampoline_kernelINS0_14default_configENS1_25partition_config_selectorILNS1_17partition_subalgoE5ElNS0_10empty_typeEbEEZZNS1_14partition_implILS5_5ELb0ES3_mN6hipcub16HIPCUB_304000_NS21CountingInputIteratorIllEEPS6_NSA_22TransformInputIteratorIb7NonZeroIdEPdlEENS0_5tupleIJPlS6_EEENSJ_IJSD_SD_EEES6_SK_JS6_EEE10hipError_tPvRmT3_T4_T5_T6_T7_T9_mT8_P12ihipStream_tbDpT10_ENKUlT_T0_E_clISt17integral_constantIbLb1EES15_IbLb0EEEEDaS11_S12_EUlS11_E_NS1_11comp_targetILNS1_3genE4ELNS1_11target_archE910ELNS1_3gpuE8ELNS1_3repE0EEENS1_30default_config_static_selectorELNS0_4arch9wavefront6targetE1EEEvT1_
	.p2align	8
	.type	_ZN7rocprim17ROCPRIM_400000_NS6detail17trampoline_kernelINS0_14default_configENS1_25partition_config_selectorILNS1_17partition_subalgoE5ElNS0_10empty_typeEbEEZZNS1_14partition_implILS5_5ELb0ES3_mN6hipcub16HIPCUB_304000_NS21CountingInputIteratorIllEEPS6_NSA_22TransformInputIteratorIb7NonZeroIdEPdlEENS0_5tupleIJPlS6_EEENSJ_IJSD_SD_EEES6_SK_JS6_EEE10hipError_tPvRmT3_T4_T5_T6_T7_T9_mT8_P12ihipStream_tbDpT10_ENKUlT_T0_E_clISt17integral_constantIbLb1EES15_IbLb0EEEEDaS11_S12_EUlS11_E_NS1_11comp_targetILNS1_3genE4ELNS1_11target_archE910ELNS1_3gpuE8ELNS1_3repE0EEENS1_30default_config_static_selectorELNS0_4arch9wavefront6targetE1EEEvT1_,@function
_ZN7rocprim17ROCPRIM_400000_NS6detail17trampoline_kernelINS0_14default_configENS1_25partition_config_selectorILNS1_17partition_subalgoE5ElNS0_10empty_typeEbEEZZNS1_14partition_implILS5_5ELb0ES3_mN6hipcub16HIPCUB_304000_NS21CountingInputIteratorIllEEPS6_NSA_22TransformInputIteratorIb7NonZeroIdEPdlEENS0_5tupleIJPlS6_EEENSJ_IJSD_SD_EEES6_SK_JS6_EEE10hipError_tPvRmT3_T4_T5_T6_T7_T9_mT8_P12ihipStream_tbDpT10_ENKUlT_T0_E_clISt17integral_constantIbLb1EES15_IbLb0EEEEDaS11_S12_EUlS11_E_NS1_11comp_targetILNS1_3genE4ELNS1_11target_archE910ELNS1_3gpuE8ELNS1_3repE0EEENS1_30default_config_static_selectorELNS0_4arch9wavefront6targetE1EEEvT1_: ; @_ZN7rocprim17ROCPRIM_400000_NS6detail17trampoline_kernelINS0_14default_configENS1_25partition_config_selectorILNS1_17partition_subalgoE5ElNS0_10empty_typeEbEEZZNS1_14partition_implILS5_5ELb0ES3_mN6hipcub16HIPCUB_304000_NS21CountingInputIteratorIllEEPS6_NSA_22TransformInputIteratorIb7NonZeroIdEPdlEENS0_5tupleIJPlS6_EEENSJ_IJSD_SD_EEES6_SK_JS6_EEE10hipError_tPvRmT3_T4_T5_T6_T7_T9_mT8_P12ihipStream_tbDpT10_ENKUlT_T0_E_clISt17integral_constantIbLb1EES15_IbLb0EEEEDaS11_S12_EUlS11_E_NS1_11comp_targetILNS1_3genE4ELNS1_11target_archE910ELNS1_3gpuE8ELNS1_3repE0EEENS1_30default_config_static_selectorELNS0_4arch9wavefront6targetE1EEEvT1_
; %bb.0:
	.section	.rodata,"a",@progbits
	.p2align	6, 0x0
	.amdhsa_kernel _ZN7rocprim17ROCPRIM_400000_NS6detail17trampoline_kernelINS0_14default_configENS1_25partition_config_selectorILNS1_17partition_subalgoE5ElNS0_10empty_typeEbEEZZNS1_14partition_implILS5_5ELb0ES3_mN6hipcub16HIPCUB_304000_NS21CountingInputIteratorIllEEPS6_NSA_22TransformInputIteratorIb7NonZeroIdEPdlEENS0_5tupleIJPlS6_EEENSJ_IJSD_SD_EEES6_SK_JS6_EEE10hipError_tPvRmT3_T4_T5_T6_T7_T9_mT8_P12ihipStream_tbDpT10_ENKUlT_T0_E_clISt17integral_constantIbLb1EES15_IbLb0EEEEDaS11_S12_EUlS11_E_NS1_11comp_targetILNS1_3genE4ELNS1_11target_archE910ELNS1_3gpuE8ELNS1_3repE0EEENS1_30default_config_static_selectorELNS0_4arch9wavefront6targetE1EEEvT1_
		.amdhsa_group_segment_fixed_size 0
		.amdhsa_private_segment_fixed_size 0
		.amdhsa_kernarg_size 120
		.amdhsa_user_sgpr_count 2
		.amdhsa_user_sgpr_dispatch_ptr 0
		.amdhsa_user_sgpr_queue_ptr 0
		.amdhsa_user_sgpr_kernarg_segment_ptr 1
		.amdhsa_user_sgpr_dispatch_id 0
		.amdhsa_user_sgpr_kernarg_preload_length 0
		.amdhsa_user_sgpr_kernarg_preload_offset 0
		.amdhsa_user_sgpr_private_segment_size 0
		.amdhsa_uses_dynamic_stack 0
		.amdhsa_enable_private_segment 0
		.amdhsa_system_sgpr_workgroup_id_x 1
		.amdhsa_system_sgpr_workgroup_id_y 0
		.amdhsa_system_sgpr_workgroup_id_z 0
		.amdhsa_system_sgpr_workgroup_info 0
		.amdhsa_system_vgpr_workitem_id 0
		.amdhsa_next_free_vgpr 1
		.amdhsa_next_free_sgpr 0
		.amdhsa_accum_offset 4
		.amdhsa_reserve_vcc 0
		.amdhsa_float_round_mode_32 0
		.amdhsa_float_round_mode_16_64 0
		.amdhsa_float_denorm_mode_32 3
		.amdhsa_float_denorm_mode_16_64 3
		.amdhsa_dx10_clamp 1
		.amdhsa_ieee_mode 1
		.amdhsa_fp16_overflow 0
		.amdhsa_tg_split 0
		.amdhsa_exception_fp_ieee_invalid_op 0
		.amdhsa_exception_fp_denorm_src 0
		.amdhsa_exception_fp_ieee_div_zero 0
		.amdhsa_exception_fp_ieee_overflow 0
		.amdhsa_exception_fp_ieee_underflow 0
		.amdhsa_exception_fp_ieee_inexact 0
		.amdhsa_exception_int_div_zero 0
	.end_amdhsa_kernel
	.section	.text._ZN7rocprim17ROCPRIM_400000_NS6detail17trampoline_kernelINS0_14default_configENS1_25partition_config_selectorILNS1_17partition_subalgoE5ElNS0_10empty_typeEbEEZZNS1_14partition_implILS5_5ELb0ES3_mN6hipcub16HIPCUB_304000_NS21CountingInputIteratorIllEEPS6_NSA_22TransformInputIteratorIb7NonZeroIdEPdlEENS0_5tupleIJPlS6_EEENSJ_IJSD_SD_EEES6_SK_JS6_EEE10hipError_tPvRmT3_T4_T5_T6_T7_T9_mT8_P12ihipStream_tbDpT10_ENKUlT_T0_E_clISt17integral_constantIbLb1EES15_IbLb0EEEEDaS11_S12_EUlS11_E_NS1_11comp_targetILNS1_3genE4ELNS1_11target_archE910ELNS1_3gpuE8ELNS1_3repE0EEENS1_30default_config_static_selectorELNS0_4arch9wavefront6targetE1EEEvT1_,"axG",@progbits,_ZN7rocprim17ROCPRIM_400000_NS6detail17trampoline_kernelINS0_14default_configENS1_25partition_config_selectorILNS1_17partition_subalgoE5ElNS0_10empty_typeEbEEZZNS1_14partition_implILS5_5ELb0ES3_mN6hipcub16HIPCUB_304000_NS21CountingInputIteratorIllEEPS6_NSA_22TransformInputIteratorIb7NonZeroIdEPdlEENS0_5tupleIJPlS6_EEENSJ_IJSD_SD_EEES6_SK_JS6_EEE10hipError_tPvRmT3_T4_T5_T6_T7_T9_mT8_P12ihipStream_tbDpT10_ENKUlT_T0_E_clISt17integral_constantIbLb1EES15_IbLb0EEEEDaS11_S12_EUlS11_E_NS1_11comp_targetILNS1_3genE4ELNS1_11target_archE910ELNS1_3gpuE8ELNS1_3repE0EEENS1_30default_config_static_selectorELNS0_4arch9wavefront6targetE1EEEvT1_,comdat
.Lfunc_end339:
	.size	_ZN7rocprim17ROCPRIM_400000_NS6detail17trampoline_kernelINS0_14default_configENS1_25partition_config_selectorILNS1_17partition_subalgoE5ElNS0_10empty_typeEbEEZZNS1_14partition_implILS5_5ELb0ES3_mN6hipcub16HIPCUB_304000_NS21CountingInputIteratorIllEEPS6_NSA_22TransformInputIteratorIb7NonZeroIdEPdlEENS0_5tupleIJPlS6_EEENSJ_IJSD_SD_EEES6_SK_JS6_EEE10hipError_tPvRmT3_T4_T5_T6_T7_T9_mT8_P12ihipStream_tbDpT10_ENKUlT_T0_E_clISt17integral_constantIbLb1EES15_IbLb0EEEEDaS11_S12_EUlS11_E_NS1_11comp_targetILNS1_3genE4ELNS1_11target_archE910ELNS1_3gpuE8ELNS1_3repE0EEENS1_30default_config_static_selectorELNS0_4arch9wavefront6targetE1EEEvT1_, .Lfunc_end339-_ZN7rocprim17ROCPRIM_400000_NS6detail17trampoline_kernelINS0_14default_configENS1_25partition_config_selectorILNS1_17partition_subalgoE5ElNS0_10empty_typeEbEEZZNS1_14partition_implILS5_5ELb0ES3_mN6hipcub16HIPCUB_304000_NS21CountingInputIteratorIllEEPS6_NSA_22TransformInputIteratorIb7NonZeroIdEPdlEENS0_5tupleIJPlS6_EEENSJ_IJSD_SD_EEES6_SK_JS6_EEE10hipError_tPvRmT3_T4_T5_T6_T7_T9_mT8_P12ihipStream_tbDpT10_ENKUlT_T0_E_clISt17integral_constantIbLb1EES15_IbLb0EEEEDaS11_S12_EUlS11_E_NS1_11comp_targetILNS1_3genE4ELNS1_11target_archE910ELNS1_3gpuE8ELNS1_3repE0EEENS1_30default_config_static_selectorELNS0_4arch9wavefront6targetE1EEEvT1_
                                        ; -- End function
	.set _ZN7rocprim17ROCPRIM_400000_NS6detail17trampoline_kernelINS0_14default_configENS1_25partition_config_selectorILNS1_17partition_subalgoE5ElNS0_10empty_typeEbEEZZNS1_14partition_implILS5_5ELb0ES3_mN6hipcub16HIPCUB_304000_NS21CountingInputIteratorIllEEPS6_NSA_22TransformInputIteratorIb7NonZeroIdEPdlEENS0_5tupleIJPlS6_EEENSJ_IJSD_SD_EEES6_SK_JS6_EEE10hipError_tPvRmT3_T4_T5_T6_T7_T9_mT8_P12ihipStream_tbDpT10_ENKUlT_T0_E_clISt17integral_constantIbLb1EES15_IbLb0EEEEDaS11_S12_EUlS11_E_NS1_11comp_targetILNS1_3genE4ELNS1_11target_archE910ELNS1_3gpuE8ELNS1_3repE0EEENS1_30default_config_static_selectorELNS0_4arch9wavefront6targetE1EEEvT1_.num_vgpr, 0
	.set _ZN7rocprim17ROCPRIM_400000_NS6detail17trampoline_kernelINS0_14default_configENS1_25partition_config_selectorILNS1_17partition_subalgoE5ElNS0_10empty_typeEbEEZZNS1_14partition_implILS5_5ELb0ES3_mN6hipcub16HIPCUB_304000_NS21CountingInputIteratorIllEEPS6_NSA_22TransformInputIteratorIb7NonZeroIdEPdlEENS0_5tupleIJPlS6_EEENSJ_IJSD_SD_EEES6_SK_JS6_EEE10hipError_tPvRmT3_T4_T5_T6_T7_T9_mT8_P12ihipStream_tbDpT10_ENKUlT_T0_E_clISt17integral_constantIbLb1EES15_IbLb0EEEEDaS11_S12_EUlS11_E_NS1_11comp_targetILNS1_3genE4ELNS1_11target_archE910ELNS1_3gpuE8ELNS1_3repE0EEENS1_30default_config_static_selectorELNS0_4arch9wavefront6targetE1EEEvT1_.num_agpr, 0
	.set _ZN7rocprim17ROCPRIM_400000_NS6detail17trampoline_kernelINS0_14default_configENS1_25partition_config_selectorILNS1_17partition_subalgoE5ElNS0_10empty_typeEbEEZZNS1_14partition_implILS5_5ELb0ES3_mN6hipcub16HIPCUB_304000_NS21CountingInputIteratorIllEEPS6_NSA_22TransformInputIteratorIb7NonZeroIdEPdlEENS0_5tupleIJPlS6_EEENSJ_IJSD_SD_EEES6_SK_JS6_EEE10hipError_tPvRmT3_T4_T5_T6_T7_T9_mT8_P12ihipStream_tbDpT10_ENKUlT_T0_E_clISt17integral_constantIbLb1EES15_IbLb0EEEEDaS11_S12_EUlS11_E_NS1_11comp_targetILNS1_3genE4ELNS1_11target_archE910ELNS1_3gpuE8ELNS1_3repE0EEENS1_30default_config_static_selectorELNS0_4arch9wavefront6targetE1EEEvT1_.numbered_sgpr, 0
	.set _ZN7rocprim17ROCPRIM_400000_NS6detail17trampoline_kernelINS0_14default_configENS1_25partition_config_selectorILNS1_17partition_subalgoE5ElNS0_10empty_typeEbEEZZNS1_14partition_implILS5_5ELb0ES3_mN6hipcub16HIPCUB_304000_NS21CountingInputIteratorIllEEPS6_NSA_22TransformInputIteratorIb7NonZeroIdEPdlEENS0_5tupleIJPlS6_EEENSJ_IJSD_SD_EEES6_SK_JS6_EEE10hipError_tPvRmT3_T4_T5_T6_T7_T9_mT8_P12ihipStream_tbDpT10_ENKUlT_T0_E_clISt17integral_constantIbLb1EES15_IbLb0EEEEDaS11_S12_EUlS11_E_NS1_11comp_targetILNS1_3genE4ELNS1_11target_archE910ELNS1_3gpuE8ELNS1_3repE0EEENS1_30default_config_static_selectorELNS0_4arch9wavefront6targetE1EEEvT1_.num_named_barrier, 0
	.set _ZN7rocprim17ROCPRIM_400000_NS6detail17trampoline_kernelINS0_14default_configENS1_25partition_config_selectorILNS1_17partition_subalgoE5ElNS0_10empty_typeEbEEZZNS1_14partition_implILS5_5ELb0ES3_mN6hipcub16HIPCUB_304000_NS21CountingInputIteratorIllEEPS6_NSA_22TransformInputIteratorIb7NonZeroIdEPdlEENS0_5tupleIJPlS6_EEENSJ_IJSD_SD_EEES6_SK_JS6_EEE10hipError_tPvRmT3_T4_T5_T6_T7_T9_mT8_P12ihipStream_tbDpT10_ENKUlT_T0_E_clISt17integral_constantIbLb1EES15_IbLb0EEEEDaS11_S12_EUlS11_E_NS1_11comp_targetILNS1_3genE4ELNS1_11target_archE910ELNS1_3gpuE8ELNS1_3repE0EEENS1_30default_config_static_selectorELNS0_4arch9wavefront6targetE1EEEvT1_.private_seg_size, 0
	.set _ZN7rocprim17ROCPRIM_400000_NS6detail17trampoline_kernelINS0_14default_configENS1_25partition_config_selectorILNS1_17partition_subalgoE5ElNS0_10empty_typeEbEEZZNS1_14partition_implILS5_5ELb0ES3_mN6hipcub16HIPCUB_304000_NS21CountingInputIteratorIllEEPS6_NSA_22TransformInputIteratorIb7NonZeroIdEPdlEENS0_5tupleIJPlS6_EEENSJ_IJSD_SD_EEES6_SK_JS6_EEE10hipError_tPvRmT3_T4_T5_T6_T7_T9_mT8_P12ihipStream_tbDpT10_ENKUlT_T0_E_clISt17integral_constantIbLb1EES15_IbLb0EEEEDaS11_S12_EUlS11_E_NS1_11comp_targetILNS1_3genE4ELNS1_11target_archE910ELNS1_3gpuE8ELNS1_3repE0EEENS1_30default_config_static_selectorELNS0_4arch9wavefront6targetE1EEEvT1_.uses_vcc, 0
	.set _ZN7rocprim17ROCPRIM_400000_NS6detail17trampoline_kernelINS0_14default_configENS1_25partition_config_selectorILNS1_17partition_subalgoE5ElNS0_10empty_typeEbEEZZNS1_14partition_implILS5_5ELb0ES3_mN6hipcub16HIPCUB_304000_NS21CountingInputIteratorIllEEPS6_NSA_22TransformInputIteratorIb7NonZeroIdEPdlEENS0_5tupleIJPlS6_EEENSJ_IJSD_SD_EEES6_SK_JS6_EEE10hipError_tPvRmT3_T4_T5_T6_T7_T9_mT8_P12ihipStream_tbDpT10_ENKUlT_T0_E_clISt17integral_constantIbLb1EES15_IbLb0EEEEDaS11_S12_EUlS11_E_NS1_11comp_targetILNS1_3genE4ELNS1_11target_archE910ELNS1_3gpuE8ELNS1_3repE0EEENS1_30default_config_static_selectorELNS0_4arch9wavefront6targetE1EEEvT1_.uses_flat_scratch, 0
	.set _ZN7rocprim17ROCPRIM_400000_NS6detail17trampoline_kernelINS0_14default_configENS1_25partition_config_selectorILNS1_17partition_subalgoE5ElNS0_10empty_typeEbEEZZNS1_14partition_implILS5_5ELb0ES3_mN6hipcub16HIPCUB_304000_NS21CountingInputIteratorIllEEPS6_NSA_22TransformInputIteratorIb7NonZeroIdEPdlEENS0_5tupleIJPlS6_EEENSJ_IJSD_SD_EEES6_SK_JS6_EEE10hipError_tPvRmT3_T4_T5_T6_T7_T9_mT8_P12ihipStream_tbDpT10_ENKUlT_T0_E_clISt17integral_constantIbLb1EES15_IbLb0EEEEDaS11_S12_EUlS11_E_NS1_11comp_targetILNS1_3genE4ELNS1_11target_archE910ELNS1_3gpuE8ELNS1_3repE0EEENS1_30default_config_static_selectorELNS0_4arch9wavefront6targetE1EEEvT1_.has_dyn_sized_stack, 0
	.set _ZN7rocprim17ROCPRIM_400000_NS6detail17trampoline_kernelINS0_14default_configENS1_25partition_config_selectorILNS1_17partition_subalgoE5ElNS0_10empty_typeEbEEZZNS1_14partition_implILS5_5ELb0ES3_mN6hipcub16HIPCUB_304000_NS21CountingInputIteratorIllEEPS6_NSA_22TransformInputIteratorIb7NonZeroIdEPdlEENS0_5tupleIJPlS6_EEENSJ_IJSD_SD_EEES6_SK_JS6_EEE10hipError_tPvRmT3_T4_T5_T6_T7_T9_mT8_P12ihipStream_tbDpT10_ENKUlT_T0_E_clISt17integral_constantIbLb1EES15_IbLb0EEEEDaS11_S12_EUlS11_E_NS1_11comp_targetILNS1_3genE4ELNS1_11target_archE910ELNS1_3gpuE8ELNS1_3repE0EEENS1_30default_config_static_selectorELNS0_4arch9wavefront6targetE1EEEvT1_.has_recursion, 0
	.set _ZN7rocprim17ROCPRIM_400000_NS6detail17trampoline_kernelINS0_14default_configENS1_25partition_config_selectorILNS1_17partition_subalgoE5ElNS0_10empty_typeEbEEZZNS1_14partition_implILS5_5ELb0ES3_mN6hipcub16HIPCUB_304000_NS21CountingInputIteratorIllEEPS6_NSA_22TransformInputIteratorIb7NonZeroIdEPdlEENS0_5tupleIJPlS6_EEENSJ_IJSD_SD_EEES6_SK_JS6_EEE10hipError_tPvRmT3_T4_T5_T6_T7_T9_mT8_P12ihipStream_tbDpT10_ENKUlT_T0_E_clISt17integral_constantIbLb1EES15_IbLb0EEEEDaS11_S12_EUlS11_E_NS1_11comp_targetILNS1_3genE4ELNS1_11target_archE910ELNS1_3gpuE8ELNS1_3repE0EEENS1_30default_config_static_selectorELNS0_4arch9wavefront6targetE1EEEvT1_.has_indirect_call, 0
	.section	.AMDGPU.csdata,"",@progbits
; Kernel info:
; codeLenInByte = 0
; TotalNumSgprs: 6
; NumVgprs: 0
; NumAgprs: 0
; TotalNumVgprs: 0
; ScratchSize: 0
; MemoryBound: 0
; FloatMode: 240
; IeeeMode: 1
; LDSByteSize: 0 bytes/workgroup (compile time only)
; SGPRBlocks: 0
; VGPRBlocks: 0
; NumSGPRsForWavesPerEU: 6
; NumVGPRsForWavesPerEU: 1
; AccumOffset: 4
; Occupancy: 8
; WaveLimiterHint : 0
; COMPUTE_PGM_RSRC2:SCRATCH_EN: 0
; COMPUTE_PGM_RSRC2:USER_SGPR: 2
; COMPUTE_PGM_RSRC2:TRAP_HANDLER: 0
; COMPUTE_PGM_RSRC2:TGID_X_EN: 1
; COMPUTE_PGM_RSRC2:TGID_Y_EN: 0
; COMPUTE_PGM_RSRC2:TGID_Z_EN: 0
; COMPUTE_PGM_RSRC2:TIDIG_COMP_CNT: 0
; COMPUTE_PGM_RSRC3_GFX90A:ACCUM_OFFSET: 0
; COMPUTE_PGM_RSRC3_GFX90A:TG_SPLIT: 0
	.section	.text._ZN7rocprim17ROCPRIM_400000_NS6detail17trampoline_kernelINS0_14default_configENS1_25partition_config_selectorILNS1_17partition_subalgoE5ElNS0_10empty_typeEbEEZZNS1_14partition_implILS5_5ELb0ES3_mN6hipcub16HIPCUB_304000_NS21CountingInputIteratorIllEEPS6_NSA_22TransformInputIteratorIb7NonZeroIdEPdlEENS0_5tupleIJPlS6_EEENSJ_IJSD_SD_EEES6_SK_JS6_EEE10hipError_tPvRmT3_T4_T5_T6_T7_T9_mT8_P12ihipStream_tbDpT10_ENKUlT_T0_E_clISt17integral_constantIbLb1EES15_IbLb0EEEEDaS11_S12_EUlS11_E_NS1_11comp_targetILNS1_3genE3ELNS1_11target_archE908ELNS1_3gpuE7ELNS1_3repE0EEENS1_30default_config_static_selectorELNS0_4arch9wavefront6targetE1EEEvT1_,"axG",@progbits,_ZN7rocprim17ROCPRIM_400000_NS6detail17trampoline_kernelINS0_14default_configENS1_25partition_config_selectorILNS1_17partition_subalgoE5ElNS0_10empty_typeEbEEZZNS1_14partition_implILS5_5ELb0ES3_mN6hipcub16HIPCUB_304000_NS21CountingInputIteratorIllEEPS6_NSA_22TransformInputIteratorIb7NonZeroIdEPdlEENS0_5tupleIJPlS6_EEENSJ_IJSD_SD_EEES6_SK_JS6_EEE10hipError_tPvRmT3_T4_T5_T6_T7_T9_mT8_P12ihipStream_tbDpT10_ENKUlT_T0_E_clISt17integral_constantIbLb1EES15_IbLb0EEEEDaS11_S12_EUlS11_E_NS1_11comp_targetILNS1_3genE3ELNS1_11target_archE908ELNS1_3gpuE7ELNS1_3repE0EEENS1_30default_config_static_selectorELNS0_4arch9wavefront6targetE1EEEvT1_,comdat
	.protected	_ZN7rocprim17ROCPRIM_400000_NS6detail17trampoline_kernelINS0_14default_configENS1_25partition_config_selectorILNS1_17partition_subalgoE5ElNS0_10empty_typeEbEEZZNS1_14partition_implILS5_5ELb0ES3_mN6hipcub16HIPCUB_304000_NS21CountingInputIteratorIllEEPS6_NSA_22TransformInputIteratorIb7NonZeroIdEPdlEENS0_5tupleIJPlS6_EEENSJ_IJSD_SD_EEES6_SK_JS6_EEE10hipError_tPvRmT3_T4_T5_T6_T7_T9_mT8_P12ihipStream_tbDpT10_ENKUlT_T0_E_clISt17integral_constantIbLb1EES15_IbLb0EEEEDaS11_S12_EUlS11_E_NS1_11comp_targetILNS1_3genE3ELNS1_11target_archE908ELNS1_3gpuE7ELNS1_3repE0EEENS1_30default_config_static_selectorELNS0_4arch9wavefront6targetE1EEEvT1_ ; -- Begin function _ZN7rocprim17ROCPRIM_400000_NS6detail17trampoline_kernelINS0_14default_configENS1_25partition_config_selectorILNS1_17partition_subalgoE5ElNS0_10empty_typeEbEEZZNS1_14partition_implILS5_5ELb0ES3_mN6hipcub16HIPCUB_304000_NS21CountingInputIteratorIllEEPS6_NSA_22TransformInputIteratorIb7NonZeroIdEPdlEENS0_5tupleIJPlS6_EEENSJ_IJSD_SD_EEES6_SK_JS6_EEE10hipError_tPvRmT3_T4_T5_T6_T7_T9_mT8_P12ihipStream_tbDpT10_ENKUlT_T0_E_clISt17integral_constantIbLb1EES15_IbLb0EEEEDaS11_S12_EUlS11_E_NS1_11comp_targetILNS1_3genE3ELNS1_11target_archE908ELNS1_3gpuE7ELNS1_3repE0EEENS1_30default_config_static_selectorELNS0_4arch9wavefront6targetE1EEEvT1_
	.globl	_ZN7rocprim17ROCPRIM_400000_NS6detail17trampoline_kernelINS0_14default_configENS1_25partition_config_selectorILNS1_17partition_subalgoE5ElNS0_10empty_typeEbEEZZNS1_14partition_implILS5_5ELb0ES3_mN6hipcub16HIPCUB_304000_NS21CountingInputIteratorIllEEPS6_NSA_22TransformInputIteratorIb7NonZeroIdEPdlEENS0_5tupleIJPlS6_EEENSJ_IJSD_SD_EEES6_SK_JS6_EEE10hipError_tPvRmT3_T4_T5_T6_T7_T9_mT8_P12ihipStream_tbDpT10_ENKUlT_T0_E_clISt17integral_constantIbLb1EES15_IbLb0EEEEDaS11_S12_EUlS11_E_NS1_11comp_targetILNS1_3genE3ELNS1_11target_archE908ELNS1_3gpuE7ELNS1_3repE0EEENS1_30default_config_static_selectorELNS0_4arch9wavefront6targetE1EEEvT1_
	.p2align	8
	.type	_ZN7rocprim17ROCPRIM_400000_NS6detail17trampoline_kernelINS0_14default_configENS1_25partition_config_selectorILNS1_17partition_subalgoE5ElNS0_10empty_typeEbEEZZNS1_14partition_implILS5_5ELb0ES3_mN6hipcub16HIPCUB_304000_NS21CountingInputIteratorIllEEPS6_NSA_22TransformInputIteratorIb7NonZeroIdEPdlEENS0_5tupleIJPlS6_EEENSJ_IJSD_SD_EEES6_SK_JS6_EEE10hipError_tPvRmT3_T4_T5_T6_T7_T9_mT8_P12ihipStream_tbDpT10_ENKUlT_T0_E_clISt17integral_constantIbLb1EES15_IbLb0EEEEDaS11_S12_EUlS11_E_NS1_11comp_targetILNS1_3genE3ELNS1_11target_archE908ELNS1_3gpuE7ELNS1_3repE0EEENS1_30default_config_static_selectorELNS0_4arch9wavefront6targetE1EEEvT1_,@function
_ZN7rocprim17ROCPRIM_400000_NS6detail17trampoline_kernelINS0_14default_configENS1_25partition_config_selectorILNS1_17partition_subalgoE5ElNS0_10empty_typeEbEEZZNS1_14partition_implILS5_5ELb0ES3_mN6hipcub16HIPCUB_304000_NS21CountingInputIteratorIllEEPS6_NSA_22TransformInputIteratorIb7NonZeroIdEPdlEENS0_5tupleIJPlS6_EEENSJ_IJSD_SD_EEES6_SK_JS6_EEE10hipError_tPvRmT3_T4_T5_T6_T7_T9_mT8_P12ihipStream_tbDpT10_ENKUlT_T0_E_clISt17integral_constantIbLb1EES15_IbLb0EEEEDaS11_S12_EUlS11_E_NS1_11comp_targetILNS1_3genE3ELNS1_11target_archE908ELNS1_3gpuE7ELNS1_3repE0EEENS1_30default_config_static_selectorELNS0_4arch9wavefront6targetE1EEEvT1_: ; @_ZN7rocprim17ROCPRIM_400000_NS6detail17trampoline_kernelINS0_14default_configENS1_25partition_config_selectorILNS1_17partition_subalgoE5ElNS0_10empty_typeEbEEZZNS1_14partition_implILS5_5ELb0ES3_mN6hipcub16HIPCUB_304000_NS21CountingInputIteratorIllEEPS6_NSA_22TransformInputIteratorIb7NonZeroIdEPdlEENS0_5tupleIJPlS6_EEENSJ_IJSD_SD_EEES6_SK_JS6_EEE10hipError_tPvRmT3_T4_T5_T6_T7_T9_mT8_P12ihipStream_tbDpT10_ENKUlT_T0_E_clISt17integral_constantIbLb1EES15_IbLb0EEEEDaS11_S12_EUlS11_E_NS1_11comp_targetILNS1_3genE3ELNS1_11target_archE908ELNS1_3gpuE7ELNS1_3repE0EEENS1_30default_config_static_selectorELNS0_4arch9wavefront6targetE1EEEvT1_
; %bb.0:
	.section	.rodata,"a",@progbits
	.p2align	6, 0x0
	.amdhsa_kernel _ZN7rocprim17ROCPRIM_400000_NS6detail17trampoline_kernelINS0_14default_configENS1_25partition_config_selectorILNS1_17partition_subalgoE5ElNS0_10empty_typeEbEEZZNS1_14partition_implILS5_5ELb0ES3_mN6hipcub16HIPCUB_304000_NS21CountingInputIteratorIllEEPS6_NSA_22TransformInputIteratorIb7NonZeroIdEPdlEENS0_5tupleIJPlS6_EEENSJ_IJSD_SD_EEES6_SK_JS6_EEE10hipError_tPvRmT3_T4_T5_T6_T7_T9_mT8_P12ihipStream_tbDpT10_ENKUlT_T0_E_clISt17integral_constantIbLb1EES15_IbLb0EEEEDaS11_S12_EUlS11_E_NS1_11comp_targetILNS1_3genE3ELNS1_11target_archE908ELNS1_3gpuE7ELNS1_3repE0EEENS1_30default_config_static_selectorELNS0_4arch9wavefront6targetE1EEEvT1_
		.amdhsa_group_segment_fixed_size 0
		.amdhsa_private_segment_fixed_size 0
		.amdhsa_kernarg_size 120
		.amdhsa_user_sgpr_count 2
		.amdhsa_user_sgpr_dispatch_ptr 0
		.amdhsa_user_sgpr_queue_ptr 0
		.amdhsa_user_sgpr_kernarg_segment_ptr 1
		.amdhsa_user_sgpr_dispatch_id 0
		.amdhsa_user_sgpr_kernarg_preload_length 0
		.amdhsa_user_sgpr_kernarg_preload_offset 0
		.amdhsa_user_sgpr_private_segment_size 0
		.amdhsa_uses_dynamic_stack 0
		.amdhsa_enable_private_segment 0
		.amdhsa_system_sgpr_workgroup_id_x 1
		.amdhsa_system_sgpr_workgroup_id_y 0
		.amdhsa_system_sgpr_workgroup_id_z 0
		.amdhsa_system_sgpr_workgroup_info 0
		.amdhsa_system_vgpr_workitem_id 0
		.amdhsa_next_free_vgpr 1
		.amdhsa_next_free_sgpr 0
		.amdhsa_accum_offset 4
		.amdhsa_reserve_vcc 0
		.amdhsa_float_round_mode_32 0
		.amdhsa_float_round_mode_16_64 0
		.amdhsa_float_denorm_mode_32 3
		.amdhsa_float_denorm_mode_16_64 3
		.amdhsa_dx10_clamp 1
		.amdhsa_ieee_mode 1
		.amdhsa_fp16_overflow 0
		.amdhsa_tg_split 0
		.amdhsa_exception_fp_ieee_invalid_op 0
		.amdhsa_exception_fp_denorm_src 0
		.amdhsa_exception_fp_ieee_div_zero 0
		.amdhsa_exception_fp_ieee_overflow 0
		.amdhsa_exception_fp_ieee_underflow 0
		.amdhsa_exception_fp_ieee_inexact 0
		.amdhsa_exception_int_div_zero 0
	.end_amdhsa_kernel
	.section	.text._ZN7rocprim17ROCPRIM_400000_NS6detail17trampoline_kernelINS0_14default_configENS1_25partition_config_selectorILNS1_17partition_subalgoE5ElNS0_10empty_typeEbEEZZNS1_14partition_implILS5_5ELb0ES3_mN6hipcub16HIPCUB_304000_NS21CountingInputIteratorIllEEPS6_NSA_22TransformInputIteratorIb7NonZeroIdEPdlEENS0_5tupleIJPlS6_EEENSJ_IJSD_SD_EEES6_SK_JS6_EEE10hipError_tPvRmT3_T4_T5_T6_T7_T9_mT8_P12ihipStream_tbDpT10_ENKUlT_T0_E_clISt17integral_constantIbLb1EES15_IbLb0EEEEDaS11_S12_EUlS11_E_NS1_11comp_targetILNS1_3genE3ELNS1_11target_archE908ELNS1_3gpuE7ELNS1_3repE0EEENS1_30default_config_static_selectorELNS0_4arch9wavefront6targetE1EEEvT1_,"axG",@progbits,_ZN7rocprim17ROCPRIM_400000_NS6detail17trampoline_kernelINS0_14default_configENS1_25partition_config_selectorILNS1_17partition_subalgoE5ElNS0_10empty_typeEbEEZZNS1_14partition_implILS5_5ELb0ES3_mN6hipcub16HIPCUB_304000_NS21CountingInputIteratorIllEEPS6_NSA_22TransformInputIteratorIb7NonZeroIdEPdlEENS0_5tupleIJPlS6_EEENSJ_IJSD_SD_EEES6_SK_JS6_EEE10hipError_tPvRmT3_T4_T5_T6_T7_T9_mT8_P12ihipStream_tbDpT10_ENKUlT_T0_E_clISt17integral_constantIbLb1EES15_IbLb0EEEEDaS11_S12_EUlS11_E_NS1_11comp_targetILNS1_3genE3ELNS1_11target_archE908ELNS1_3gpuE7ELNS1_3repE0EEENS1_30default_config_static_selectorELNS0_4arch9wavefront6targetE1EEEvT1_,comdat
.Lfunc_end340:
	.size	_ZN7rocprim17ROCPRIM_400000_NS6detail17trampoline_kernelINS0_14default_configENS1_25partition_config_selectorILNS1_17partition_subalgoE5ElNS0_10empty_typeEbEEZZNS1_14partition_implILS5_5ELb0ES3_mN6hipcub16HIPCUB_304000_NS21CountingInputIteratorIllEEPS6_NSA_22TransformInputIteratorIb7NonZeroIdEPdlEENS0_5tupleIJPlS6_EEENSJ_IJSD_SD_EEES6_SK_JS6_EEE10hipError_tPvRmT3_T4_T5_T6_T7_T9_mT8_P12ihipStream_tbDpT10_ENKUlT_T0_E_clISt17integral_constantIbLb1EES15_IbLb0EEEEDaS11_S12_EUlS11_E_NS1_11comp_targetILNS1_3genE3ELNS1_11target_archE908ELNS1_3gpuE7ELNS1_3repE0EEENS1_30default_config_static_selectorELNS0_4arch9wavefront6targetE1EEEvT1_, .Lfunc_end340-_ZN7rocprim17ROCPRIM_400000_NS6detail17trampoline_kernelINS0_14default_configENS1_25partition_config_selectorILNS1_17partition_subalgoE5ElNS0_10empty_typeEbEEZZNS1_14partition_implILS5_5ELb0ES3_mN6hipcub16HIPCUB_304000_NS21CountingInputIteratorIllEEPS6_NSA_22TransformInputIteratorIb7NonZeroIdEPdlEENS0_5tupleIJPlS6_EEENSJ_IJSD_SD_EEES6_SK_JS6_EEE10hipError_tPvRmT3_T4_T5_T6_T7_T9_mT8_P12ihipStream_tbDpT10_ENKUlT_T0_E_clISt17integral_constantIbLb1EES15_IbLb0EEEEDaS11_S12_EUlS11_E_NS1_11comp_targetILNS1_3genE3ELNS1_11target_archE908ELNS1_3gpuE7ELNS1_3repE0EEENS1_30default_config_static_selectorELNS0_4arch9wavefront6targetE1EEEvT1_
                                        ; -- End function
	.set _ZN7rocprim17ROCPRIM_400000_NS6detail17trampoline_kernelINS0_14default_configENS1_25partition_config_selectorILNS1_17partition_subalgoE5ElNS0_10empty_typeEbEEZZNS1_14partition_implILS5_5ELb0ES3_mN6hipcub16HIPCUB_304000_NS21CountingInputIteratorIllEEPS6_NSA_22TransformInputIteratorIb7NonZeroIdEPdlEENS0_5tupleIJPlS6_EEENSJ_IJSD_SD_EEES6_SK_JS6_EEE10hipError_tPvRmT3_T4_T5_T6_T7_T9_mT8_P12ihipStream_tbDpT10_ENKUlT_T0_E_clISt17integral_constantIbLb1EES15_IbLb0EEEEDaS11_S12_EUlS11_E_NS1_11comp_targetILNS1_3genE3ELNS1_11target_archE908ELNS1_3gpuE7ELNS1_3repE0EEENS1_30default_config_static_selectorELNS0_4arch9wavefront6targetE1EEEvT1_.num_vgpr, 0
	.set _ZN7rocprim17ROCPRIM_400000_NS6detail17trampoline_kernelINS0_14default_configENS1_25partition_config_selectorILNS1_17partition_subalgoE5ElNS0_10empty_typeEbEEZZNS1_14partition_implILS5_5ELb0ES3_mN6hipcub16HIPCUB_304000_NS21CountingInputIteratorIllEEPS6_NSA_22TransformInputIteratorIb7NonZeroIdEPdlEENS0_5tupleIJPlS6_EEENSJ_IJSD_SD_EEES6_SK_JS6_EEE10hipError_tPvRmT3_T4_T5_T6_T7_T9_mT8_P12ihipStream_tbDpT10_ENKUlT_T0_E_clISt17integral_constantIbLb1EES15_IbLb0EEEEDaS11_S12_EUlS11_E_NS1_11comp_targetILNS1_3genE3ELNS1_11target_archE908ELNS1_3gpuE7ELNS1_3repE0EEENS1_30default_config_static_selectorELNS0_4arch9wavefront6targetE1EEEvT1_.num_agpr, 0
	.set _ZN7rocprim17ROCPRIM_400000_NS6detail17trampoline_kernelINS0_14default_configENS1_25partition_config_selectorILNS1_17partition_subalgoE5ElNS0_10empty_typeEbEEZZNS1_14partition_implILS5_5ELb0ES3_mN6hipcub16HIPCUB_304000_NS21CountingInputIteratorIllEEPS6_NSA_22TransformInputIteratorIb7NonZeroIdEPdlEENS0_5tupleIJPlS6_EEENSJ_IJSD_SD_EEES6_SK_JS6_EEE10hipError_tPvRmT3_T4_T5_T6_T7_T9_mT8_P12ihipStream_tbDpT10_ENKUlT_T0_E_clISt17integral_constantIbLb1EES15_IbLb0EEEEDaS11_S12_EUlS11_E_NS1_11comp_targetILNS1_3genE3ELNS1_11target_archE908ELNS1_3gpuE7ELNS1_3repE0EEENS1_30default_config_static_selectorELNS0_4arch9wavefront6targetE1EEEvT1_.numbered_sgpr, 0
	.set _ZN7rocprim17ROCPRIM_400000_NS6detail17trampoline_kernelINS0_14default_configENS1_25partition_config_selectorILNS1_17partition_subalgoE5ElNS0_10empty_typeEbEEZZNS1_14partition_implILS5_5ELb0ES3_mN6hipcub16HIPCUB_304000_NS21CountingInputIteratorIllEEPS6_NSA_22TransformInputIteratorIb7NonZeroIdEPdlEENS0_5tupleIJPlS6_EEENSJ_IJSD_SD_EEES6_SK_JS6_EEE10hipError_tPvRmT3_T4_T5_T6_T7_T9_mT8_P12ihipStream_tbDpT10_ENKUlT_T0_E_clISt17integral_constantIbLb1EES15_IbLb0EEEEDaS11_S12_EUlS11_E_NS1_11comp_targetILNS1_3genE3ELNS1_11target_archE908ELNS1_3gpuE7ELNS1_3repE0EEENS1_30default_config_static_selectorELNS0_4arch9wavefront6targetE1EEEvT1_.num_named_barrier, 0
	.set _ZN7rocprim17ROCPRIM_400000_NS6detail17trampoline_kernelINS0_14default_configENS1_25partition_config_selectorILNS1_17partition_subalgoE5ElNS0_10empty_typeEbEEZZNS1_14partition_implILS5_5ELb0ES3_mN6hipcub16HIPCUB_304000_NS21CountingInputIteratorIllEEPS6_NSA_22TransformInputIteratorIb7NonZeroIdEPdlEENS0_5tupleIJPlS6_EEENSJ_IJSD_SD_EEES6_SK_JS6_EEE10hipError_tPvRmT3_T4_T5_T6_T7_T9_mT8_P12ihipStream_tbDpT10_ENKUlT_T0_E_clISt17integral_constantIbLb1EES15_IbLb0EEEEDaS11_S12_EUlS11_E_NS1_11comp_targetILNS1_3genE3ELNS1_11target_archE908ELNS1_3gpuE7ELNS1_3repE0EEENS1_30default_config_static_selectorELNS0_4arch9wavefront6targetE1EEEvT1_.private_seg_size, 0
	.set _ZN7rocprim17ROCPRIM_400000_NS6detail17trampoline_kernelINS0_14default_configENS1_25partition_config_selectorILNS1_17partition_subalgoE5ElNS0_10empty_typeEbEEZZNS1_14partition_implILS5_5ELb0ES3_mN6hipcub16HIPCUB_304000_NS21CountingInputIteratorIllEEPS6_NSA_22TransformInputIteratorIb7NonZeroIdEPdlEENS0_5tupleIJPlS6_EEENSJ_IJSD_SD_EEES6_SK_JS6_EEE10hipError_tPvRmT3_T4_T5_T6_T7_T9_mT8_P12ihipStream_tbDpT10_ENKUlT_T0_E_clISt17integral_constantIbLb1EES15_IbLb0EEEEDaS11_S12_EUlS11_E_NS1_11comp_targetILNS1_3genE3ELNS1_11target_archE908ELNS1_3gpuE7ELNS1_3repE0EEENS1_30default_config_static_selectorELNS0_4arch9wavefront6targetE1EEEvT1_.uses_vcc, 0
	.set _ZN7rocprim17ROCPRIM_400000_NS6detail17trampoline_kernelINS0_14default_configENS1_25partition_config_selectorILNS1_17partition_subalgoE5ElNS0_10empty_typeEbEEZZNS1_14partition_implILS5_5ELb0ES3_mN6hipcub16HIPCUB_304000_NS21CountingInputIteratorIllEEPS6_NSA_22TransformInputIteratorIb7NonZeroIdEPdlEENS0_5tupleIJPlS6_EEENSJ_IJSD_SD_EEES6_SK_JS6_EEE10hipError_tPvRmT3_T4_T5_T6_T7_T9_mT8_P12ihipStream_tbDpT10_ENKUlT_T0_E_clISt17integral_constantIbLb1EES15_IbLb0EEEEDaS11_S12_EUlS11_E_NS1_11comp_targetILNS1_3genE3ELNS1_11target_archE908ELNS1_3gpuE7ELNS1_3repE0EEENS1_30default_config_static_selectorELNS0_4arch9wavefront6targetE1EEEvT1_.uses_flat_scratch, 0
	.set _ZN7rocprim17ROCPRIM_400000_NS6detail17trampoline_kernelINS0_14default_configENS1_25partition_config_selectorILNS1_17partition_subalgoE5ElNS0_10empty_typeEbEEZZNS1_14partition_implILS5_5ELb0ES3_mN6hipcub16HIPCUB_304000_NS21CountingInputIteratorIllEEPS6_NSA_22TransformInputIteratorIb7NonZeroIdEPdlEENS0_5tupleIJPlS6_EEENSJ_IJSD_SD_EEES6_SK_JS6_EEE10hipError_tPvRmT3_T4_T5_T6_T7_T9_mT8_P12ihipStream_tbDpT10_ENKUlT_T0_E_clISt17integral_constantIbLb1EES15_IbLb0EEEEDaS11_S12_EUlS11_E_NS1_11comp_targetILNS1_3genE3ELNS1_11target_archE908ELNS1_3gpuE7ELNS1_3repE0EEENS1_30default_config_static_selectorELNS0_4arch9wavefront6targetE1EEEvT1_.has_dyn_sized_stack, 0
	.set _ZN7rocprim17ROCPRIM_400000_NS6detail17trampoline_kernelINS0_14default_configENS1_25partition_config_selectorILNS1_17partition_subalgoE5ElNS0_10empty_typeEbEEZZNS1_14partition_implILS5_5ELb0ES3_mN6hipcub16HIPCUB_304000_NS21CountingInputIteratorIllEEPS6_NSA_22TransformInputIteratorIb7NonZeroIdEPdlEENS0_5tupleIJPlS6_EEENSJ_IJSD_SD_EEES6_SK_JS6_EEE10hipError_tPvRmT3_T4_T5_T6_T7_T9_mT8_P12ihipStream_tbDpT10_ENKUlT_T0_E_clISt17integral_constantIbLb1EES15_IbLb0EEEEDaS11_S12_EUlS11_E_NS1_11comp_targetILNS1_3genE3ELNS1_11target_archE908ELNS1_3gpuE7ELNS1_3repE0EEENS1_30default_config_static_selectorELNS0_4arch9wavefront6targetE1EEEvT1_.has_recursion, 0
	.set _ZN7rocprim17ROCPRIM_400000_NS6detail17trampoline_kernelINS0_14default_configENS1_25partition_config_selectorILNS1_17partition_subalgoE5ElNS0_10empty_typeEbEEZZNS1_14partition_implILS5_5ELb0ES3_mN6hipcub16HIPCUB_304000_NS21CountingInputIteratorIllEEPS6_NSA_22TransformInputIteratorIb7NonZeroIdEPdlEENS0_5tupleIJPlS6_EEENSJ_IJSD_SD_EEES6_SK_JS6_EEE10hipError_tPvRmT3_T4_T5_T6_T7_T9_mT8_P12ihipStream_tbDpT10_ENKUlT_T0_E_clISt17integral_constantIbLb1EES15_IbLb0EEEEDaS11_S12_EUlS11_E_NS1_11comp_targetILNS1_3genE3ELNS1_11target_archE908ELNS1_3gpuE7ELNS1_3repE0EEENS1_30default_config_static_selectorELNS0_4arch9wavefront6targetE1EEEvT1_.has_indirect_call, 0
	.section	.AMDGPU.csdata,"",@progbits
; Kernel info:
; codeLenInByte = 0
; TotalNumSgprs: 6
; NumVgprs: 0
; NumAgprs: 0
; TotalNumVgprs: 0
; ScratchSize: 0
; MemoryBound: 0
; FloatMode: 240
; IeeeMode: 1
; LDSByteSize: 0 bytes/workgroup (compile time only)
; SGPRBlocks: 0
; VGPRBlocks: 0
; NumSGPRsForWavesPerEU: 6
; NumVGPRsForWavesPerEU: 1
; AccumOffset: 4
; Occupancy: 8
; WaveLimiterHint : 0
; COMPUTE_PGM_RSRC2:SCRATCH_EN: 0
; COMPUTE_PGM_RSRC2:USER_SGPR: 2
; COMPUTE_PGM_RSRC2:TRAP_HANDLER: 0
; COMPUTE_PGM_RSRC2:TGID_X_EN: 1
; COMPUTE_PGM_RSRC2:TGID_Y_EN: 0
; COMPUTE_PGM_RSRC2:TGID_Z_EN: 0
; COMPUTE_PGM_RSRC2:TIDIG_COMP_CNT: 0
; COMPUTE_PGM_RSRC3_GFX90A:ACCUM_OFFSET: 0
; COMPUTE_PGM_RSRC3_GFX90A:TG_SPLIT: 0
	.section	.text._ZN7rocprim17ROCPRIM_400000_NS6detail17trampoline_kernelINS0_14default_configENS1_25partition_config_selectorILNS1_17partition_subalgoE5ElNS0_10empty_typeEbEEZZNS1_14partition_implILS5_5ELb0ES3_mN6hipcub16HIPCUB_304000_NS21CountingInputIteratorIllEEPS6_NSA_22TransformInputIteratorIb7NonZeroIdEPdlEENS0_5tupleIJPlS6_EEENSJ_IJSD_SD_EEES6_SK_JS6_EEE10hipError_tPvRmT3_T4_T5_T6_T7_T9_mT8_P12ihipStream_tbDpT10_ENKUlT_T0_E_clISt17integral_constantIbLb1EES15_IbLb0EEEEDaS11_S12_EUlS11_E_NS1_11comp_targetILNS1_3genE2ELNS1_11target_archE906ELNS1_3gpuE6ELNS1_3repE0EEENS1_30default_config_static_selectorELNS0_4arch9wavefront6targetE1EEEvT1_,"axG",@progbits,_ZN7rocprim17ROCPRIM_400000_NS6detail17trampoline_kernelINS0_14default_configENS1_25partition_config_selectorILNS1_17partition_subalgoE5ElNS0_10empty_typeEbEEZZNS1_14partition_implILS5_5ELb0ES3_mN6hipcub16HIPCUB_304000_NS21CountingInputIteratorIllEEPS6_NSA_22TransformInputIteratorIb7NonZeroIdEPdlEENS0_5tupleIJPlS6_EEENSJ_IJSD_SD_EEES6_SK_JS6_EEE10hipError_tPvRmT3_T4_T5_T6_T7_T9_mT8_P12ihipStream_tbDpT10_ENKUlT_T0_E_clISt17integral_constantIbLb1EES15_IbLb0EEEEDaS11_S12_EUlS11_E_NS1_11comp_targetILNS1_3genE2ELNS1_11target_archE906ELNS1_3gpuE6ELNS1_3repE0EEENS1_30default_config_static_selectorELNS0_4arch9wavefront6targetE1EEEvT1_,comdat
	.protected	_ZN7rocprim17ROCPRIM_400000_NS6detail17trampoline_kernelINS0_14default_configENS1_25partition_config_selectorILNS1_17partition_subalgoE5ElNS0_10empty_typeEbEEZZNS1_14partition_implILS5_5ELb0ES3_mN6hipcub16HIPCUB_304000_NS21CountingInputIteratorIllEEPS6_NSA_22TransformInputIteratorIb7NonZeroIdEPdlEENS0_5tupleIJPlS6_EEENSJ_IJSD_SD_EEES6_SK_JS6_EEE10hipError_tPvRmT3_T4_T5_T6_T7_T9_mT8_P12ihipStream_tbDpT10_ENKUlT_T0_E_clISt17integral_constantIbLb1EES15_IbLb0EEEEDaS11_S12_EUlS11_E_NS1_11comp_targetILNS1_3genE2ELNS1_11target_archE906ELNS1_3gpuE6ELNS1_3repE0EEENS1_30default_config_static_selectorELNS0_4arch9wavefront6targetE1EEEvT1_ ; -- Begin function _ZN7rocprim17ROCPRIM_400000_NS6detail17trampoline_kernelINS0_14default_configENS1_25partition_config_selectorILNS1_17partition_subalgoE5ElNS0_10empty_typeEbEEZZNS1_14partition_implILS5_5ELb0ES3_mN6hipcub16HIPCUB_304000_NS21CountingInputIteratorIllEEPS6_NSA_22TransformInputIteratorIb7NonZeroIdEPdlEENS0_5tupleIJPlS6_EEENSJ_IJSD_SD_EEES6_SK_JS6_EEE10hipError_tPvRmT3_T4_T5_T6_T7_T9_mT8_P12ihipStream_tbDpT10_ENKUlT_T0_E_clISt17integral_constantIbLb1EES15_IbLb0EEEEDaS11_S12_EUlS11_E_NS1_11comp_targetILNS1_3genE2ELNS1_11target_archE906ELNS1_3gpuE6ELNS1_3repE0EEENS1_30default_config_static_selectorELNS0_4arch9wavefront6targetE1EEEvT1_
	.globl	_ZN7rocprim17ROCPRIM_400000_NS6detail17trampoline_kernelINS0_14default_configENS1_25partition_config_selectorILNS1_17partition_subalgoE5ElNS0_10empty_typeEbEEZZNS1_14partition_implILS5_5ELb0ES3_mN6hipcub16HIPCUB_304000_NS21CountingInputIteratorIllEEPS6_NSA_22TransformInputIteratorIb7NonZeroIdEPdlEENS0_5tupleIJPlS6_EEENSJ_IJSD_SD_EEES6_SK_JS6_EEE10hipError_tPvRmT3_T4_T5_T6_T7_T9_mT8_P12ihipStream_tbDpT10_ENKUlT_T0_E_clISt17integral_constantIbLb1EES15_IbLb0EEEEDaS11_S12_EUlS11_E_NS1_11comp_targetILNS1_3genE2ELNS1_11target_archE906ELNS1_3gpuE6ELNS1_3repE0EEENS1_30default_config_static_selectorELNS0_4arch9wavefront6targetE1EEEvT1_
	.p2align	8
	.type	_ZN7rocprim17ROCPRIM_400000_NS6detail17trampoline_kernelINS0_14default_configENS1_25partition_config_selectorILNS1_17partition_subalgoE5ElNS0_10empty_typeEbEEZZNS1_14partition_implILS5_5ELb0ES3_mN6hipcub16HIPCUB_304000_NS21CountingInputIteratorIllEEPS6_NSA_22TransformInputIteratorIb7NonZeroIdEPdlEENS0_5tupleIJPlS6_EEENSJ_IJSD_SD_EEES6_SK_JS6_EEE10hipError_tPvRmT3_T4_T5_T6_T7_T9_mT8_P12ihipStream_tbDpT10_ENKUlT_T0_E_clISt17integral_constantIbLb1EES15_IbLb0EEEEDaS11_S12_EUlS11_E_NS1_11comp_targetILNS1_3genE2ELNS1_11target_archE906ELNS1_3gpuE6ELNS1_3repE0EEENS1_30default_config_static_selectorELNS0_4arch9wavefront6targetE1EEEvT1_,@function
_ZN7rocprim17ROCPRIM_400000_NS6detail17trampoline_kernelINS0_14default_configENS1_25partition_config_selectorILNS1_17partition_subalgoE5ElNS0_10empty_typeEbEEZZNS1_14partition_implILS5_5ELb0ES3_mN6hipcub16HIPCUB_304000_NS21CountingInputIteratorIllEEPS6_NSA_22TransformInputIteratorIb7NonZeroIdEPdlEENS0_5tupleIJPlS6_EEENSJ_IJSD_SD_EEES6_SK_JS6_EEE10hipError_tPvRmT3_T4_T5_T6_T7_T9_mT8_P12ihipStream_tbDpT10_ENKUlT_T0_E_clISt17integral_constantIbLb1EES15_IbLb0EEEEDaS11_S12_EUlS11_E_NS1_11comp_targetILNS1_3genE2ELNS1_11target_archE906ELNS1_3gpuE6ELNS1_3repE0EEENS1_30default_config_static_selectorELNS0_4arch9wavefront6targetE1EEEvT1_: ; @_ZN7rocprim17ROCPRIM_400000_NS6detail17trampoline_kernelINS0_14default_configENS1_25partition_config_selectorILNS1_17partition_subalgoE5ElNS0_10empty_typeEbEEZZNS1_14partition_implILS5_5ELb0ES3_mN6hipcub16HIPCUB_304000_NS21CountingInputIteratorIllEEPS6_NSA_22TransformInputIteratorIb7NonZeroIdEPdlEENS0_5tupleIJPlS6_EEENSJ_IJSD_SD_EEES6_SK_JS6_EEE10hipError_tPvRmT3_T4_T5_T6_T7_T9_mT8_P12ihipStream_tbDpT10_ENKUlT_T0_E_clISt17integral_constantIbLb1EES15_IbLb0EEEEDaS11_S12_EUlS11_E_NS1_11comp_targetILNS1_3genE2ELNS1_11target_archE906ELNS1_3gpuE6ELNS1_3repE0EEENS1_30default_config_static_selectorELNS0_4arch9wavefront6targetE1EEEvT1_
; %bb.0:
	.section	.rodata,"a",@progbits
	.p2align	6, 0x0
	.amdhsa_kernel _ZN7rocprim17ROCPRIM_400000_NS6detail17trampoline_kernelINS0_14default_configENS1_25partition_config_selectorILNS1_17partition_subalgoE5ElNS0_10empty_typeEbEEZZNS1_14partition_implILS5_5ELb0ES3_mN6hipcub16HIPCUB_304000_NS21CountingInputIteratorIllEEPS6_NSA_22TransformInputIteratorIb7NonZeroIdEPdlEENS0_5tupleIJPlS6_EEENSJ_IJSD_SD_EEES6_SK_JS6_EEE10hipError_tPvRmT3_T4_T5_T6_T7_T9_mT8_P12ihipStream_tbDpT10_ENKUlT_T0_E_clISt17integral_constantIbLb1EES15_IbLb0EEEEDaS11_S12_EUlS11_E_NS1_11comp_targetILNS1_3genE2ELNS1_11target_archE906ELNS1_3gpuE6ELNS1_3repE0EEENS1_30default_config_static_selectorELNS0_4arch9wavefront6targetE1EEEvT1_
		.amdhsa_group_segment_fixed_size 0
		.amdhsa_private_segment_fixed_size 0
		.amdhsa_kernarg_size 120
		.amdhsa_user_sgpr_count 2
		.amdhsa_user_sgpr_dispatch_ptr 0
		.amdhsa_user_sgpr_queue_ptr 0
		.amdhsa_user_sgpr_kernarg_segment_ptr 1
		.amdhsa_user_sgpr_dispatch_id 0
		.amdhsa_user_sgpr_kernarg_preload_length 0
		.amdhsa_user_sgpr_kernarg_preload_offset 0
		.amdhsa_user_sgpr_private_segment_size 0
		.amdhsa_uses_dynamic_stack 0
		.amdhsa_enable_private_segment 0
		.amdhsa_system_sgpr_workgroup_id_x 1
		.amdhsa_system_sgpr_workgroup_id_y 0
		.amdhsa_system_sgpr_workgroup_id_z 0
		.amdhsa_system_sgpr_workgroup_info 0
		.amdhsa_system_vgpr_workitem_id 0
		.amdhsa_next_free_vgpr 1
		.amdhsa_next_free_sgpr 0
		.amdhsa_accum_offset 4
		.amdhsa_reserve_vcc 0
		.amdhsa_float_round_mode_32 0
		.amdhsa_float_round_mode_16_64 0
		.amdhsa_float_denorm_mode_32 3
		.amdhsa_float_denorm_mode_16_64 3
		.amdhsa_dx10_clamp 1
		.amdhsa_ieee_mode 1
		.amdhsa_fp16_overflow 0
		.amdhsa_tg_split 0
		.amdhsa_exception_fp_ieee_invalid_op 0
		.amdhsa_exception_fp_denorm_src 0
		.amdhsa_exception_fp_ieee_div_zero 0
		.amdhsa_exception_fp_ieee_overflow 0
		.amdhsa_exception_fp_ieee_underflow 0
		.amdhsa_exception_fp_ieee_inexact 0
		.amdhsa_exception_int_div_zero 0
	.end_amdhsa_kernel
	.section	.text._ZN7rocprim17ROCPRIM_400000_NS6detail17trampoline_kernelINS0_14default_configENS1_25partition_config_selectorILNS1_17partition_subalgoE5ElNS0_10empty_typeEbEEZZNS1_14partition_implILS5_5ELb0ES3_mN6hipcub16HIPCUB_304000_NS21CountingInputIteratorIllEEPS6_NSA_22TransformInputIteratorIb7NonZeroIdEPdlEENS0_5tupleIJPlS6_EEENSJ_IJSD_SD_EEES6_SK_JS6_EEE10hipError_tPvRmT3_T4_T5_T6_T7_T9_mT8_P12ihipStream_tbDpT10_ENKUlT_T0_E_clISt17integral_constantIbLb1EES15_IbLb0EEEEDaS11_S12_EUlS11_E_NS1_11comp_targetILNS1_3genE2ELNS1_11target_archE906ELNS1_3gpuE6ELNS1_3repE0EEENS1_30default_config_static_selectorELNS0_4arch9wavefront6targetE1EEEvT1_,"axG",@progbits,_ZN7rocprim17ROCPRIM_400000_NS6detail17trampoline_kernelINS0_14default_configENS1_25partition_config_selectorILNS1_17partition_subalgoE5ElNS0_10empty_typeEbEEZZNS1_14partition_implILS5_5ELb0ES3_mN6hipcub16HIPCUB_304000_NS21CountingInputIteratorIllEEPS6_NSA_22TransformInputIteratorIb7NonZeroIdEPdlEENS0_5tupleIJPlS6_EEENSJ_IJSD_SD_EEES6_SK_JS6_EEE10hipError_tPvRmT3_T4_T5_T6_T7_T9_mT8_P12ihipStream_tbDpT10_ENKUlT_T0_E_clISt17integral_constantIbLb1EES15_IbLb0EEEEDaS11_S12_EUlS11_E_NS1_11comp_targetILNS1_3genE2ELNS1_11target_archE906ELNS1_3gpuE6ELNS1_3repE0EEENS1_30default_config_static_selectorELNS0_4arch9wavefront6targetE1EEEvT1_,comdat
.Lfunc_end341:
	.size	_ZN7rocprim17ROCPRIM_400000_NS6detail17trampoline_kernelINS0_14default_configENS1_25partition_config_selectorILNS1_17partition_subalgoE5ElNS0_10empty_typeEbEEZZNS1_14partition_implILS5_5ELb0ES3_mN6hipcub16HIPCUB_304000_NS21CountingInputIteratorIllEEPS6_NSA_22TransformInputIteratorIb7NonZeroIdEPdlEENS0_5tupleIJPlS6_EEENSJ_IJSD_SD_EEES6_SK_JS6_EEE10hipError_tPvRmT3_T4_T5_T6_T7_T9_mT8_P12ihipStream_tbDpT10_ENKUlT_T0_E_clISt17integral_constantIbLb1EES15_IbLb0EEEEDaS11_S12_EUlS11_E_NS1_11comp_targetILNS1_3genE2ELNS1_11target_archE906ELNS1_3gpuE6ELNS1_3repE0EEENS1_30default_config_static_selectorELNS0_4arch9wavefront6targetE1EEEvT1_, .Lfunc_end341-_ZN7rocprim17ROCPRIM_400000_NS6detail17trampoline_kernelINS0_14default_configENS1_25partition_config_selectorILNS1_17partition_subalgoE5ElNS0_10empty_typeEbEEZZNS1_14partition_implILS5_5ELb0ES3_mN6hipcub16HIPCUB_304000_NS21CountingInputIteratorIllEEPS6_NSA_22TransformInputIteratorIb7NonZeroIdEPdlEENS0_5tupleIJPlS6_EEENSJ_IJSD_SD_EEES6_SK_JS6_EEE10hipError_tPvRmT3_T4_T5_T6_T7_T9_mT8_P12ihipStream_tbDpT10_ENKUlT_T0_E_clISt17integral_constantIbLb1EES15_IbLb0EEEEDaS11_S12_EUlS11_E_NS1_11comp_targetILNS1_3genE2ELNS1_11target_archE906ELNS1_3gpuE6ELNS1_3repE0EEENS1_30default_config_static_selectorELNS0_4arch9wavefront6targetE1EEEvT1_
                                        ; -- End function
	.set _ZN7rocprim17ROCPRIM_400000_NS6detail17trampoline_kernelINS0_14default_configENS1_25partition_config_selectorILNS1_17partition_subalgoE5ElNS0_10empty_typeEbEEZZNS1_14partition_implILS5_5ELb0ES3_mN6hipcub16HIPCUB_304000_NS21CountingInputIteratorIllEEPS6_NSA_22TransformInputIteratorIb7NonZeroIdEPdlEENS0_5tupleIJPlS6_EEENSJ_IJSD_SD_EEES6_SK_JS6_EEE10hipError_tPvRmT3_T4_T5_T6_T7_T9_mT8_P12ihipStream_tbDpT10_ENKUlT_T0_E_clISt17integral_constantIbLb1EES15_IbLb0EEEEDaS11_S12_EUlS11_E_NS1_11comp_targetILNS1_3genE2ELNS1_11target_archE906ELNS1_3gpuE6ELNS1_3repE0EEENS1_30default_config_static_selectorELNS0_4arch9wavefront6targetE1EEEvT1_.num_vgpr, 0
	.set _ZN7rocprim17ROCPRIM_400000_NS6detail17trampoline_kernelINS0_14default_configENS1_25partition_config_selectorILNS1_17partition_subalgoE5ElNS0_10empty_typeEbEEZZNS1_14partition_implILS5_5ELb0ES3_mN6hipcub16HIPCUB_304000_NS21CountingInputIteratorIllEEPS6_NSA_22TransformInputIteratorIb7NonZeroIdEPdlEENS0_5tupleIJPlS6_EEENSJ_IJSD_SD_EEES6_SK_JS6_EEE10hipError_tPvRmT3_T4_T5_T6_T7_T9_mT8_P12ihipStream_tbDpT10_ENKUlT_T0_E_clISt17integral_constantIbLb1EES15_IbLb0EEEEDaS11_S12_EUlS11_E_NS1_11comp_targetILNS1_3genE2ELNS1_11target_archE906ELNS1_3gpuE6ELNS1_3repE0EEENS1_30default_config_static_selectorELNS0_4arch9wavefront6targetE1EEEvT1_.num_agpr, 0
	.set _ZN7rocprim17ROCPRIM_400000_NS6detail17trampoline_kernelINS0_14default_configENS1_25partition_config_selectorILNS1_17partition_subalgoE5ElNS0_10empty_typeEbEEZZNS1_14partition_implILS5_5ELb0ES3_mN6hipcub16HIPCUB_304000_NS21CountingInputIteratorIllEEPS6_NSA_22TransformInputIteratorIb7NonZeroIdEPdlEENS0_5tupleIJPlS6_EEENSJ_IJSD_SD_EEES6_SK_JS6_EEE10hipError_tPvRmT3_T4_T5_T6_T7_T9_mT8_P12ihipStream_tbDpT10_ENKUlT_T0_E_clISt17integral_constantIbLb1EES15_IbLb0EEEEDaS11_S12_EUlS11_E_NS1_11comp_targetILNS1_3genE2ELNS1_11target_archE906ELNS1_3gpuE6ELNS1_3repE0EEENS1_30default_config_static_selectorELNS0_4arch9wavefront6targetE1EEEvT1_.numbered_sgpr, 0
	.set _ZN7rocprim17ROCPRIM_400000_NS6detail17trampoline_kernelINS0_14default_configENS1_25partition_config_selectorILNS1_17partition_subalgoE5ElNS0_10empty_typeEbEEZZNS1_14partition_implILS5_5ELb0ES3_mN6hipcub16HIPCUB_304000_NS21CountingInputIteratorIllEEPS6_NSA_22TransformInputIteratorIb7NonZeroIdEPdlEENS0_5tupleIJPlS6_EEENSJ_IJSD_SD_EEES6_SK_JS6_EEE10hipError_tPvRmT3_T4_T5_T6_T7_T9_mT8_P12ihipStream_tbDpT10_ENKUlT_T0_E_clISt17integral_constantIbLb1EES15_IbLb0EEEEDaS11_S12_EUlS11_E_NS1_11comp_targetILNS1_3genE2ELNS1_11target_archE906ELNS1_3gpuE6ELNS1_3repE0EEENS1_30default_config_static_selectorELNS0_4arch9wavefront6targetE1EEEvT1_.num_named_barrier, 0
	.set _ZN7rocprim17ROCPRIM_400000_NS6detail17trampoline_kernelINS0_14default_configENS1_25partition_config_selectorILNS1_17partition_subalgoE5ElNS0_10empty_typeEbEEZZNS1_14partition_implILS5_5ELb0ES3_mN6hipcub16HIPCUB_304000_NS21CountingInputIteratorIllEEPS6_NSA_22TransformInputIteratorIb7NonZeroIdEPdlEENS0_5tupleIJPlS6_EEENSJ_IJSD_SD_EEES6_SK_JS6_EEE10hipError_tPvRmT3_T4_T5_T6_T7_T9_mT8_P12ihipStream_tbDpT10_ENKUlT_T0_E_clISt17integral_constantIbLb1EES15_IbLb0EEEEDaS11_S12_EUlS11_E_NS1_11comp_targetILNS1_3genE2ELNS1_11target_archE906ELNS1_3gpuE6ELNS1_3repE0EEENS1_30default_config_static_selectorELNS0_4arch9wavefront6targetE1EEEvT1_.private_seg_size, 0
	.set _ZN7rocprim17ROCPRIM_400000_NS6detail17trampoline_kernelINS0_14default_configENS1_25partition_config_selectorILNS1_17partition_subalgoE5ElNS0_10empty_typeEbEEZZNS1_14partition_implILS5_5ELb0ES3_mN6hipcub16HIPCUB_304000_NS21CountingInputIteratorIllEEPS6_NSA_22TransformInputIteratorIb7NonZeroIdEPdlEENS0_5tupleIJPlS6_EEENSJ_IJSD_SD_EEES6_SK_JS6_EEE10hipError_tPvRmT3_T4_T5_T6_T7_T9_mT8_P12ihipStream_tbDpT10_ENKUlT_T0_E_clISt17integral_constantIbLb1EES15_IbLb0EEEEDaS11_S12_EUlS11_E_NS1_11comp_targetILNS1_3genE2ELNS1_11target_archE906ELNS1_3gpuE6ELNS1_3repE0EEENS1_30default_config_static_selectorELNS0_4arch9wavefront6targetE1EEEvT1_.uses_vcc, 0
	.set _ZN7rocprim17ROCPRIM_400000_NS6detail17trampoline_kernelINS0_14default_configENS1_25partition_config_selectorILNS1_17partition_subalgoE5ElNS0_10empty_typeEbEEZZNS1_14partition_implILS5_5ELb0ES3_mN6hipcub16HIPCUB_304000_NS21CountingInputIteratorIllEEPS6_NSA_22TransformInputIteratorIb7NonZeroIdEPdlEENS0_5tupleIJPlS6_EEENSJ_IJSD_SD_EEES6_SK_JS6_EEE10hipError_tPvRmT3_T4_T5_T6_T7_T9_mT8_P12ihipStream_tbDpT10_ENKUlT_T0_E_clISt17integral_constantIbLb1EES15_IbLb0EEEEDaS11_S12_EUlS11_E_NS1_11comp_targetILNS1_3genE2ELNS1_11target_archE906ELNS1_3gpuE6ELNS1_3repE0EEENS1_30default_config_static_selectorELNS0_4arch9wavefront6targetE1EEEvT1_.uses_flat_scratch, 0
	.set _ZN7rocprim17ROCPRIM_400000_NS6detail17trampoline_kernelINS0_14default_configENS1_25partition_config_selectorILNS1_17partition_subalgoE5ElNS0_10empty_typeEbEEZZNS1_14partition_implILS5_5ELb0ES3_mN6hipcub16HIPCUB_304000_NS21CountingInputIteratorIllEEPS6_NSA_22TransformInputIteratorIb7NonZeroIdEPdlEENS0_5tupleIJPlS6_EEENSJ_IJSD_SD_EEES6_SK_JS6_EEE10hipError_tPvRmT3_T4_T5_T6_T7_T9_mT8_P12ihipStream_tbDpT10_ENKUlT_T0_E_clISt17integral_constantIbLb1EES15_IbLb0EEEEDaS11_S12_EUlS11_E_NS1_11comp_targetILNS1_3genE2ELNS1_11target_archE906ELNS1_3gpuE6ELNS1_3repE0EEENS1_30default_config_static_selectorELNS0_4arch9wavefront6targetE1EEEvT1_.has_dyn_sized_stack, 0
	.set _ZN7rocprim17ROCPRIM_400000_NS6detail17trampoline_kernelINS0_14default_configENS1_25partition_config_selectorILNS1_17partition_subalgoE5ElNS0_10empty_typeEbEEZZNS1_14partition_implILS5_5ELb0ES3_mN6hipcub16HIPCUB_304000_NS21CountingInputIteratorIllEEPS6_NSA_22TransformInputIteratorIb7NonZeroIdEPdlEENS0_5tupleIJPlS6_EEENSJ_IJSD_SD_EEES6_SK_JS6_EEE10hipError_tPvRmT3_T4_T5_T6_T7_T9_mT8_P12ihipStream_tbDpT10_ENKUlT_T0_E_clISt17integral_constantIbLb1EES15_IbLb0EEEEDaS11_S12_EUlS11_E_NS1_11comp_targetILNS1_3genE2ELNS1_11target_archE906ELNS1_3gpuE6ELNS1_3repE0EEENS1_30default_config_static_selectorELNS0_4arch9wavefront6targetE1EEEvT1_.has_recursion, 0
	.set _ZN7rocprim17ROCPRIM_400000_NS6detail17trampoline_kernelINS0_14default_configENS1_25partition_config_selectorILNS1_17partition_subalgoE5ElNS0_10empty_typeEbEEZZNS1_14partition_implILS5_5ELb0ES3_mN6hipcub16HIPCUB_304000_NS21CountingInputIteratorIllEEPS6_NSA_22TransformInputIteratorIb7NonZeroIdEPdlEENS0_5tupleIJPlS6_EEENSJ_IJSD_SD_EEES6_SK_JS6_EEE10hipError_tPvRmT3_T4_T5_T6_T7_T9_mT8_P12ihipStream_tbDpT10_ENKUlT_T0_E_clISt17integral_constantIbLb1EES15_IbLb0EEEEDaS11_S12_EUlS11_E_NS1_11comp_targetILNS1_3genE2ELNS1_11target_archE906ELNS1_3gpuE6ELNS1_3repE0EEENS1_30default_config_static_selectorELNS0_4arch9wavefront6targetE1EEEvT1_.has_indirect_call, 0
	.section	.AMDGPU.csdata,"",@progbits
; Kernel info:
; codeLenInByte = 0
; TotalNumSgprs: 6
; NumVgprs: 0
; NumAgprs: 0
; TotalNumVgprs: 0
; ScratchSize: 0
; MemoryBound: 0
; FloatMode: 240
; IeeeMode: 1
; LDSByteSize: 0 bytes/workgroup (compile time only)
; SGPRBlocks: 0
; VGPRBlocks: 0
; NumSGPRsForWavesPerEU: 6
; NumVGPRsForWavesPerEU: 1
; AccumOffset: 4
; Occupancy: 8
; WaveLimiterHint : 0
; COMPUTE_PGM_RSRC2:SCRATCH_EN: 0
; COMPUTE_PGM_RSRC2:USER_SGPR: 2
; COMPUTE_PGM_RSRC2:TRAP_HANDLER: 0
; COMPUTE_PGM_RSRC2:TGID_X_EN: 1
; COMPUTE_PGM_RSRC2:TGID_Y_EN: 0
; COMPUTE_PGM_RSRC2:TGID_Z_EN: 0
; COMPUTE_PGM_RSRC2:TIDIG_COMP_CNT: 0
; COMPUTE_PGM_RSRC3_GFX90A:ACCUM_OFFSET: 0
; COMPUTE_PGM_RSRC3_GFX90A:TG_SPLIT: 0
	.section	.text._ZN7rocprim17ROCPRIM_400000_NS6detail17trampoline_kernelINS0_14default_configENS1_25partition_config_selectorILNS1_17partition_subalgoE5ElNS0_10empty_typeEbEEZZNS1_14partition_implILS5_5ELb0ES3_mN6hipcub16HIPCUB_304000_NS21CountingInputIteratorIllEEPS6_NSA_22TransformInputIteratorIb7NonZeroIdEPdlEENS0_5tupleIJPlS6_EEENSJ_IJSD_SD_EEES6_SK_JS6_EEE10hipError_tPvRmT3_T4_T5_T6_T7_T9_mT8_P12ihipStream_tbDpT10_ENKUlT_T0_E_clISt17integral_constantIbLb1EES15_IbLb0EEEEDaS11_S12_EUlS11_E_NS1_11comp_targetILNS1_3genE10ELNS1_11target_archE1200ELNS1_3gpuE4ELNS1_3repE0EEENS1_30default_config_static_selectorELNS0_4arch9wavefront6targetE1EEEvT1_,"axG",@progbits,_ZN7rocprim17ROCPRIM_400000_NS6detail17trampoline_kernelINS0_14default_configENS1_25partition_config_selectorILNS1_17partition_subalgoE5ElNS0_10empty_typeEbEEZZNS1_14partition_implILS5_5ELb0ES3_mN6hipcub16HIPCUB_304000_NS21CountingInputIteratorIllEEPS6_NSA_22TransformInputIteratorIb7NonZeroIdEPdlEENS0_5tupleIJPlS6_EEENSJ_IJSD_SD_EEES6_SK_JS6_EEE10hipError_tPvRmT3_T4_T5_T6_T7_T9_mT8_P12ihipStream_tbDpT10_ENKUlT_T0_E_clISt17integral_constantIbLb1EES15_IbLb0EEEEDaS11_S12_EUlS11_E_NS1_11comp_targetILNS1_3genE10ELNS1_11target_archE1200ELNS1_3gpuE4ELNS1_3repE0EEENS1_30default_config_static_selectorELNS0_4arch9wavefront6targetE1EEEvT1_,comdat
	.protected	_ZN7rocprim17ROCPRIM_400000_NS6detail17trampoline_kernelINS0_14default_configENS1_25partition_config_selectorILNS1_17partition_subalgoE5ElNS0_10empty_typeEbEEZZNS1_14partition_implILS5_5ELb0ES3_mN6hipcub16HIPCUB_304000_NS21CountingInputIteratorIllEEPS6_NSA_22TransformInputIteratorIb7NonZeroIdEPdlEENS0_5tupleIJPlS6_EEENSJ_IJSD_SD_EEES6_SK_JS6_EEE10hipError_tPvRmT3_T4_T5_T6_T7_T9_mT8_P12ihipStream_tbDpT10_ENKUlT_T0_E_clISt17integral_constantIbLb1EES15_IbLb0EEEEDaS11_S12_EUlS11_E_NS1_11comp_targetILNS1_3genE10ELNS1_11target_archE1200ELNS1_3gpuE4ELNS1_3repE0EEENS1_30default_config_static_selectorELNS0_4arch9wavefront6targetE1EEEvT1_ ; -- Begin function _ZN7rocprim17ROCPRIM_400000_NS6detail17trampoline_kernelINS0_14default_configENS1_25partition_config_selectorILNS1_17partition_subalgoE5ElNS0_10empty_typeEbEEZZNS1_14partition_implILS5_5ELb0ES3_mN6hipcub16HIPCUB_304000_NS21CountingInputIteratorIllEEPS6_NSA_22TransformInputIteratorIb7NonZeroIdEPdlEENS0_5tupleIJPlS6_EEENSJ_IJSD_SD_EEES6_SK_JS6_EEE10hipError_tPvRmT3_T4_T5_T6_T7_T9_mT8_P12ihipStream_tbDpT10_ENKUlT_T0_E_clISt17integral_constantIbLb1EES15_IbLb0EEEEDaS11_S12_EUlS11_E_NS1_11comp_targetILNS1_3genE10ELNS1_11target_archE1200ELNS1_3gpuE4ELNS1_3repE0EEENS1_30default_config_static_selectorELNS0_4arch9wavefront6targetE1EEEvT1_
	.globl	_ZN7rocprim17ROCPRIM_400000_NS6detail17trampoline_kernelINS0_14default_configENS1_25partition_config_selectorILNS1_17partition_subalgoE5ElNS0_10empty_typeEbEEZZNS1_14partition_implILS5_5ELb0ES3_mN6hipcub16HIPCUB_304000_NS21CountingInputIteratorIllEEPS6_NSA_22TransformInputIteratorIb7NonZeroIdEPdlEENS0_5tupleIJPlS6_EEENSJ_IJSD_SD_EEES6_SK_JS6_EEE10hipError_tPvRmT3_T4_T5_T6_T7_T9_mT8_P12ihipStream_tbDpT10_ENKUlT_T0_E_clISt17integral_constantIbLb1EES15_IbLb0EEEEDaS11_S12_EUlS11_E_NS1_11comp_targetILNS1_3genE10ELNS1_11target_archE1200ELNS1_3gpuE4ELNS1_3repE0EEENS1_30default_config_static_selectorELNS0_4arch9wavefront6targetE1EEEvT1_
	.p2align	8
	.type	_ZN7rocprim17ROCPRIM_400000_NS6detail17trampoline_kernelINS0_14default_configENS1_25partition_config_selectorILNS1_17partition_subalgoE5ElNS0_10empty_typeEbEEZZNS1_14partition_implILS5_5ELb0ES3_mN6hipcub16HIPCUB_304000_NS21CountingInputIteratorIllEEPS6_NSA_22TransformInputIteratorIb7NonZeroIdEPdlEENS0_5tupleIJPlS6_EEENSJ_IJSD_SD_EEES6_SK_JS6_EEE10hipError_tPvRmT3_T4_T5_T6_T7_T9_mT8_P12ihipStream_tbDpT10_ENKUlT_T0_E_clISt17integral_constantIbLb1EES15_IbLb0EEEEDaS11_S12_EUlS11_E_NS1_11comp_targetILNS1_3genE10ELNS1_11target_archE1200ELNS1_3gpuE4ELNS1_3repE0EEENS1_30default_config_static_selectorELNS0_4arch9wavefront6targetE1EEEvT1_,@function
_ZN7rocprim17ROCPRIM_400000_NS6detail17trampoline_kernelINS0_14default_configENS1_25partition_config_selectorILNS1_17partition_subalgoE5ElNS0_10empty_typeEbEEZZNS1_14partition_implILS5_5ELb0ES3_mN6hipcub16HIPCUB_304000_NS21CountingInputIteratorIllEEPS6_NSA_22TransformInputIteratorIb7NonZeroIdEPdlEENS0_5tupleIJPlS6_EEENSJ_IJSD_SD_EEES6_SK_JS6_EEE10hipError_tPvRmT3_T4_T5_T6_T7_T9_mT8_P12ihipStream_tbDpT10_ENKUlT_T0_E_clISt17integral_constantIbLb1EES15_IbLb0EEEEDaS11_S12_EUlS11_E_NS1_11comp_targetILNS1_3genE10ELNS1_11target_archE1200ELNS1_3gpuE4ELNS1_3repE0EEENS1_30default_config_static_selectorELNS0_4arch9wavefront6targetE1EEEvT1_: ; @_ZN7rocprim17ROCPRIM_400000_NS6detail17trampoline_kernelINS0_14default_configENS1_25partition_config_selectorILNS1_17partition_subalgoE5ElNS0_10empty_typeEbEEZZNS1_14partition_implILS5_5ELb0ES3_mN6hipcub16HIPCUB_304000_NS21CountingInputIteratorIllEEPS6_NSA_22TransformInputIteratorIb7NonZeroIdEPdlEENS0_5tupleIJPlS6_EEENSJ_IJSD_SD_EEES6_SK_JS6_EEE10hipError_tPvRmT3_T4_T5_T6_T7_T9_mT8_P12ihipStream_tbDpT10_ENKUlT_T0_E_clISt17integral_constantIbLb1EES15_IbLb0EEEEDaS11_S12_EUlS11_E_NS1_11comp_targetILNS1_3genE10ELNS1_11target_archE1200ELNS1_3gpuE4ELNS1_3repE0EEENS1_30default_config_static_selectorELNS0_4arch9wavefront6targetE1EEEvT1_
; %bb.0:
	.section	.rodata,"a",@progbits
	.p2align	6, 0x0
	.amdhsa_kernel _ZN7rocprim17ROCPRIM_400000_NS6detail17trampoline_kernelINS0_14default_configENS1_25partition_config_selectorILNS1_17partition_subalgoE5ElNS0_10empty_typeEbEEZZNS1_14partition_implILS5_5ELb0ES3_mN6hipcub16HIPCUB_304000_NS21CountingInputIteratorIllEEPS6_NSA_22TransformInputIteratorIb7NonZeroIdEPdlEENS0_5tupleIJPlS6_EEENSJ_IJSD_SD_EEES6_SK_JS6_EEE10hipError_tPvRmT3_T4_T5_T6_T7_T9_mT8_P12ihipStream_tbDpT10_ENKUlT_T0_E_clISt17integral_constantIbLb1EES15_IbLb0EEEEDaS11_S12_EUlS11_E_NS1_11comp_targetILNS1_3genE10ELNS1_11target_archE1200ELNS1_3gpuE4ELNS1_3repE0EEENS1_30default_config_static_selectorELNS0_4arch9wavefront6targetE1EEEvT1_
		.amdhsa_group_segment_fixed_size 0
		.amdhsa_private_segment_fixed_size 0
		.amdhsa_kernarg_size 120
		.amdhsa_user_sgpr_count 2
		.amdhsa_user_sgpr_dispatch_ptr 0
		.amdhsa_user_sgpr_queue_ptr 0
		.amdhsa_user_sgpr_kernarg_segment_ptr 1
		.amdhsa_user_sgpr_dispatch_id 0
		.amdhsa_user_sgpr_kernarg_preload_length 0
		.amdhsa_user_sgpr_kernarg_preload_offset 0
		.amdhsa_user_sgpr_private_segment_size 0
		.amdhsa_uses_dynamic_stack 0
		.amdhsa_enable_private_segment 0
		.amdhsa_system_sgpr_workgroup_id_x 1
		.amdhsa_system_sgpr_workgroup_id_y 0
		.amdhsa_system_sgpr_workgroup_id_z 0
		.amdhsa_system_sgpr_workgroup_info 0
		.amdhsa_system_vgpr_workitem_id 0
		.amdhsa_next_free_vgpr 1
		.amdhsa_next_free_sgpr 0
		.amdhsa_accum_offset 4
		.amdhsa_reserve_vcc 0
		.amdhsa_float_round_mode_32 0
		.amdhsa_float_round_mode_16_64 0
		.amdhsa_float_denorm_mode_32 3
		.amdhsa_float_denorm_mode_16_64 3
		.amdhsa_dx10_clamp 1
		.amdhsa_ieee_mode 1
		.amdhsa_fp16_overflow 0
		.amdhsa_tg_split 0
		.amdhsa_exception_fp_ieee_invalid_op 0
		.amdhsa_exception_fp_denorm_src 0
		.amdhsa_exception_fp_ieee_div_zero 0
		.amdhsa_exception_fp_ieee_overflow 0
		.amdhsa_exception_fp_ieee_underflow 0
		.amdhsa_exception_fp_ieee_inexact 0
		.amdhsa_exception_int_div_zero 0
	.end_amdhsa_kernel
	.section	.text._ZN7rocprim17ROCPRIM_400000_NS6detail17trampoline_kernelINS0_14default_configENS1_25partition_config_selectorILNS1_17partition_subalgoE5ElNS0_10empty_typeEbEEZZNS1_14partition_implILS5_5ELb0ES3_mN6hipcub16HIPCUB_304000_NS21CountingInputIteratorIllEEPS6_NSA_22TransformInputIteratorIb7NonZeroIdEPdlEENS0_5tupleIJPlS6_EEENSJ_IJSD_SD_EEES6_SK_JS6_EEE10hipError_tPvRmT3_T4_T5_T6_T7_T9_mT8_P12ihipStream_tbDpT10_ENKUlT_T0_E_clISt17integral_constantIbLb1EES15_IbLb0EEEEDaS11_S12_EUlS11_E_NS1_11comp_targetILNS1_3genE10ELNS1_11target_archE1200ELNS1_3gpuE4ELNS1_3repE0EEENS1_30default_config_static_selectorELNS0_4arch9wavefront6targetE1EEEvT1_,"axG",@progbits,_ZN7rocprim17ROCPRIM_400000_NS6detail17trampoline_kernelINS0_14default_configENS1_25partition_config_selectorILNS1_17partition_subalgoE5ElNS0_10empty_typeEbEEZZNS1_14partition_implILS5_5ELb0ES3_mN6hipcub16HIPCUB_304000_NS21CountingInputIteratorIllEEPS6_NSA_22TransformInputIteratorIb7NonZeroIdEPdlEENS0_5tupleIJPlS6_EEENSJ_IJSD_SD_EEES6_SK_JS6_EEE10hipError_tPvRmT3_T4_T5_T6_T7_T9_mT8_P12ihipStream_tbDpT10_ENKUlT_T0_E_clISt17integral_constantIbLb1EES15_IbLb0EEEEDaS11_S12_EUlS11_E_NS1_11comp_targetILNS1_3genE10ELNS1_11target_archE1200ELNS1_3gpuE4ELNS1_3repE0EEENS1_30default_config_static_selectorELNS0_4arch9wavefront6targetE1EEEvT1_,comdat
.Lfunc_end342:
	.size	_ZN7rocprim17ROCPRIM_400000_NS6detail17trampoline_kernelINS0_14default_configENS1_25partition_config_selectorILNS1_17partition_subalgoE5ElNS0_10empty_typeEbEEZZNS1_14partition_implILS5_5ELb0ES3_mN6hipcub16HIPCUB_304000_NS21CountingInputIteratorIllEEPS6_NSA_22TransformInputIteratorIb7NonZeroIdEPdlEENS0_5tupleIJPlS6_EEENSJ_IJSD_SD_EEES6_SK_JS6_EEE10hipError_tPvRmT3_T4_T5_T6_T7_T9_mT8_P12ihipStream_tbDpT10_ENKUlT_T0_E_clISt17integral_constantIbLb1EES15_IbLb0EEEEDaS11_S12_EUlS11_E_NS1_11comp_targetILNS1_3genE10ELNS1_11target_archE1200ELNS1_3gpuE4ELNS1_3repE0EEENS1_30default_config_static_selectorELNS0_4arch9wavefront6targetE1EEEvT1_, .Lfunc_end342-_ZN7rocprim17ROCPRIM_400000_NS6detail17trampoline_kernelINS0_14default_configENS1_25partition_config_selectorILNS1_17partition_subalgoE5ElNS0_10empty_typeEbEEZZNS1_14partition_implILS5_5ELb0ES3_mN6hipcub16HIPCUB_304000_NS21CountingInputIteratorIllEEPS6_NSA_22TransformInputIteratorIb7NonZeroIdEPdlEENS0_5tupleIJPlS6_EEENSJ_IJSD_SD_EEES6_SK_JS6_EEE10hipError_tPvRmT3_T4_T5_T6_T7_T9_mT8_P12ihipStream_tbDpT10_ENKUlT_T0_E_clISt17integral_constantIbLb1EES15_IbLb0EEEEDaS11_S12_EUlS11_E_NS1_11comp_targetILNS1_3genE10ELNS1_11target_archE1200ELNS1_3gpuE4ELNS1_3repE0EEENS1_30default_config_static_selectorELNS0_4arch9wavefront6targetE1EEEvT1_
                                        ; -- End function
	.set _ZN7rocprim17ROCPRIM_400000_NS6detail17trampoline_kernelINS0_14default_configENS1_25partition_config_selectorILNS1_17partition_subalgoE5ElNS0_10empty_typeEbEEZZNS1_14partition_implILS5_5ELb0ES3_mN6hipcub16HIPCUB_304000_NS21CountingInputIteratorIllEEPS6_NSA_22TransformInputIteratorIb7NonZeroIdEPdlEENS0_5tupleIJPlS6_EEENSJ_IJSD_SD_EEES6_SK_JS6_EEE10hipError_tPvRmT3_T4_T5_T6_T7_T9_mT8_P12ihipStream_tbDpT10_ENKUlT_T0_E_clISt17integral_constantIbLb1EES15_IbLb0EEEEDaS11_S12_EUlS11_E_NS1_11comp_targetILNS1_3genE10ELNS1_11target_archE1200ELNS1_3gpuE4ELNS1_3repE0EEENS1_30default_config_static_selectorELNS0_4arch9wavefront6targetE1EEEvT1_.num_vgpr, 0
	.set _ZN7rocprim17ROCPRIM_400000_NS6detail17trampoline_kernelINS0_14default_configENS1_25partition_config_selectorILNS1_17partition_subalgoE5ElNS0_10empty_typeEbEEZZNS1_14partition_implILS5_5ELb0ES3_mN6hipcub16HIPCUB_304000_NS21CountingInputIteratorIllEEPS6_NSA_22TransformInputIteratorIb7NonZeroIdEPdlEENS0_5tupleIJPlS6_EEENSJ_IJSD_SD_EEES6_SK_JS6_EEE10hipError_tPvRmT3_T4_T5_T6_T7_T9_mT8_P12ihipStream_tbDpT10_ENKUlT_T0_E_clISt17integral_constantIbLb1EES15_IbLb0EEEEDaS11_S12_EUlS11_E_NS1_11comp_targetILNS1_3genE10ELNS1_11target_archE1200ELNS1_3gpuE4ELNS1_3repE0EEENS1_30default_config_static_selectorELNS0_4arch9wavefront6targetE1EEEvT1_.num_agpr, 0
	.set _ZN7rocprim17ROCPRIM_400000_NS6detail17trampoline_kernelINS0_14default_configENS1_25partition_config_selectorILNS1_17partition_subalgoE5ElNS0_10empty_typeEbEEZZNS1_14partition_implILS5_5ELb0ES3_mN6hipcub16HIPCUB_304000_NS21CountingInputIteratorIllEEPS6_NSA_22TransformInputIteratorIb7NonZeroIdEPdlEENS0_5tupleIJPlS6_EEENSJ_IJSD_SD_EEES6_SK_JS6_EEE10hipError_tPvRmT3_T4_T5_T6_T7_T9_mT8_P12ihipStream_tbDpT10_ENKUlT_T0_E_clISt17integral_constantIbLb1EES15_IbLb0EEEEDaS11_S12_EUlS11_E_NS1_11comp_targetILNS1_3genE10ELNS1_11target_archE1200ELNS1_3gpuE4ELNS1_3repE0EEENS1_30default_config_static_selectorELNS0_4arch9wavefront6targetE1EEEvT1_.numbered_sgpr, 0
	.set _ZN7rocprim17ROCPRIM_400000_NS6detail17trampoline_kernelINS0_14default_configENS1_25partition_config_selectorILNS1_17partition_subalgoE5ElNS0_10empty_typeEbEEZZNS1_14partition_implILS5_5ELb0ES3_mN6hipcub16HIPCUB_304000_NS21CountingInputIteratorIllEEPS6_NSA_22TransformInputIteratorIb7NonZeroIdEPdlEENS0_5tupleIJPlS6_EEENSJ_IJSD_SD_EEES6_SK_JS6_EEE10hipError_tPvRmT3_T4_T5_T6_T7_T9_mT8_P12ihipStream_tbDpT10_ENKUlT_T0_E_clISt17integral_constantIbLb1EES15_IbLb0EEEEDaS11_S12_EUlS11_E_NS1_11comp_targetILNS1_3genE10ELNS1_11target_archE1200ELNS1_3gpuE4ELNS1_3repE0EEENS1_30default_config_static_selectorELNS0_4arch9wavefront6targetE1EEEvT1_.num_named_barrier, 0
	.set _ZN7rocprim17ROCPRIM_400000_NS6detail17trampoline_kernelINS0_14default_configENS1_25partition_config_selectorILNS1_17partition_subalgoE5ElNS0_10empty_typeEbEEZZNS1_14partition_implILS5_5ELb0ES3_mN6hipcub16HIPCUB_304000_NS21CountingInputIteratorIllEEPS6_NSA_22TransformInputIteratorIb7NonZeroIdEPdlEENS0_5tupleIJPlS6_EEENSJ_IJSD_SD_EEES6_SK_JS6_EEE10hipError_tPvRmT3_T4_T5_T6_T7_T9_mT8_P12ihipStream_tbDpT10_ENKUlT_T0_E_clISt17integral_constantIbLb1EES15_IbLb0EEEEDaS11_S12_EUlS11_E_NS1_11comp_targetILNS1_3genE10ELNS1_11target_archE1200ELNS1_3gpuE4ELNS1_3repE0EEENS1_30default_config_static_selectorELNS0_4arch9wavefront6targetE1EEEvT1_.private_seg_size, 0
	.set _ZN7rocprim17ROCPRIM_400000_NS6detail17trampoline_kernelINS0_14default_configENS1_25partition_config_selectorILNS1_17partition_subalgoE5ElNS0_10empty_typeEbEEZZNS1_14partition_implILS5_5ELb0ES3_mN6hipcub16HIPCUB_304000_NS21CountingInputIteratorIllEEPS6_NSA_22TransformInputIteratorIb7NonZeroIdEPdlEENS0_5tupleIJPlS6_EEENSJ_IJSD_SD_EEES6_SK_JS6_EEE10hipError_tPvRmT3_T4_T5_T6_T7_T9_mT8_P12ihipStream_tbDpT10_ENKUlT_T0_E_clISt17integral_constantIbLb1EES15_IbLb0EEEEDaS11_S12_EUlS11_E_NS1_11comp_targetILNS1_3genE10ELNS1_11target_archE1200ELNS1_3gpuE4ELNS1_3repE0EEENS1_30default_config_static_selectorELNS0_4arch9wavefront6targetE1EEEvT1_.uses_vcc, 0
	.set _ZN7rocprim17ROCPRIM_400000_NS6detail17trampoline_kernelINS0_14default_configENS1_25partition_config_selectorILNS1_17partition_subalgoE5ElNS0_10empty_typeEbEEZZNS1_14partition_implILS5_5ELb0ES3_mN6hipcub16HIPCUB_304000_NS21CountingInputIteratorIllEEPS6_NSA_22TransformInputIteratorIb7NonZeroIdEPdlEENS0_5tupleIJPlS6_EEENSJ_IJSD_SD_EEES6_SK_JS6_EEE10hipError_tPvRmT3_T4_T5_T6_T7_T9_mT8_P12ihipStream_tbDpT10_ENKUlT_T0_E_clISt17integral_constantIbLb1EES15_IbLb0EEEEDaS11_S12_EUlS11_E_NS1_11comp_targetILNS1_3genE10ELNS1_11target_archE1200ELNS1_3gpuE4ELNS1_3repE0EEENS1_30default_config_static_selectorELNS0_4arch9wavefront6targetE1EEEvT1_.uses_flat_scratch, 0
	.set _ZN7rocprim17ROCPRIM_400000_NS6detail17trampoline_kernelINS0_14default_configENS1_25partition_config_selectorILNS1_17partition_subalgoE5ElNS0_10empty_typeEbEEZZNS1_14partition_implILS5_5ELb0ES3_mN6hipcub16HIPCUB_304000_NS21CountingInputIteratorIllEEPS6_NSA_22TransformInputIteratorIb7NonZeroIdEPdlEENS0_5tupleIJPlS6_EEENSJ_IJSD_SD_EEES6_SK_JS6_EEE10hipError_tPvRmT3_T4_T5_T6_T7_T9_mT8_P12ihipStream_tbDpT10_ENKUlT_T0_E_clISt17integral_constantIbLb1EES15_IbLb0EEEEDaS11_S12_EUlS11_E_NS1_11comp_targetILNS1_3genE10ELNS1_11target_archE1200ELNS1_3gpuE4ELNS1_3repE0EEENS1_30default_config_static_selectorELNS0_4arch9wavefront6targetE1EEEvT1_.has_dyn_sized_stack, 0
	.set _ZN7rocprim17ROCPRIM_400000_NS6detail17trampoline_kernelINS0_14default_configENS1_25partition_config_selectorILNS1_17partition_subalgoE5ElNS0_10empty_typeEbEEZZNS1_14partition_implILS5_5ELb0ES3_mN6hipcub16HIPCUB_304000_NS21CountingInputIteratorIllEEPS6_NSA_22TransformInputIteratorIb7NonZeroIdEPdlEENS0_5tupleIJPlS6_EEENSJ_IJSD_SD_EEES6_SK_JS6_EEE10hipError_tPvRmT3_T4_T5_T6_T7_T9_mT8_P12ihipStream_tbDpT10_ENKUlT_T0_E_clISt17integral_constantIbLb1EES15_IbLb0EEEEDaS11_S12_EUlS11_E_NS1_11comp_targetILNS1_3genE10ELNS1_11target_archE1200ELNS1_3gpuE4ELNS1_3repE0EEENS1_30default_config_static_selectorELNS0_4arch9wavefront6targetE1EEEvT1_.has_recursion, 0
	.set _ZN7rocprim17ROCPRIM_400000_NS6detail17trampoline_kernelINS0_14default_configENS1_25partition_config_selectorILNS1_17partition_subalgoE5ElNS0_10empty_typeEbEEZZNS1_14partition_implILS5_5ELb0ES3_mN6hipcub16HIPCUB_304000_NS21CountingInputIteratorIllEEPS6_NSA_22TransformInputIteratorIb7NonZeroIdEPdlEENS0_5tupleIJPlS6_EEENSJ_IJSD_SD_EEES6_SK_JS6_EEE10hipError_tPvRmT3_T4_T5_T6_T7_T9_mT8_P12ihipStream_tbDpT10_ENKUlT_T0_E_clISt17integral_constantIbLb1EES15_IbLb0EEEEDaS11_S12_EUlS11_E_NS1_11comp_targetILNS1_3genE10ELNS1_11target_archE1200ELNS1_3gpuE4ELNS1_3repE0EEENS1_30default_config_static_selectorELNS0_4arch9wavefront6targetE1EEEvT1_.has_indirect_call, 0
	.section	.AMDGPU.csdata,"",@progbits
; Kernel info:
; codeLenInByte = 0
; TotalNumSgprs: 6
; NumVgprs: 0
; NumAgprs: 0
; TotalNumVgprs: 0
; ScratchSize: 0
; MemoryBound: 0
; FloatMode: 240
; IeeeMode: 1
; LDSByteSize: 0 bytes/workgroup (compile time only)
; SGPRBlocks: 0
; VGPRBlocks: 0
; NumSGPRsForWavesPerEU: 6
; NumVGPRsForWavesPerEU: 1
; AccumOffset: 4
; Occupancy: 8
; WaveLimiterHint : 0
; COMPUTE_PGM_RSRC2:SCRATCH_EN: 0
; COMPUTE_PGM_RSRC2:USER_SGPR: 2
; COMPUTE_PGM_RSRC2:TRAP_HANDLER: 0
; COMPUTE_PGM_RSRC2:TGID_X_EN: 1
; COMPUTE_PGM_RSRC2:TGID_Y_EN: 0
; COMPUTE_PGM_RSRC2:TGID_Z_EN: 0
; COMPUTE_PGM_RSRC2:TIDIG_COMP_CNT: 0
; COMPUTE_PGM_RSRC3_GFX90A:ACCUM_OFFSET: 0
; COMPUTE_PGM_RSRC3_GFX90A:TG_SPLIT: 0
	.section	.text._ZN7rocprim17ROCPRIM_400000_NS6detail17trampoline_kernelINS0_14default_configENS1_25partition_config_selectorILNS1_17partition_subalgoE5ElNS0_10empty_typeEbEEZZNS1_14partition_implILS5_5ELb0ES3_mN6hipcub16HIPCUB_304000_NS21CountingInputIteratorIllEEPS6_NSA_22TransformInputIteratorIb7NonZeroIdEPdlEENS0_5tupleIJPlS6_EEENSJ_IJSD_SD_EEES6_SK_JS6_EEE10hipError_tPvRmT3_T4_T5_T6_T7_T9_mT8_P12ihipStream_tbDpT10_ENKUlT_T0_E_clISt17integral_constantIbLb1EES15_IbLb0EEEEDaS11_S12_EUlS11_E_NS1_11comp_targetILNS1_3genE9ELNS1_11target_archE1100ELNS1_3gpuE3ELNS1_3repE0EEENS1_30default_config_static_selectorELNS0_4arch9wavefront6targetE1EEEvT1_,"axG",@progbits,_ZN7rocprim17ROCPRIM_400000_NS6detail17trampoline_kernelINS0_14default_configENS1_25partition_config_selectorILNS1_17partition_subalgoE5ElNS0_10empty_typeEbEEZZNS1_14partition_implILS5_5ELb0ES3_mN6hipcub16HIPCUB_304000_NS21CountingInputIteratorIllEEPS6_NSA_22TransformInputIteratorIb7NonZeroIdEPdlEENS0_5tupleIJPlS6_EEENSJ_IJSD_SD_EEES6_SK_JS6_EEE10hipError_tPvRmT3_T4_T5_T6_T7_T9_mT8_P12ihipStream_tbDpT10_ENKUlT_T0_E_clISt17integral_constantIbLb1EES15_IbLb0EEEEDaS11_S12_EUlS11_E_NS1_11comp_targetILNS1_3genE9ELNS1_11target_archE1100ELNS1_3gpuE3ELNS1_3repE0EEENS1_30default_config_static_selectorELNS0_4arch9wavefront6targetE1EEEvT1_,comdat
	.protected	_ZN7rocprim17ROCPRIM_400000_NS6detail17trampoline_kernelINS0_14default_configENS1_25partition_config_selectorILNS1_17partition_subalgoE5ElNS0_10empty_typeEbEEZZNS1_14partition_implILS5_5ELb0ES3_mN6hipcub16HIPCUB_304000_NS21CountingInputIteratorIllEEPS6_NSA_22TransformInputIteratorIb7NonZeroIdEPdlEENS0_5tupleIJPlS6_EEENSJ_IJSD_SD_EEES6_SK_JS6_EEE10hipError_tPvRmT3_T4_T5_T6_T7_T9_mT8_P12ihipStream_tbDpT10_ENKUlT_T0_E_clISt17integral_constantIbLb1EES15_IbLb0EEEEDaS11_S12_EUlS11_E_NS1_11comp_targetILNS1_3genE9ELNS1_11target_archE1100ELNS1_3gpuE3ELNS1_3repE0EEENS1_30default_config_static_selectorELNS0_4arch9wavefront6targetE1EEEvT1_ ; -- Begin function _ZN7rocprim17ROCPRIM_400000_NS6detail17trampoline_kernelINS0_14default_configENS1_25partition_config_selectorILNS1_17partition_subalgoE5ElNS0_10empty_typeEbEEZZNS1_14partition_implILS5_5ELb0ES3_mN6hipcub16HIPCUB_304000_NS21CountingInputIteratorIllEEPS6_NSA_22TransformInputIteratorIb7NonZeroIdEPdlEENS0_5tupleIJPlS6_EEENSJ_IJSD_SD_EEES6_SK_JS6_EEE10hipError_tPvRmT3_T4_T5_T6_T7_T9_mT8_P12ihipStream_tbDpT10_ENKUlT_T0_E_clISt17integral_constantIbLb1EES15_IbLb0EEEEDaS11_S12_EUlS11_E_NS1_11comp_targetILNS1_3genE9ELNS1_11target_archE1100ELNS1_3gpuE3ELNS1_3repE0EEENS1_30default_config_static_selectorELNS0_4arch9wavefront6targetE1EEEvT1_
	.globl	_ZN7rocprim17ROCPRIM_400000_NS6detail17trampoline_kernelINS0_14default_configENS1_25partition_config_selectorILNS1_17partition_subalgoE5ElNS0_10empty_typeEbEEZZNS1_14partition_implILS5_5ELb0ES3_mN6hipcub16HIPCUB_304000_NS21CountingInputIteratorIllEEPS6_NSA_22TransformInputIteratorIb7NonZeroIdEPdlEENS0_5tupleIJPlS6_EEENSJ_IJSD_SD_EEES6_SK_JS6_EEE10hipError_tPvRmT3_T4_T5_T6_T7_T9_mT8_P12ihipStream_tbDpT10_ENKUlT_T0_E_clISt17integral_constantIbLb1EES15_IbLb0EEEEDaS11_S12_EUlS11_E_NS1_11comp_targetILNS1_3genE9ELNS1_11target_archE1100ELNS1_3gpuE3ELNS1_3repE0EEENS1_30default_config_static_selectorELNS0_4arch9wavefront6targetE1EEEvT1_
	.p2align	8
	.type	_ZN7rocprim17ROCPRIM_400000_NS6detail17trampoline_kernelINS0_14default_configENS1_25partition_config_selectorILNS1_17partition_subalgoE5ElNS0_10empty_typeEbEEZZNS1_14partition_implILS5_5ELb0ES3_mN6hipcub16HIPCUB_304000_NS21CountingInputIteratorIllEEPS6_NSA_22TransformInputIteratorIb7NonZeroIdEPdlEENS0_5tupleIJPlS6_EEENSJ_IJSD_SD_EEES6_SK_JS6_EEE10hipError_tPvRmT3_T4_T5_T6_T7_T9_mT8_P12ihipStream_tbDpT10_ENKUlT_T0_E_clISt17integral_constantIbLb1EES15_IbLb0EEEEDaS11_S12_EUlS11_E_NS1_11comp_targetILNS1_3genE9ELNS1_11target_archE1100ELNS1_3gpuE3ELNS1_3repE0EEENS1_30default_config_static_selectorELNS0_4arch9wavefront6targetE1EEEvT1_,@function
_ZN7rocprim17ROCPRIM_400000_NS6detail17trampoline_kernelINS0_14default_configENS1_25partition_config_selectorILNS1_17partition_subalgoE5ElNS0_10empty_typeEbEEZZNS1_14partition_implILS5_5ELb0ES3_mN6hipcub16HIPCUB_304000_NS21CountingInputIteratorIllEEPS6_NSA_22TransformInputIteratorIb7NonZeroIdEPdlEENS0_5tupleIJPlS6_EEENSJ_IJSD_SD_EEES6_SK_JS6_EEE10hipError_tPvRmT3_T4_T5_T6_T7_T9_mT8_P12ihipStream_tbDpT10_ENKUlT_T0_E_clISt17integral_constantIbLb1EES15_IbLb0EEEEDaS11_S12_EUlS11_E_NS1_11comp_targetILNS1_3genE9ELNS1_11target_archE1100ELNS1_3gpuE3ELNS1_3repE0EEENS1_30default_config_static_selectorELNS0_4arch9wavefront6targetE1EEEvT1_: ; @_ZN7rocprim17ROCPRIM_400000_NS6detail17trampoline_kernelINS0_14default_configENS1_25partition_config_selectorILNS1_17partition_subalgoE5ElNS0_10empty_typeEbEEZZNS1_14partition_implILS5_5ELb0ES3_mN6hipcub16HIPCUB_304000_NS21CountingInputIteratorIllEEPS6_NSA_22TransformInputIteratorIb7NonZeroIdEPdlEENS0_5tupleIJPlS6_EEENSJ_IJSD_SD_EEES6_SK_JS6_EEE10hipError_tPvRmT3_T4_T5_T6_T7_T9_mT8_P12ihipStream_tbDpT10_ENKUlT_T0_E_clISt17integral_constantIbLb1EES15_IbLb0EEEEDaS11_S12_EUlS11_E_NS1_11comp_targetILNS1_3genE9ELNS1_11target_archE1100ELNS1_3gpuE3ELNS1_3repE0EEENS1_30default_config_static_selectorELNS0_4arch9wavefront6targetE1EEEvT1_
; %bb.0:
	.section	.rodata,"a",@progbits
	.p2align	6, 0x0
	.amdhsa_kernel _ZN7rocprim17ROCPRIM_400000_NS6detail17trampoline_kernelINS0_14default_configENS1_25partition_config_selectorILNS1_17partition_subalgoE5ElNS0_10empty_typeEbEEZZNS1_14partition_implILS5_5ELb0ES3_mN6hipcub16HIPCUB_304000_NS21CountingInputIteratorIllEEPS6_NSA_22TransformInputIteratorIb7NonZeroIdEPdlEENS0_5tupleIJPlS6_EEENSJ_IJSD_SD_EEES6_SK_JS6_EEE10hipError_tPvRmT3_T4_T5_T6_T7_T9_mT8_P12ihipStream_tbDpT10_ENKUlT_T0_E_clISt17integral_constantIbLb1EES15_IbLb0EEEEDaS11_S12_EUlS11_E_NS1_11comp_targetILNS1_3genE9ELNS1_11target_archE1100ELNS1_3gpuE3ELNS1_3repE0EEENS1_30default_config_static_selectorELNS0_4arch9wavefront6targetE1EEEvT1_
		.amdhsa_group_segment_fixed_size 0
		.amdhsa_private_segment_fixed_size 0
		.amdhsa_kernarg_size 120
		.amdhsa_user_sgpr_count 2
		.amdhsa_user_sgpr_dispatch_ptr 0
		.amdhsa_user_sgpr_queue_ptr 0
		.amdhsa_user_sgpr_kernarg_segment_ptr 1
		.amdhsa_user_sgpr_dispatch_id 0
		.amdhsa_user_sgpr_kernarg_preload_length 0
		.amdhsa_user_sgpr_kernarg_preload_offset 0
		.amdhsa_user_sgpr_private_segment_size 0
		.amdhsa_uses_dynamic_stack 0
		.amdhsa_enable_private_segment 0
		.amdhsa_system_sgpr_workgroup_id_x 1
		.amdhsa_system_sgpr_workgroup_id_y 0
		.amdhsa_system_sgpr_workgroup_id_z 0
		.amdhsa_system_sgpr_workgroup_info 0
		.amdhsa_system_vgpr_workitem_id 0
		.amdhsa_next_free_vgpr 1
		.amdhsa_next_free_sgpr 0
		.amdhsa_accum_offset 4
		.amdhsa_reserve_vcc 0
		.amdhsa_float_round_mode_32 0
		.amdhsa_float_round_mode_16_64 0
		.amdhsa_float_denorm_mode_32 3
		.amdhsa_float_denorm_mode_16_64 3
		.amdhsa_dx10_clamp 1
		.amdhsa_ieee_mode 1
		.amdhsa_fp16_overflow 0
		.amdhsa_tg_split 0
		.amdhsa_exception_fp_ieee_invalid_op 0
		.amdhsa_exception_fp_denorm_src 0
		.amdhsa_exception_fp_ieee_div_zero 0
		.amdhsa_exception_fp_ieee_overflow 0
		.amdhsa_exception_fp_ieee_underflow 0
		.amdhsa_exception_fp_ieee_inexact 0
		.amdhsa_exception_int_div_zero 0
	.end_amdhsa_kernel
	.section	.text._ZN7rocprim17ROCPRIM_400000_NS6detail17trampoline_kernelINS0_14default_configENS1_25partition_config_selectorILNS1_17partition_subalgoE5ElNS0_10empty_typeEbEEZZNS1_14partition_implILS5_5ELb0ES3_mN6hipcub16HIPCUB_304000_NS21CountingInputIteratorIllEEPS6_NSA_22TransformInputIteratorIb7NonZeroIdEPdlEENS0_5tupleIJPlS6_EEENSJ_IJSD_SD_EEES6_SK_JS6_EEE10hipError_tPvRmT3_T4_T5_T6_T7_T9_mT8_P12ihipStream_tbDpT10_ENKUlT_T0_E_clISt17integral_constantIbLb1EES15_IbLb0EEEEDaS11_S12_EUlS11_E_NS1_11comp_targetILNS1_3genE9ELNS1_11target_archE1100ELNS1_3gpuE3ELNS1_3repE0EEENS1_30default_config_static_selectorELNS0_4arch9wavefront6targetE1EEEvT1_,"axG",@progbits,_ZN7rocprim17ROCPRIM_400000_NS6detail17trampoline_kernelINS0_14default_configENS1_25partition_config_selectorILNS1_17partition_subalgoE5ElNS0_10empty_typeEbEEZZNS1_14partition_implILS5_5ELb0ES3_mN6hipcub16HIPCUB_304000_NS21CountingInputIteratorIllEEPS6_NSA_22TransformInputIteratorIb7NonZeroIdEPdlEENS0_5tupleIJPlS6_EEENSJ_IJSD_SD_EEES6_SK_JS6_EEE10hipError_tPvRmT3_T4_T5_T6_T7_T9_mT8_P12ihipStream_tbDpT10_ENKUlT_T0_E_clISt17integral_constantIbLb1EES15_IbLb0EEEEDaS11_S12_EUlS11_E_NS1_11comp_targetILNS1_3genE9ELNS1_11target_archE1100ELNS1_3gpuE3ELNS1_3repE0EEENS1_30default_config_static_selectorELNS0_4arch9wavefront6targetE1EEEvT1_,comdat
.Lfunc_end343:
	.size	_ZN7rocprim17ROCPRIM_400000_NS6detail17trampoline_kernelINS0_14default_configENS1_25partition_config_selectorILNS1_17partition_subalgoE5ElNS0_10empty_typeEbEEZZNS1_14partition_implILS5_5ELb0ES3_mN6hipcub16HIPCUB_304000_NS21CountingInputIteratorIllEEPS6_NSA_22TransformInputIteratorIb7NonZeroIdEPdlEENS0_5tupleIJPlS6_EEENSJ_IJSD_SD_EEES6_SK_JS6_EEE10hipError_tPvRmT3_T4_T5_T6_T7_T9_mT8_P12ihipStream_tbDpT10_ENKUlT_T0_E_clISt17integral_constantIbLb1EES15_IbLb0EEEEDaS11_S12_EUlS11_E_NS1_11comp_targetILNS1_3genE9ELNS1_11target_archE1100ELNS1_3gpuE3ELNS1_3repE0EEENS1_30default_config_static_selectorELNS0_4arch9wavefront6targetE1EEEvT1_, .Lfunc_end343-_ZN7rocprim17ROCPRIM_400000_NS6detail17trampoline_kernelINS0_14default_configENS1_25partition_config_selectorILNS1_17partition_subalgoE5ElNS0_10empty_typeEbEEZZNS1_14partition_implILS5_5ELb0ES3_mN6hipcub16HIPCUB_304000_NS21CountingInputIteratorIllEEPS6_NSA_22TransformInputIteratorIb7NonZeroIdEPdlEENS0_5tupleIJPlS6_EEENSJ_IJSD_SD_EEES6_SK_JS6_EEE10hipError_tPvRmT3_T4_T5_T6_T7_T9_mT8_P12ihipStream_tbDpT10_ENKUlT_T0_E_clISt17integral_constantIbLb1EES15_IbLb0EEEEDaS11_S12_EUlS11_E_NS1_11comp_targetILNS1_3genE9ELNS1_11target_archE1100ELNS1_3gpuE3ELNS1_3repE0EEENS1_30default_config_static_selectorELNS0_4arch9wavefront6targetE1EEEvT1_
                                        ; -- End function
	.set _ZN7rocprim17ROCPRIM_400000_NS6detail17trampoline_kernelINS0_14default_configENS1_25partition_config_selectorILNS1_17partition_subalgoE5ElNS0_10empty_typeEbEEZZNS1_14partition_implILS5_5ELb0ES3_mN6hipcub16HIPCUB_304000_NS21CountingInputIteratorIllEEPS6_NSA_22TransformInputIteratorIb7NonZeroIdEPdlEENS0_5tupleIJPlS6_EEENSJ_IJSD_SD_EEES6_SK_JS6_EEE10hipError_tPvRmT3_T4_T5_T6_T7_T9_mT8_P12ihipStream_tbDpT10_ENKUlT_T0_E_clISt17integral_constantIbLb1EES15_IbLb0EEEEDaS11_S12_EUlS11_E_NS1_11comp_targetILNS1_3genE9ELNS1_11target_archE1100ELNS1_3gpuE3ELNS1_3repE0EEENS1_30default_config_static_selectorELNS0_4arch9wavefront6targetE1EEEvT1_.num_vgpr, 0
	.set _ZN7rocprim17ROCPRIM_400000_NS6detail17trampoline_kernelINS0_14default_configENS1_25partition_config_selectorILNS1_17partition_subalgoE5ElNS0_10empty_typeEbEEZZNS1_14partition_implILS5_5ELb0ES3_mN6hipcub16HIPCUB_304000_NS21CountingInputIteratorIllEEPS6_NSA_22TransformInputIteratorIb7NonZeroIdEPdlEENS0_5tupleIJPlS6_EEENSJ_IJSD_SD_EEES6_SK_JS6_EEE10hipError_tPvRmT3_T4_T5_T6_T7_T9_mT8_P12ihipStream_tbDpT10_ENKUlT_T0_E_clISt17integral_constantIbLb1EES15_IbLb0EEEEDaS11_S12_EUlS11_E_NS1_11comp_targetILNS1_3genE9ELNS1_11target_archE1100ELNS1_3gpuE3ELNS1_3repE0EEENS1_30default_config_static_selectorELNS0_4arch9wavefront6targetE1EEEvT1_.num_agpr, 0
	.set _ZN7rocprim17ROCPRIM_400000_NS6detail17trampoline_kernelINS0_14default_configENS1_25partition_config_selectorILNS1_17partition_subalgoE5ElNS0_10empty_typeEbEEZZNS1_14partition_implILS5_5ELb0ES3_mN6hipcub16HIPCUB_304000_NS21CountingInputIteratorIllEEPS6_NSA_22TransformInputIteratorIb7NonZeroIdEPdlEENS0_5tupleIJPlS6_EEENSJ_IJSD_SD_EEES6_SK_JS6_EEE10hipError_tPvRmT3_T4_T5_T6_T7_T9_mT8_P12ihipStream_tbDpT10_ENKUlT_T0_E_clISt17integral_constantIbLb1EES15_IbLb0EEEEDaS11_S12_EUlS11_E_NS1_11comp_targetILNS1_3genE9ELNS1_11target_archE1100ELNS1_3gpuE3ELNS1_3repE0EEENS1_30default_config_static_selectorELNS0_4arch9wavefront6targetE1EEEvT1_.numbered_sgpr, 0
	.set _ZN7rocprim17ROCPRIM_400000_NS6detail17trampoline_kernelINS0_14default_configENS1_25partition_config_selectorILNS1_17partition_subalgoE5ElNS0_10empty_typeEbEEZZNS1_14partition_implILS5_5ELb0ES3_mN6hipcub16HIPCUB_304000_NS21CountingInputIteratorIllEEPS6_NSA_22TransformInputIteratorIb7NonZeroIdEPdlEENS0_5tupleIJPlS6_EEENSJ_IJSD_SD_EEES6_SK_JS6_EEE10hipError_tPvRmT3_T4_T5_T6_T7_T9_mT8_P12ihipStream_tbDpT10_ENKUlT_T0_E_clISt17integral_constantIbLb1EES15_IbLb0EEEEDaS11_S12_EUlS11_E_NS1_11comp_targetILNS1_3genE9ELNS1_11target_archE1100ELNS1_3gpuE3ELNS1_3repE0EEENS1_30default_config_static_selectorELNS0_4arch9wavefront6targetE1EEEvT1_.num_named_barrier, 0
	.set _ZN7rocprim17ROCPRIM_400000_NS6detail17trampoline_kernelINS0_14default_configENS1_25partition_config_selectorILNS1_17partition_subalgoE5ElNS0_10empty_typeEbEEZZNS1_14partition_implILS5_5ELb0ES3_mN6hipcub16HIPCUB_304000_NS21CountingInputIteratorIllEEPS6_NSA_22TransformInputIteratorIb7NonZeroIdEPdlEENS0_5tupleIJPlS6_EEENSJ_IJSD_SD_EEES6_SK_JS6_EEE10hipError_tPvRmT3_T4_T5_T6_T7_T9_mT8_P12ihipStream_tbDpT10_ENKUlT_T0_E_clISt17integral_constantIbLb1EES15_IbLb0EEEEDaS11_S12_EUlS11_E_NS1_11comp_targetILNS1_3genE9ELNS1_11target_archE1100ELNS1_3gpuE3ELNS1_3repE0EEENS1_30default_config_static_selectorELNS0_4arch9wavefront6targetE1EEEvT1_.private_seg_size, 0
	.set _ZN7rocprim17ROCPRIM_400000_NS6detail17trampoline_kernelINS0_14default_configENS1_25partition_config_selectorILNS1_17partition_subalgoE5ElNS0_10empty_typeEbEEZZNS1_14partition_implILS5_5ELb0ES3_mN6hipcub16HIPCUB_304000_NS21CountingInputIteratorIllEEPS6_NSA_22TransformInputIteratorIb7NonZeroIdEPdlEENS0_5tupleIJPlS6_EEENSJ_IJSD_SD_EEES6_SK_JS6_EEE10hipError_tPvRmT3_T4_T5_T6_T7_T9_mT8_P12ihipStream_tbDpT10_ENKUlT_T0_E_clISt17integral_constantIbLb1EES15_IbLb0EEEEDaS11_S12_EUlS11_E_NS1_11comp_targetILNS1_3genE9ELNS1_11target_archE1100ELNS1_3gpuE3ELNS1_3repE0EEENS1_30default_config_static_selectorELNS0_4arch9wavefront6targetE1EEEvT1_.uses_vcc, 0
	.set _ZN7rocprim17ROCPRIM_400000_NS6detail17trampoline_kernelINS0_14default_configENS1_25partition_config_selectorILNS1_17partition_subalgoE5ElNS0_10empty_typeEbEEZZNS1_14partition_implILS5_5ELb0ES3_mN6hipcub16HIPCUB_304000_NS21CountingInputIteratorIllEEPS6_NSA_22TransformInputIteratorIb7NonZeroIdEPdlEENS0_5tupleIJPlS6_EEENSJ_IJSD_SD_EEES6_SK_JS6_EEE10hipError_tPvRmT3_T4_T5_T6_T7_T9_mT8_P12ihipStream_tbDpT10_ENKUlT_T0_E_clISt17integral_constantIbLb1EES15_IbLb0EEEEDaS11_S12_EUlS11_E_NS1_11comp_targetILNS1_3genE9ELNS1_11target_archE1100ELNS1_3gpuE3ELNS1_3repE0EEENS1_30default_config_static_selectorELNS0_4arch9wavefront6targetE1EEEvT1_.uses_flat_scratch, 0
	.set _ZN7rocprim17ROCPRIM_400000_NS6detail17trampoline_kernelINS0_14default_configENS1_25partition_config_selectorILNS1_17partition_subalgoE5ElNS0_10empty_typeEbEEZZNS1_14partition_implILS5_5ELb0ES3_mN6hipcub16HIPCUB_304000_NS21CountingInputIteratorIllEEPS6_NSA_22TransformInputIteratorIb7NonZeroIdEPdlEENS0_5tupleIJPlS6_EEENSJ_IJSD_SD_EEES6_SK_JS6_EEE10hipError_tPvRmT3_T4_T5_T6_T7_T9_mT8_P12ihipStream_tbDpT10_ENKUlT_T0_E_clISt17integral_constantIbLb1EES15_IbLb0EEEEDaS11_S12_EUlS11_E_NS1_11comp_targetILNS1_3genE9ELNS1_11target_archE1100ELNS1_3gpuE3ELNS1_3repE0EEENS1_30default_config_static_selectorELNS0_4arch9wavefront6targetE1EEEvT1_.has_dyn_sized_stack, 0
	.set _ZN7rocprim17ROCPRIM_400000_NS6detail17trampoline_kernelINS0_14default_configENS1_25partition_config_selectorILNS1_17partition_subalgoE5ElNS0_10empty_typeEbEEZZNS1_14partition_implILS5_5ELb0ES3_mN6hipcub16HIPCUB_304000_NS21CountingInputIteratorIllEEPS6_NSA_22TransformInputIteratorIb7NonZeroIdEPdlEENS0_5tupleIJPlS6_EEENSJ_IJSD_SD_EEES6_SK_JS6_EEE10hipError_tPvRmT3_T4_T5_T6_T7_T9_mT8_P12ihipStream_tbDpT10_ENKUlT_T0_E_clISt17integral_constantIbLb1EES15_IbLb0EEEEDaS11_S12_EUlS11_E_NS1_11comp_targetILNS1_3genE9ELNS1_11target_archE1100ELNS1_3gpuE3ELNS1_3repE0EEENS1_30default_config_static_selectorELNS0_4arch9wavefront6targetE1EEEvT1_.has_recursion, 0
	.set _ZN7rocprim17ROCPRIM_400000_NS6detail17trampoline_kernelINS0_14default_configENS1_25partition_config_selectorILNS1_17partition_subalgoE5ElNS0_10empty_typeEbEEZZNS1_14partition_implILS5_5ELb0ES3_mN6hipcub16HIPCUB_304000_NS21CountingInputIteratorIllEEPS6_NSA_22TransformInputIteratorIb7NonZeroIdEPdlEENS0_5tupleIJPlS6_EEENSJ_IJSD_SD_EEES6_SK_JS6_EEE10hipError_tPvRmT3_T4_T5_T6_T7_T9_mT8_P12ihipStream_tbDpT10_ENKUlT_T0_E_clISt17integral_constantIbLb1EES15_IbLb0EEEEDaS11_S12_EUlS11_E_NS1_11comp_targetILNS1_3genE9ELNS1_11target_archE1100ELNS1_3gpuE3ELNS1_3repE0EEENS1_30default_config_static_selectorELNS0_4arch9wavefront6targetE1EEEvT1_.has_indirect_call, 0
	.section	.AMDGPU.csdata,"",@progbits
; Kernel info:
; codeLenInByte = 0
; TotalNumSgprs: 6
; NumVgprs: 0
; NumAgprs: 0
; TotalNumVgprs: 0
; ScratchSize: 0
; MemoryBound: 0
; FloatMode: 240
; IeeeMode: 1
; LDSByteSize: 0 bytes/workgroup (compile time only)
; SGPRBlocks: 0
; VGPRBlocks: 0
; NumSGPRsForWavesPerEU: 6
; NumVGPRsForWavesPerEU: 1
; AccumOffset: 4
; Occupancy: 8
; WaveLimiterHint : 0
; COMPUTE_PGM_RSRC2:SCRATCH_EN: 0
; COMPUTE_PGM_RSRC2:USER_SGPR: 2
; COMPUTE_PGM_RSRC2:TRAP_HANDLER: 0
; COMPUTE_PGM_RSRC2:TGID_X_EN: 1
; COMPUTE_PGM_RSRC2:TGID_Y_EN: 0
; COMPUTE_PGM_RSRC2:TGID_Z_EN: 0
; COMPUTE_PGM_RSRC2:TIDIG_COMP_CNT: 0
; COMPUTE_PGM_RSRC3_GFX90A:ACCUM_OFFSET: 0
; COMPUTE_PGM_RSRC3_GFX90A:TG_SPLIT: 0
	.section	.text._ZN7rocprim17ROCPRIM_400000_NS6detail17trampoline_kernelINS0_14default_configENS1_25partition_config_selectorILNS1_17partition_subalgoE5ElNS0_10empty_typeEbEEZZNS1_14partition_implILS5_5ELb0ES3_mN6hipcub16HIPCUB_304000_NS21CountingInputIteratorIllEEPS6_NSA_22TransformInputIteratorIb7NonZeroIdEPdlEENS0_5tupleIJPlS6_EEENSJ_IJSD_SD_EEES6_SK_JS6_EEE10hipError_tPvRmT3_T4_T5_T6_T7_T9_mT8_P12ihipStream_tbDpT10_ENKUlT_T0_E_clISt17integral_constantIbLb1EES15_IbLb0EEEEDaS11_S12_EUlS11_E_NS1_11comp_targetILNS1_3genE8ELNS1_11target_archE1030ELNS1_3gpuE2ELNS1_3repE0EEENS1_30default_config_static_selectorELNS0_4arch9wavefront6targetE1EEEvT1_,"axG",@progbits,_ZN7rocprim17ROCPRIM_400000_NS6detail17trampoline_kernelINS0_14default_configENS1_25partition_config_selectorILNS1_17partition_subalgoE5ElNS0_10empty_typeEbEEZZNS1_14partition_implILS5_5ELb0ES3_mN6hipcub16HIPCUB_304000_NS21CountingInputIteratorIllEEPS6_NSA_22TransformInputIteratorIb7NonZeroIdEPdlEENS0_5tupleIJPlS6_EEENSJ_IJSD_SD_EEES6_SK_JS6_EEE10hipError_tPvRmT3_T4_T5_T6_T7_T9_mT8_P12ihipStream_tbDpT10_ENKUlT_T0_E_clISt17integral_constantIbLb1EES15_IbLb0EEEEDaS11_S12_EUlS11_E_NS1_11comp_targetILNS1_3genE8ELNS1_11target_archE1030ELNS1_3gpuE2ELNS1_3repE0EEENS1_30default_config_static_selectorELNS0_4arch9wavefront6targetE1EEEvT1_,comdat
	.protected	_ZN7rocprim17ROCPRIM_400000_NS6detail17trampoline_kernelINS0_14default_configENS1_25partition_config_selectorILNS1_17partition_subalgoE5ElNS0_10empty_typeEbEEZZNS1_14partition_implILS5_5ELb0ES3_mN6hipcub16HIPCUB_304000_NS21CountingInputIteratorIllEEPS6_NSA_22TransformInputIteratorIb7NonZeroIdEPdlEENS0_5tupleIJPlS6_EEENSJ_IJSD_SD_EEES6_SK_JS6_EEE10hipError_tPvRmT3_T4_T5_T6_T7_T9_mT8_P12ihipStream_tbDpT10_ENKUlT_T0_E_clISt17integral_constantIbLb1EES15_IbLb0EEEEDaS11_S12_EUlS11_E_NS1_11comp_targetILNS1_3genE8ELNS1_11target_archE1030ELNS1_3gpuE2ELNS1_3repE0EEENS1_30default_config_static_selectorELNS0_4arch9wavefront6targetE1EEEvT1_ ; -- Begin function _ZN7rocprim17ROCPRIM_400000_NS6detail17trampoline_kernelINS0_14default_configENS1_25partition_config_selectorILNS1_17partition_subalgoE5ElNS0_10empty_typeEbEEZZNS1_14partition_implILS5_5ELb0ES3_mN6hipcub16HIPCUB_304000_NS21CountingInputIteratorIllEEPS6_NSA_22TransformInputIteratorIb7NonZeroIdEPdlEENS0_5tupleIJPlS6_EEENSJ_IJSD_SD_EEES6_SK_JS6_EEE10hipError_tPvRmT3_T4_T5_T6_T7_T9_mT8_P12ihipStream_tbDpT10_ENKUlT_T0_E_clISt17integral_constantIbLb1EES15_IbLb0EEEEDaS11_S12_EUlS11_E_NS1_11comp_targetILNS1_3genE8ELNS1_11target_archE1030ELNS1_3gpuE2ELNS1_3repE0EEENS1_30default_config_static_selectorELNS0_4arch9wavefront6targetE1EEEvT1_
	.globl	_ZN7rocprim17ROCPRIM_400000_NS6detail17trampoline_kernelINS0_14default_configENS1_25partition_config_selectorILNS1_17partition_subalgoE5ElNS0_10empty_typeEbEEZZNS1_14partition_implILS5_5ELb0ES3_mN6hipcub16HIPCUB_304000_NS21CountingInputIteratorIllEEPS6_NSA_22TransformInputIteratorIb7NonZeroIdEPdlEENS0_5tupleIJPlS6_EEENSJ_IJSD_SD_EEES6_SK_JS6_EEE10hipError_tPvRmT3_T4_T5_T6_T7_T9_mT8_P12ihipStream_tbDpT10_ENKUlT_T0_E_clISt17integral_constantIbLb1EES15_IbLb0EEEEDaS11_S12_EUlS11_E_NS1_11comp_targetILNS1_3genE8ELNS1_11target_archE1030ELNS1_3gpuE2ELNS1_3repE0EEENS1_30default_config_static_selectorELNS0_4arch9wavefront6targetE1EEEvT1_
	.p2align	8
	.type	_ZN7rocprim17ROCPRIM_400000_NS6detail17trampoline_kernelINS0_14default_configENS1_25partition_config_selectorILNS1_17partition_subalgoE5ElNS0_10empty_typeEbEEZZNS1_14partition_implILS5_5ELb0ES3_mN6hipcub16HIPCUB_304000_NS21CountingInputIteratorIllEEPS6_NSA_22TransformInputIteratorIb7NonZeroIdEPdlEENS0_5tupleIJPlS6_EEENSJ_IJSD_SD_EEES6_SK_JS6_EEE10hipError_tPvRmT3_T4_T5_T6_T7_T9_mT8_P12ihipStream_tbDpT10_ENKUlT_T0_E_clISt17integral_constantIbLb1EES15_IbLb0EEEEDaS11_S12_EUlS11_E_NS1_11comp_targetILNS1_3genE8ELNS1_11target_archE1030ELNS1_3gpuE2ELNS1_3repE0EEENS1_30default_config_static_selectorELNS0_4arch9wavefront6targetE1EEEvT1_,@function
_ZN7rocprim17ROCPRIM_400000_NS6detail17trampoline_kernelINS0_14default_configENS1_25partition_config_selectorILNS1_17partition_subalgoE5ElNS0_10empty_typeEbEEZZNS1_14partition_implILS5_5ELb0ES3_mN6hipcub16HIPCUB_304000_NS21CountingInputIteratorIllEEPS6_NSA_22TransformInputIteratorIb7NonZeroIdEPdlEENS0_5tupleIJPlS6_EEENSJ_IJSD_SD_EEES6_SK_JS6_EEE10hipError_tPvRmT3_T4_T5_T6_T7_T9_mT8_P12ihipStream_tbDpT10_ENKUlT_T0_E_clISt17integral_constantIbLb1EES15_IbLb0EEEEDaS11_S12_EUlS11_E_NS1_11comp_targetILNS1_3genE8ELNS1_11target_archE1030ELNS1_3gpuE2ELNS1_3repE0EEENS1_30default_config_static_selectorELNS0_4arch9wavefront6targetE1EEEvT1_: ; @_ZN7rocprim17ROCPRIM_400000_NS6detail17trampoline_kernelINS0_14default_configENS1_25partition_config_selectorILNS1_17partition_subalgoE5ElNS0_10empty_typeEbEEZZNS1_14partition_implILS5_5ELb0ES3_mN6hipcub16HIPCUB_304000_NS21CountingInputIteratorIllEEPS6_NSA_22TransformInputIteratorIb7NonZeroIdEPdlEENS0_5tupleIJPlS6_EEENSJ_IJSD_SD_EEES6_SK_JS6_EEE10hipError_tPvRmT3_T4_T5_T6_T7_T9_mT8_P12ihipStream_tbDpT10_ENKUlT_T0_E_clISt17integral_constantIbLb1EES15_IbLb0EEEEDaS11_S12_EUlS11_E_NS1_11comp_targetILNS1_3genE8ELNS1_11target_archE1030ELNS1_3gpuE2ELNS1_3repE0EEENS1_30default_config_static_selectorELNS0_4arch9wavefront6targetE1EEEvT1_
; %bb.0:
	.section	.rodata,"a",@progbits
	.p2align	6, 0x0
	.amdhsa_kernel _ZN7rocprim17ROCPRIM_400000_NS6detail17trampoline_kernelINS0_14default_configENS1_25partition_config_selectorILNS1_17partition_subalgoE5ElNS0_10empty_typeEbEEZZNS1_14partition_implILS5_5ELb0ES3_mN6hipcub16HIPCUB_304000_NS21CountingInputIteratorIllEEPS6_NSA_22TransformInputIteratorIb7NonZeroIdEPdlEENS0_5tupleIJPlS6_EEENSJ_IJSD_SD_EEES6_SK_JS6_EEE10hipError_tPvRmT3_T4_T5_T6_T7_T9_mT8_P12ihipStream_tbDpT10_ENKUlT_T0_E_clISt17integral_constantIbLb1EES15_IbLb0EEEEDaS11_S12_EUlS11_E_NS1_11comp_targetILNS1_3genE8ELNS1_11target_archE1030ELNS1_3gpuE2ELNS1_3repE0EEENS1_30default_config_static_selectorELNS0_4arch9wavefront6targetE1EEEvT1_
		.amdhsa_group_segment_fixed_size 0
		.amdhsa_private_segment_fixed_size 0
		.amdhsa_kernarg_size 120
		.amdhsa_user_sgpr_count 2
		.amdhsa_user_sgpr_dispatch_ptr 0
		.amdhsa_user_sgpr_queue_ptr 0
		.amdhsa_user_sgpr_kernarg_segment_ptr 1
		.amdhsa_user_sgpr_dispatch_id 0
		.amdhsa_user_sgpr_kernarg_preload_length 0
		.amdhsa_user_sgpr_kernarg_preload_offset 0
		.amdhsa_user_sgpr_private_segment_size 0
		.amdhsa_uses_dynamic_stack 0
		.amdhsa_enable_private_segment 0
		.amdhsa_system_sgpr_workgroup_id_x 1
		.amdhsa_system_sgpr_workgroup_id_y 0
		.amdhsa_system_sgpr_workgroup_id_z 0
		.amdhsa_system_sgpr_workgroup_info 0
		.amdhsa_system_vgpr_workitem_id 0
		.amdhsa_next_free_vgpr 1
		.amdhsa_next_free_sgpr 0
		.amdhsa_accum_offset 4
		.amdhsa_reserve_vcc 0
		.amdhsa_float_round_mode_32 0
		.amdhsa_float_round_mode_16_64 0
		.amdhsa_float_denorm_mode_32 3
		.amdhsa_float_denorm_mode_16_64 3
		.amdhsa_dx10_clamp 1
		.amdhsa_ieee_mode 1
		.amdhsa_fp16_overflow 0
		.amdhsa_tg_split 0
		.amdhsa_exception_fp_ieee_invalid_op 0
		.amdhsa_exception_fp_denorm_src 0
		.amdhsa_exception_fp_ieee_div_zero 0
		.amdhsa_exception_fp_ieee_overflow 0
		.amdhsa_exception_fp_ieee_underflow 0
		.amdhsa_exception_fp_ieee_inexact 0
		.amdhsa_exception_int_div_zero 0
	.end_amdhsa_kernel
	.section	.text._ZN7rocprim17ROCPRIM_400000_NS6detail17trampoline_kernelINS0_14default_configENS1_25partition_config_selectorILNS1_17partition_subalgoE5ElNS0_10empty_typeEbEEZZNS1_14partition_implILS5_5ELb0ES3_mN6hipcub16HIPCUB_304000_NS21CountingInputIteratorIllEEPS6_NSA_22TransformInputIteratorIb7NonZeroIdEPdlEENS0_5tupleIJPlS6_EEENSJ_IJSD_SD_EEES6_SK_JS6_EEE10hipError_tPvRmT3_T4_T5_T6_T7_T9_mT8_P12ihipStream_tbDpT10_ENKUlT_T0_E_clISt17integral_constantIbLb1EES15_IbLb0EEEEDaS11_S12_EUlS11_E_NS1_11comp_targetILNS1_3genE8ELNS1_11target_archE1030ELNS1_3gpuE2ELNS1_3repE0EEENS1_30default_config_static_selectorELNS0_4arch9wavefront6targetE1EEEvT1_,"axG",@progbits,_ZN7rocprim17ROCPRIM_400000_NS6detail17trampoline_kernelINS0_14default_configENS1_25partition_config_selectorILNS1_17partition_subalgoE5ElNS0_10empty_typeEbEEZZNS1_14partition_implILS5_5ELb0ES3_mN6hipcub16HIPCUB_304000_NS21CountingInputIteratorIllEEPS6_NSA_22TransformInputIteratorIb7NonZeroIdEPdlEENS0_5tupleIJPlS6_EEENSJ_IJSD_SD_EEES6_SK_JS6_EEE10hipError_tPvRmT3_T4_T5_T6_T7_T9_mT8_P12ihipStream_tbDpT10_ENKUlT_T0_E_clISt17integral_constantIbLb1EES15_IbLb0EEEEDaS11_S12_EUlS11_E_NS1_11comp_targetILNS1_3genE8ELNS1_11target_archE1030ELNS1_3gpuE2ELNS1_3repE0EEENS1_30default_config_static_selectorELNS0_4arch9wavefront6targetE1EEEvT1_,comdat
.Lfunc_end344:
	.size	_ZN7rocprim17ROCPRIM_400000_NS6detail17trampoline_kernelINS0_14default_configENS1_25partition_config_selectorILNS1_17partition_subalgoE5ElNS0_10empty_typeEbEEZZNS1_14partition_implILS5_5ELb0ES3_mN6hipcub16HIPCUB_304000_NS21CountingInputIteratorIllEEPS6_NSA_22TransformInputIteratorIb7NonZeroIdEPdlEENS0_5tupleIJPlS6_EEENSJ_IJSD_SD_EEES6_SK_JS6_EEE10hipError_tPvRmT3_T4_T5_T6_T7_T9_mT8_P12ihipStream_tbDpT10_ENKUlT_T0_E_clISt17integral_constantIbLb1EES15_IbLb0EEEEDaS11_S12_EUlS11_E_NS1_11comp_targetILNS1_3genE8ELNS1_11target_archE1030ELNS1_3gpuE2ELNS1_3repE0EEENS1_30default_config_static_selectorELNS0_4arch9wavefront6targetE1EEEvT1_, .Lfunc_end344-_ZN7rocprim17ROCPRIM_400000_NS6detail17trampoline_kernelINS0_14default_configENS1_25partition_config_selectorILNS1_17partition_subalgoE5ElNS0_10empty_typeEbEEZZNS1_14partition_implILS5_5ELb0ES3_mN6hipcub16HIPCUB_304000_NS21CountingInputIteratorIllEEPS6_NSA_22TransformInputIteratorIb7NonZeroIdEPdlEENS0_5tupleIJPlS6_EEENSJ_IJSD_SD_EEES6_SK_JS6_EEE10hipError_tPvRmT3_T4_T5_T6_T7_T9_mT8_P12ihipStream_tbDpT10_ENKUlT_T0_E_clISt17integral_constantIbLb1EES15_IbLb0EEEEDaS11_S12_EUlS11_E_NS1_11comp_targetILNS1_3genE8ELNS1_11target_archE1030ELNS1_3gpuE2ELNS1_3repE0EEENS1_30default_config_static_selectorELNS0_4arch9wavefront6targetE1EEEvT1_
                                        ; -- End function
	.set _ZN7rocprim17ROCPRIM_400000_NS6detail17trampoline_kernelINS0_14default_configENS1_25partition_config_selectorILNS1_17partition_subalgoE5ElNS0_10empty_typeEbEEZZNS1_14partition_implILS5_5ELb0ES3_mN6hipcub16HIPCUB_304000_NS21CountingInputIteratorIllEEPS6_NSA_22TransformInputIteratorIb7NonZeroIdEPdlEENS0_5tupleIJPlS6_EEENSJ_IJSD_SD_EEES6_SK_JS6_EEE10hipError_tPvRmT3_T4_T5_T6_T7_T9_mT8_P12ihipStream_tbDpT10_ENKUlT_T0_E_clISt17integral_constantIbLb1EES15_IbLb0EEEEDaS11_S12_EUlS11_E_NS1_11comp_targetILNS1_3genE8ELNS1_11target_archE1030ELNS1_3gpuE2ELNS1_3repE0EEENS1_30default_config_static_selectorELNS0_4arch9wavefront6targetE1EEEvT1_.num_vgpr, 0
	.set _ZN7rocprim17ROCPRIM_400000_NS6detail17trampoline_kernelINS0_14default_configENS1_25partition_config_selectorILNS1_17partition_subalgoE5ElNS0_10empty_typeEbEEZZNS1_14partition_implILS5_5ELb0ES3_mN6hipcub16HIPCUB_304000_NS21CountingInputIteratorIllEEPS6_NSA_22TransformInputIteratorIb7NonZeroIdEPdlEENS0_5tupleIJPlS6_EEENSJ_IJSD_SD_EEES6_SK_JS6_EEE10hipError_tPvRmT3_T4_T5_T6_T7_T9_mT8_P12ihipStream_tbDpT10_ENKUlT_T0_E_clISt17integral_constantIbLb1EES15_IbLb0EEEEDaS11_S12_EUlS11_E_NS1_11comp_targetILNS1_3genE8ELNS1_11target_archE1030ELNS1_3gpuE2ELNS1_3repE0EEENS1_30default_config_static_selectorELNS0_4arch9wavefront6targetE1EEEvT1_.num_agpr, 0
	.set _ZN7rocprim17ROCPRIM_400000_NS6detail17trampoline_kernelINS0_14default_configENS1_25partition_config_selectorILNS1_17partition_subalgoE5ElNS0_10empty_typeEbEEZZNS1_14partition_implILS5_5ELb0ES3_mN6hipcub16HIPCUB_304000_NS21CountingInputIteratorIllEEPS6_NSA_22TransformInputIteratorIb7NonZeroIdEPdlEENS0_5tupleIJPlS6_EEENSJ_IJSD_SD_EEES6_SK_JS6_EEE10hipError_tPvRmT3_T4_T5_T6_T7_T9_mT8_P12ihipStream_tbDpT10_ENKUlT_T0_E_clISt17integral_constantIbLb1EES15_IbLb0EEEEDaS11_S12_EUlS11_E_NS1_11comp_targetILNS1_3genE8ELNS1_11target_archE1030ELNS1_3gpuE2ELNS1_3repE0EEENS1_30default_config_static_selectorELNS0_4arch9wavefront6targetE1EEEvT1_.numbered_sgpr, 0
	.set _ZN7rocprim17ROCPRIM_400000_NS6detail17trampoline_kernelINS0_14default_configENS1_25partition_config_selectorILNS1_17partition_subalgoE5ElNS0_10empty_typeEbEEZZNS1_14partition_implILS5_5ELb0ES3_mN6hipcub16HIPCUB_304000_NS21CountingInputIteratorIllEEPS6_NSA_22TransformInputIteratorIb7NonZeroIdEPdlEENS0_5tupleIJPlS6_EEENSJ_IJSD_SD_EEES6_SK_JS6_EEE10hipError_tPvRmT3_T4_T5_T6_T7_T9_mT8_P12ihipStream_tbDpT10_ENKUlT_T0_E_clISt17integral_constantIbLb1EES15_IbLb0EEEEDaS11_S12_EUlS11_E_NS1_11comp_targetILNS1_3genE8ELNS1_11target_archE1030ELNS1_3gpuE2ELNS1_3repE0EEENS1_30default_config_static_selectorELNS0_4arch9wavefront6targetE1EEEvT1_.num_named_barrier, 0
	.set _ZN7rocprim17ROCPRIM_400000_NS6detail17trampoline_kernelINS0_14default_configENS1_25partition_config_selectorILNS1_17partition_subalgoE5ElNS0_10empty_typeEbEEZZNS1_14partition_implILS5_5ELb0ES3_mN6hipcub16HIPCUB_304000_NS21CountingInputIteratorIllEEPS6_NSA_22TransformInputIteratorIb7NonZeroIdEPdlEENS0_5tupleIJPlS6_EEENSJ_IJSD_SD_EEES6_SK_JS6_EEE10hipError_tPvRmT3_T4_T5_T6_T7_T9_mT8_P12ihipStream_tbDpT10_ENKUlT_T0_E_clISt17integral_constantIbLb1EES15_IbLb0EEEEDaS11_S12_EUlS11_E_NS1_11comp_targetILNS1_3genE8ELNS1_11target_archE1030ELNS1_3gpuE2ELNS1_3repE0EEENS1_30default_config_static_selectorELNS0_4arch9wavefront6targetE1EEEvT1_.private_seg_size, 0
	.set _ZN7rocprim17ROCPRIM_400000_NS6detail17trampoline_kernelINS0_14default_configENS1_25partition_config_selectorILNS1_17partition_subalgoE5ElNS0_10empty_typeEbEEZZNS1_14partition_implILS5_5ELb0ES3_mN6hipcub16HIPCUB_304000_NS21CountingInputIteratorIllEEPS6_NSA_22TransformInputIteratorIb7NonZeroIdEPdlEENS0_5tupleIJPlS6_EEENSJ_IJSD_SD_EEES6_SK_JS6_EEE10hipError_tPvRmT3_T4_T5_T6_T7_T9_mT8_P12ihipStream_tbDpT10_ENKUlT_T0_E_clISt17integral_constantIbLb1EES15_IbLb0EEEEDaS11_S12_EUlS11_E_NS1_11comp_targetILNS1_3genE8ELNS1_11target_archE1030ELNS1_3gpuE2ELNS1_3repE0EEENS1_30default_config_static_selectorELNS0_4arch9wavefront6targetE1EEEvT1_.uses_vcc, 0
	.set _ZN7rocprim17ROCPRIM_400000_NS6detail17trampoline_kernelINS0_14default_configENS1_25partition_config_selectorILNS1_17partition_subalgoE5ElNS0_10empty_typeEbEEZZNS1_14partition_implILS5_5ELb0ES3_mN6hipcub16HIPCUB_304000_NS21CountingInputIteratorIllEEPS6_NSA_22TransformInputIteratorIb7NonZeroIdEPdlEENS0_5tupleIJPlS6_EEENSJ_IJSD_SD_EEES6_SK_JS6_EEE10hipError_tPvRmT3_T4_T5_T6_T7_T9_mT8_P12ihipStream_tbDpT10_ENKUlT_T0_E_clISt17integral_constantIbLb1EES15_IbLb0EEEEDaS11_S12_EUlS11_E_NS1_11comp_targetILNS1_3genE8ELNS1_11target_archE1030ELNS1_3gpuE2ELNS1_3repE0EEENS1_30default_config_static_selectorELNS0_4arch9wavefront6targetE1EEEvT1_.uses_flat_scratch, 0
	.set _ZN7rocprim17ROCPRIM_400000_NS6detail17trampoline_kernelINS0_14default_configENS1_25partition_config_selectorILNS1_17partition_subalgoE5ElNS0_10empty_typeEbEEZZNS1_14partition_implILS5_5ELb0ES3_mN6hipcub16HIPCUB_304000_NS21CountingInputIteratorIllEEPS6_NSA_22TransformInputIteratorIb7NonZeroIdEPdlEENS0_5tupleIJPlS6_EEENSJ_IJSD_SD_EEES6_SK_JS6_EEE10hipError_tPvRmT3_T4_T5_T6_T7_T9_mT8_P12ihipStream_tbDpT10_ENKUlT_T0_E_clISt17integral_constantIbLb1EES15_IbLb0EEEEDaS11_S12_EUlS11_E_NS1_11comp_targetILNS1_3genE8ELNS1_11target_archE1030ELNS1_3gpuE2ELNS1_3repE0EEENS1_30default_config_static_selectorELNS0_4arch9wavefront6targetE1EEEvT1_.has_dyn_sized_stack, 0
	.set _ZN7rocprim17ROCPRIM_400000_NS6detail17trampoline_kernelINS0_14default_configENS1_25partition_config_selectorILNS1_17partition_subalgoE5ElNS0_10empty_typeEbEEZZNS1_14partition_implILS5_5ELb0ES3_mN6hipcub16HIPCUB_304000_NS21CountingInputIteratorIllEEPS6_NSA_22TransformInputIteratorIb7NonZeroIdEPdlEENS0_5tupleIJPlS6_EEENSJ_IJSD_SD_EEES6_SK_JS6_EEE10hipError_tPvRmT3_T4_T5_T6_T7_T9_mT8_P12ihipStream_tbDpT10_ENKUlT_T0_E_clISt17integral_constantIbLb1EES15_IbLb0EEEEDaS11_S12_EUlS11_E_NS1_11comp_targetILNS1_3genE8ELNS1_11target_archE1030ELNS1_3gpuE2ELNS1_3repE0EEENS1_30default_config_static_selectorELNS0_4arch9wavefront6targetE1EEEvT1_.has_recursion, 0
	.set _ZN7rocprim17ROCPRIM_400000_NS6detail17trampoline_kernelINS0_14default_configENS1_25partition_config_selectorILNS1_17partition_subalgoE5ElNS0_10empty_typeEbEEZZNS1_14partition_implILS5_5ELb0ES3_mN6hipcub16HIPCUB_304000_NS21CountingInputIteratorIllEEPS6_NSA_22TransformInputIteratorIb7NonZeroIdEPdlEENS0_5tupleIJPlS6_EEENSJ_IJSD_SD_EEES6_SK_JS6_EEE10hipError_tPvRmT3_T4_T5_T6_T7_T9_mT8_P12ihipStream_tbDpT10_ENKUlT_T0_E_clISt17integral_constantIbLb1EES15_IbLb0EEEEDaS11_S12_EUlS11_E_NS1_11comp_targetILNS1_3genE8ELNS1_11target_archE1030ELNS1_3gpuE2ELNS1_3repE0EEENS1_30default_config_static_selectorELNS0_4arch9wavefront6targetE1EEEvT1_.has_indirect_call, 0
	.section	.AMDGPU.csdata,"",@progbits
; Kernel info:
; codeLenInByte = 0
; TotalNumSgprs: 6
; NumVgprs: 0
; NumAgprs: 0
; TotalNumVgprs: 0
; ScratchSize: 0
; MemoryBound: 0
; FloatMode: 240
; IeeeMode: 1
; LDSByteSize: 0 bytes/workgroup (compile time only)
; SGPRBlocks: 0
; VGPRBlocks: 0
; NumSGPRsForWavesPerEU: 6
; NumVGPRsForWavesPerEU: 1
; AccumOffset: 4
; Occupancy: 8
; WaveLimiterHint : 0
; COMPUTE_PGM_RSRC2:SCRATCH_EN: 0
; COMPUTE_PGM_RSRC2:USER_SGPR: 2
; COMPUTE_PGM_RSRC2:TRAP_HANDLER: 0
; COMPUTE_PGM_RSRC2:TGID_X_EN: 1
; COMPUTE_PGM_RSRC2:TGID_Y_EN: 0
; COMPUTE_PGM_RSRC2:TGID_Z_EN: 0
; COMPUTE_PGM_RSRC2:TIDIG_COMP_CNT: 0
; COMPUTE_PGM_RSRC3_GFX90A:ACCUM_OFFSET: 0
; COMPUTE_PGM_RSRC3_GFX90A:TG_SPLIT: 0
	.section	.text._ZN7rocprim17ROCPRIM_400000_NS6detail17trampoline_kernelINS0_14default_configENS1_25partition_config_selectorILNS1_17partition_subalgoE5ElNS0_10empty_typeEbEEZZNS1_14partition_implILS5_5ELb0ES3_mN6hipcub16HIPCUB_304000_NS21CountingInputIteratorIllEEPS6_NSA_22TransformInputIteratorIb7NonZeroIdEPdlEENS0_5tupleIJPlS6_EEENSJ_IJSD_SD_EEES6_SK_JS6_EEE10hipError_tPvRmT3_T4_T5_T6_T7_T9_mT8_P12ihipStream_tbDpT10_ENKUlT_T0_E_clISt17integral_constantIbLb0EES15_IbLb1EEEEDaS11_S12_EUlS11_E_NS1_11comp_targetILNS1_3genE0ELNS1_11target_archE4294967295ELNS1_3gpuE0ELNS1_3repE0EEENS1_30default_config_static_selectorELNS0_4arch9wavefront6targetE1EEEvT1_,"axG",@progbits,_ZN7rocprim17ROCPRIM_400000_NS6detail17trampoline_kernelINS0_14default_configENS1_25partition_config_selectorILNS1_17partition_subalgoE5ElNS0_10empty_typeEbEEZZNS1_14partition_implILS5_5ELb0ES3_mN6hipcub16HIPCUB_304000_NS21CountingInputIteratorIllEEPS6_NSA_22TransformInputIteratorIb7NonZeroIdEPdlEENS0_5tupleIJPlS6_EEENSJ_IJSD_SD_EEES6_SK_JS6_EEE10hipError_tPvRmT3_T4_T5_T6_T7_T9_mT8_P12ihipStream_tbDpT10_ENKUlT_T0_E_clISt17integral_constantIbLb0EES15_IbLb1EEEEDaS11_S12_EUlS11_E_NS1_11comp_targetILNS1_3genE0ELNS1_11target_archE4294967295ELNS1_3gpuE0ELNS1_3repE0EEENS1_30default_config_static_selectorELNS0_4arch9wavefront6targetE1EEEvT1_,comdat
	.protected	_ZN7rocprim17ROCPRIM_400000_NS6detail17trampoline_kernelINS0_14default_configENS1_25partition_config_selectorILNS1_17partition_subalgoE5ElNS0_10empty_typeEbEEZZNS1_14partition_implILS5_5ELb0ES3_mN6hipcub16HIPCUB_304000_NS21CountingInputIteratorIllEEPS6_NSA_22TransformInputIteratorIb7NonZeroIdEPdlEENS0_5tupleIJPlS6_EEENSJ_IJSD_SD_EEES6_SK_JS6_EEE10hipError_tPvRmT3_T4_T5_T6_T7_T9_mT8_P12ihipStream_tbDpT10_ENKUlT_T0_E_clISt17integral_constantIbLb0EES15_IbLb1EEEEDaS11_S12_EUlS11_E_NS1_11comp_targetILNS1_3genE0ELNS1_11target_archE4294967295ELNS1_3gpuE0ELNS1_3repE0EEENS1_30default_config_static_selectorELNS0_4arch9wavefront6targetE1EEEvT1_ ; -- Begin function _ZN7rocprim17ROCPRIM_400000_NS6detail17trampoline_kernelINS0_14default_configENS1_25partition_config_selectorILNS1_17partition_subalgoE5ElNS0_10empty_typeEbEEZZNS1_14partition_implILS5_5ELb0ES3_mN6hipcub16HIPCUB_304000_NS21CountingInputIteratorIllEEPS6_NSA_22TransformInputIteratorIb7NonZeroIdEPdlEENS0_5tupleIJPlS6_EEENSJ_IJSD_SD_EEES6_SK_JS6_EEE10hipError_tPvRmT3_T4_T5_T6_T7_T9_mT8_P12ihipStream_tbDpT10_ENKUlT_T0_E_clISt17integral_constantIbLb0EES15_IbLb1EEEEDaS11_S12_EUlS11_E_NS1_11comp_targetILNS1_3genE0ELNS1_11target_archE4294967295ELNS1_3gpuE0ELNS1_3repE0EEENS1_30default_config_static_selectorELNS0_4arch9wavefront6targetE1EEEvT1_
	.globl	_ZN7rocprim17ROCPRIM_400000_NS6detail17trampoline_kernelINS0_14default_configENS1_25partition_config_selectorILNS1_17partition_subalgoE5ElNS0_10empty_typeEbEEZZNS1_14partition_implILS5_5ELb0ES3_mN6hipcub16HIPCUB_304000_NS21CountingInputIteratorIllEEPS6_NSA_22TransformInputIteratorIb7NonZeroIdEPdlEENS0_5tupleIJPlS6_EEENSJ_IJSD_SD_EEES6_SK_JS6_EEE10hipError_tPvRmT3_T4_T5_T6_T7_T9_mT8_P12ihipStream_tbDpT10_ENKUlT_T0_E_clISt17integral_constantIbLb0EES15_IbLb1EEEEDaS11_S12_EUlS11_E_NS1_11comp_targetILNS1_3genE0ELNS1_11target_archE4294967295ELNS1_3gpuE0ELNS1_3repE0EEENS1_30default_config_static_selectorELNS0_4arch9wavefront6targetE1EEEvT1_
	.p2align	8
	.type	_ZN7rocprim17ROCPRIM_400000_NS6detail17trampoline_kernelINS0_14default_configENS1_25partition_config_selectorILNS1_17partition_subalgoE5ElNS0_10empty_typeEbEEZZNS1_14partition_implILS5_5ELb0ES3_mN6hipcub16HIPCUB_304000_NS21CountingInputIteratorIllEEPS6_NSA_22TransformInputIteratorIb7NonZeroIdEPdlEENS0_5tupleIJPlS6_EEENSJ_IJSD_SD_EEES6_SK_JS6_EEE10hipError_tPvRmT3_T4_T5_T6_T7_T9_mT8_P12ihipStream_tbDpT10_ENKUlT_T0_E_clISt17integral_constantIbLb0EES15_IbLb1EEEEDaS11_S12_EUlS11_E_NS1_11comp_targetILNS1_3genE0ELNS1_11target_archE4294967295ELNS1_3gpuE0ELNS1_3repE0EEENS1_30default_config_static_selectorELNS0_4arch9wavefront6targetE1EEEvT1_,@function
_ZN7rocprim17ROCPRIM_400000_NS6detail17trampoline_kernelINS0_14default_configENS1_25partition_config_selectorILNS1_17partition_subalgoE5ElNS0_10empty_typeEbEEZZNS1_14partition_implILS5_5ELb0ES3_mN6hipcub16HIPCUB_304000_NS21CountingInputIteratorIllEEPS6_NSA_22TransformInputIteratorIb7NonZeroIdEPdlEENS0_5tupleIJPlS6_EEENSJ_IJSD_SD_EEES6_SK_JS6_EEE10hipError_tPvRmT3_T4_T5_T6_T7_T9_mT8_P12ihipStream_tbDpT10_ENKUlT_T0_E_clISt17integral_constantIbLb0EES15_IbLb1EEEEDaS11_S12_EUlS11_E_NS1_11comp_targetILNS1_3genE0ELNS1_11target_archE4294967295ELNS1_3gpuE0ELNS1_3repE0EEENS1_30default_config_static_selectorELNS0_4arch9wavefront6targetE1EEEvT1_: ; @_ZN7rocprim17ROCPRIM_400000_NS6detail17trampoline_kernelINS0_14default_configENS1_25partition_config_selectorILNS1_17partition_subalgoE5ElNS0_10empty_typeEbEEZZNS1_14partition_implILS5_5ELb0ES3_mN6hipcub16HIPCUB_304000_NS21CountingInputIteratorIllEEPS6_NSA_22TransformInputIteratorIb7NonZeroIdEPdlEENS0_5tupleIJPlS6_EEENSJ_IJSD_SD_EEES6_SK_JS6_EEE10hipError_tPvRmT3_T4_T5_T6_T7_T9_mT8_P12ihipStream_tbDpT10_ENKUlT_T0_E_clISt17integral_constantIbLb0EES15_IbLb1EEEEDaS11_S12_EUlS11_E_NS1_11comp_targetILNS1_3genE0ELNS1_11target_archE4294967295ELNS1_3gpuE0ELNS1_3repE0EEENS1_30default_config_static_selectorELNS0_4arch9wavefront6targetE1EEEvT1_
; %bb.0:
	s_load_dwordx2 s[2:3], s[0:1], 0x20
	s_load_dwordx4 s[12:15], s[0:1], 0x48
	s_load_dwordx2 s[8:9], s[0:1], 0x58
	s_load_dwordx2 s[20:21], s[0:1], 0x68
	v_cmp_eq_u32_e64 s[10:11], 0, v0
	s_and_saveexec_b64 s[4:5], s[10:11]
	s_cbranch_execz .LBB345_4
; %bb.1:
	s_mov_b64 s[16:17], exec
	v_mbcnt_lo_u32_b32 v1, s16, 0
	v_mbcnt_hi_u32_b32 v1, s17, v1
	v_cmp_eq_u32_e32 vcc, 0, v1
                                        ; implicit-def: $vgpr2
	s_and_saveexec_b64 s[6:7], vcc
	s_cbranch_execz .LBB345_3
; %bb.2:
	s_load_dwordx2 s[18:19], s[0:1], 0x78
	s_bcnt1_i32_b64 s16, s[16:17]
	v_mov_b32_e32 v2, 0
	v_mov_b32_e32 v3, s16
	s_waitcnt lgkmcnt(0)
	global_atomic_add v2, v2, v3, s[18:19] sc0
.LBB345_3:
	s_or_b64 exec, exec, s[6:7]
	s_waitcnt vmcnt(0)
	v_readfirstlane_b32 s6, v2
	v_mov_b32_e32 v2, 0
	s_nop 0
	v_add_u32_e32 v1, s6, v1
	ds_write_b32 v2, v1
.LBB345_4:
	s_or_b64 exec, exec, s[4:5]
	v_mov_b32_e32 v1, 0
	s_load_dwordx4 s[4:7], s[0:1], 0x8
	s_load_dwordx2 s[16:17], s[0:1], 0x30
	s_load_dword s18, s[0:1], 0x70
	s_waitcnt lgkmcnt(0)
	s_barrier
	ds_read_b32 v2, v1
	s_waitcnt lgkmcnt(0)
	s_barrier
	global_load_dwordx2 v[10:11], v1, s[14:15]
	s_add_u32 s22, s6, s4
	s_mul_i32 s0, s18, 0x380
	s_addc_u32 s23, s7, s5
	s_add_i32 s1, s0, s6
	s_add_i32 s14, s18, -1
	s_sub_i32 s25, s8, s1
	s_add_u32 s0, s6, s0
	v_readfirstlane_b32 s24, v2
	s_addc_u32 s1, s7, 0
	v_mov_b64_e32 v[2:3], s[0:1]
	s_cmp_eq_u32 s24, s14
	v_cmp_le_u64_e32 vcc, s[8:9], v[2:3]
	s_cselect_b64 s[14:15], -1, 0
	s_and_b64 s[8:9], vcc, s[14:15]
	s_xor_b64 s[18:19], s[8:9], -1
	s_mul_i32 s4, s24, 0x380
	s_mov_b32 s5, 0
	s_mov_b64 s[0:1], -1
	s_and_b64 vcc, exec, s[18:19]
	s_cbranch_vccz .LBB345_6
; %bb.5:
	s_add_u32 s0, s4, s22
	s_addc_u32 s1, 0, s23
	v_lshl_add_u64 v[2:3], s[0:1], 0, v[0:1]
	s_mov_b64 s[0:1], 0x80
	v_lshl_add_u64 v[4:5], v[2:3], 0, s[0:1]
	s_mov_b64 s[0:1], 0x100
	;; [unrolled: 2-line block ×6, first 2 shown]
	v_lshlrev_b32_e32 v1, 3, v0
	v_lshl_add_u64 v[16:17], v[2:3], 0, s[0:1]
	ds_write2st64_b64 v1, v[2:3], v[4:5] offset1:2
	ds_write2st64_b64 v1, v[6:7], v[8:9] offset0:4 offset1:6
	ds_write2st64_b64 v1, v[12:13], v[14:15] offset0:8 offset1:10
	ds_write_b64 v1, v[16:17] offset:6144
	s_waitcnt lgkmcnt(0)
	s_barrier
	s_mov_b64 s[0:1], 0
.LBB345_6:
	s_add_i32 s8, s25, 0x380
	s_andn2_b64 vcc, exec, s[0:1]
	v_cmp_gt_u32_e64 s[0:1], s8, v0
	s_cbranch_vccnz .LBB345_8
; %bb.7:
	s_add_u32 s22, s22, s4
	v_mov_b32_e32 v1, 0
	s_addc_u32 s23, s23, 0
	v_or_b32_e32 v4, 0x80, v0
	v_mov_b32_e32 v5, v1
	v_lshl_add_u64 v[6:7], s[22:23], 0, v[4:5]
	v_cmp_gt_u32_e32 vcc, s8, v4
	v_lshl_add_u64 v[2:3], s[22:23], 0, v[0:1]
	v_cndmask_b32_e64 v3, 0, v3, s[0:1]
	v_cndmask_b32_e32 v5, 0, v7, vcc
	v_cndmask_b32_e32 v4, 0, v6, vcc
	v_or_b32_e32 v6, 0x100, v0
	v_mov_b32_e32 v7, v1
	v_lshl_add_u64 v[8:9], s[22:23], 0, v[6:7]
	v_cmp_gt_u32_e32 vcc, s8, v6
	v_cndmask_b32_e64 v2, 0, v2, s[0:1]
	s_nop 0
	v_cndmask_b32_e32 v7, 0, v9, vcc
	v_cndmask_b32_e32 v6, 0, v8, vcc
	v_or_b32_e32 v8, 0x180, v0
	v_mov_b32_e32 v9, v1
	v_lshl_add_u64 v[12:13], s[22:23], 0, v[8:9]
	v_cmp_gt_u32_e32 vcc, s8, v8
	s_nop 1
	v_cndmask_b32_e32 v9, 0, v13, vcc
	v_cndmask_b32_e32 v8, 0, v12, vcc
	v_or_b32_e32 v12, 0x200, v0
	v_mov_b32_e32 v13, v1
	v_lshl_add_u64 v[14:15], s[22:23], 0, v[12:13]
	v_cmp_gt_u32_e32 vcc, s8, v12
	;; [unrolled: 7-line block ×4, first 2 shown]
	v_lshlrev_b32_e32 v1, 3, v0
	s_nop 0
	v_cndmask_b32_e32 v17, 0, v19, vcc
	v_cndmask_b32_e32 v16, 0, v18, vcc
	ds_write2st64_b64 v1, v[2:3], v[4:5] offset1:2
	ds_write2st64_b64 v1, v[6:7], v[8:9] offset0:4 offset1:6
	ds_write2st64_b64 v1, v[12:13], v[14:15] offset0:8 offset1:10
	ds_write_b64 v1, v[16:17] offset:6144
	s_waitcnt lgkmcnt(0)
	s_barrier
.LBB345_8:
	v_mul_u32_u24_e32 v1, 7, v0
	v_lshlrev_b32_e32 v3, 3, v1
	ds_read2_b64 v[68:71], v3 offset1:1
	ds_read2_b64 v[64:67], v3 offset0:2 offset1:3
	ds_read2_b64 v[60:63], v3 offset0:4 offset1:5
	ds_read_b64 v[12:13], v3 offset:48
	s_lshl_b64 s[0:1], s[6:7], 3
	s_add_u32 s2, s2, s0
	s_addc_u32 s3, s3, s1
	s_lshl_b64 s[0:1], s[4:5], 3
	s_add_u32 s0, s2, s0
	s_addc_u32 s1, s3, s1
	s_mov_b64 s[2:3], -1
	s_and_b64 vcc, exec, s[18:19]
	s_waitcnt lgkmcnt(0)
	s_barrier
	s_cbranch_vccz .LBB345_10
; %bb.9:
	v_lshlrev_b32_e32 v4, 3, v0
	global_load_dwordx2 v[6:7], v4, s[0:1]
	global_load_dwordx2 v[8:9], v4, s[0:1] offset:1024
	v_mov_b32_e32 v5, 0
	global_load_dwordx2 v[14:15], v4, s[0:1] offset:2048
	global_load_dwordx2 v[16:17], v4, s[0:1] offset:3072
	s_movk_i32 s2, 0x1000
	v_lshl_add_u64 v[4:5], s[0:1], 0, v[4:5]
	v_add_co_u32_e32 v4, vcc, s2, v4
	s_mov_b64 s[2:3], 0
	s_nop 0
	v_addc_co_u32_e32 v5, vcc, 0, v5, vcc
	global_load_dwordx2 v[18:19], v[4:5], off
	global_load_dwordx2 v[20:21], v[4:5], off offset:1024
	global_load_dwordx2 v[22:23], v[4:5], off offset:2048
	s_waitcnt vmcnt(6)
	v_cmp_neq_f64_e32 vcc, 0, v[6:7]
	s_nop 1
	v_cndmask_b32_e64 v1, 0, 1, vcc
	s_waitcnt vmcnt(5)
	v_cmp_neq_f64_e32 vcc, 0, v[8:9]
	s_nop 1
	v_cndmask_b32_e64 v2, 0, 1, vcc
	;; [unrolled: 4-line block ×4, first 2 shown]
	s_waitcnt vmcnt(2)
	v_cmp_neq_f64_e32 vcc, 0, v[18:19]
	ds_write_b8 v0, v1
	ds_write_b8 v0, v2 offset:128
	ds_write_b8 v0, v4 offset:256
	;; [unrolled: 1-line block ×3, first 2 shown]
	v_cndmask_b32_e64 v1, 0, 1, vcc
	s_waitcnt vmcnt(1)
	v_cmp_neq_f64_e32 vcc, 0, v[20:21]
	s_nop 1
	v_cndmask_b32_e64 v2, 0, 1, vcc
	s_waitcnt vmcnt(0)
	v_cmp_neq_f64_e32 vcc, 0, v[22:23]
	s_nop 1
	v_cndmask_b32_e64 v4, 0, 1, vcc
	ds_write_b8 v0, v1 offset:512
	ds_write_b8 v0, v2 offset:640
	ds_write_b8 v0, v4 offset:768
	s_waitcnt lgkmcnt(0)
	s_barrier
.LBB345_10:
	s_andn2_b64 vcc, exec, s[2:3]
	s_cbranch_vccnz .LBB345_26
; %bb.11:
	v_mov_b32_e32 v2, 0
	v_cmp_gt_u32_e32 vcc, s8, v0
	s_mov_b32 s4, 0
	v_mov_b32_e32 v1, v2
	v_mov_b32_e32 v5, v2
	s_and_saveexec_b64 s[2:3], vcc
	s_cbranch_execz .LBB345_13
; %bb.12:
	v_lshlrev_b32_e32 v1, 3, v0
	global_load_dwordx2 v[4:5], v1, s[0:1]
	v_mov_b32_e32 v1, s4
	s_waitcnt vmcnt(0)
	v_cmp_neq_f64_e32 vcc, 0, v[4:5]
	s_nop 1
	v_cndmask_b32_e64 v2, 0, 1, vcc
	v_mov_b32_e32 v5, v2
.LBB345_13:
	s_or_b64 exec, exec, s[2:3]
	v_or_b32_e32 v4, 0x80, v0
	v_cmp_gt_u32_e32 vcc, s8, v4
	s_and_saveexec_b64 s[2:3], vcc
	s_cbranch_execz .LBB345_15
; %bb.14:
	v_lshlrev_b32_e32 v4, 3, v0
	global_load_dwordx2 v[6:7], v4, s[0:1] offset:1024
	v_lshrrev_b32_e32 v4, 24, v2
	v_mov_b32_e32 v9, 8
	v_lshrrev_b32_e32 v8, 16, v2
	s_movk_i32 s4, 0xff
	v_lshlrev_b16_e32 v4, 8, v4
	v_lshrrev_b32_sdwa v9, v9, v1 dst_sel:BYTE_1 dst_unused:UNUSED_PAD src0_sel:DWORD src1_sel:DWORD
	v_bfe_u32 v14, v1, 16, 8
	v_bitop3_b16 v4, v8, v4, s4 bitop3:0xec
	v_bitop3_b16 v1, v1, v9, s4 bitop3:0xec
	v_lshlrev_b32_e32 v4, 16, v4
	v_and_b32_e32 v1, 0xffff, v1
	v_lshl_or_b32 v1, v14, 16, v1
	s_waitcnt vmcnt(0)
	v_cmp_neq_f64_e32 vcc, 0, v[6:7]
	s_nop 1
	v_cndmask_b32_e64 v6, 0, 1, vcc
	v_lshlrev_b16_e32 v6, 8, v6
	v_bitop3_b16 v2, v2, v6, s4 bitop3:0xec
	v_or_b32_sdwa v2, v2, v4 dst_sel:DWORD dst_unused:UNUSED_PAD src0_sel:WORD_0 src1_sel:DWORD
.LBB345_15:
	s_or_b64 exec, exec, s[2:3]
	v_or_b32_e32 v4, 0x100, v0
	v_cmp_gt_u32_e32 vcc, s8, v4
	s_and_saveexec_b64 s[2:3], vcc
	s_cbranch_execz .LBB345_17
; %bb.16:
	v_lshlrev_b32_e32 v4, 3, v0
	global_load_dwordx2 v[6:7], v4, s[0:1] offset:2048
	v_mov_b32_e32 v8, 8
	v_lshrrev_b32_e32 v4, 24, v2
	s_movk_i32 s5, 0xff
	v_lshrrev_b32_sdwa v8, v8, v1 dst_sel:BYTE_1 dst_unused:UNUSED_PAD src0_sel:DWORD src1_sel:DWORD
	s_mov_b32 s4, 0xc0c0104
	v_bfe_u32 v9, v1, 16, 8
	v_lshlrev_b16_e32 v4, 8, v4
	v_bitop3_b16 v1, v1, v8, s5 bitop3:0xec
	v_perm_b32 v2, v2, v2, s4
	v_and_b32_e32 v1, 0xffff, v1
	v_lshl_or_b32 v1, v9, 16, v1
	s_waitcnt vmcnt(0)
	v_cmp_neq_f64_e32 vcc, 0, v[6:7]
	s_nop 1
	v_cndmask_b32_e64 v6, 0, 1, vcc
	v_or_b32_sdwa v4, v6, v4 dst_sel:WORD_1 dst_unused:UNUSED_PAD src0_sel:DWORD src1_sel:DWORD
	s_nop 0
	v_or_b32_e32 v2, v2, v4
.LBB345_17:
	s_or_b64 exec, exec, s[2:3]
	v_or_b32_e32 v4, 0x180, v0
	v_cmp_gt_u32_e32 vcc, s8, v4
	s_and_saveexec_b64 s[2:3], vcc
	s_cbranch_execz .LBB345_19
; %bb.18:
	v_lshlrev_b32_e32 v4, 3, v0
	global_load_dwordx2 v[6:7], v4, s[0:1] offset:3072
	v_mov_b32_e32 v8, 8
	v_lshrrev_b32_e32 v4, 16, v2
	s_movk_i32 s4, 0xff
	v_lshrrev_b32_sdwa v8, v8, v1 dst_sel:BYTE_1 dst_unused:UNUSED_PAD src0_sel:DWORD src1_sel:DWORD
	s_mov_b32 s5, 0xc0c0104
	v_bfe_u32 v9, v1, 16, 8
	v_bitop3_b16 v1, v1, v8, s4 bitop3:0xec
	v_perm_b32 v2, v2, v2, s5
	v_and_b32_e32 v1, 0xffff, v1
	v_lshl_or_b32 v1, v9, 16, v1
	s_waitcnt vmcnt(0)
	v_cmp_neq_f64_e32 vcc, 0, v[6:7]
	s_nop 1
	v_cndmask_b32_e64 v6, 0, 1, vcc
	v_lshlrev_b16_e32 v6, 8, v6
	v_bitop3_b16 v4, v4, v6, s4 bitop3:0xec
	v_lshlrev_b32_e32 v4, 16, v4
	v_or_b32_e32 v2, v2, v4
.LBB345_19:
	s_or_b64 exec, exec, s[2:3]
	v_or_b32_e32 v4, 0x200, v0
	v_cmp_gt_u32_e32 vcc, s8, v4
	s_and_saveexec_b64 s[2:3], vcc
	s_cbranch_execz .LBB345_21
; %bb.20:
	v_lshlrev_b32_e32 v4, 3, v4
	global_load_dwordx2 v[6:7], v4, s[0:1]
	v_mov_b32_e32 v4, 8
	v_bfe_u32 v8, v1, 16, 8
	v_lshrrev_b32_sdwa v1, v4, v1 dst_sel:BYTE_1 dst_unused:UNUSED_PAD src0_sel:DWORD src1_sel:DWORD
	s_mov_b32 s4, 0x3020104
	v_perm_b32 v2, v2, v2, s4
	s_waitcnt vmcnt(0)
	v_cmp_neq_f64_e32 vcc, 0, v[6:7]
	s_nop 1
	v_cndmask_b32_e64 v4, 0, 1, vcc
	v_or_b32_e32 v1, v4, v1
	v_and_b32_e32 v1, 0xffff, v1
	v_lshl_or_b32 v1, v8, 16, v1
.LBB345_21:
	s_or_b64 exec, exec, s[2:3]
	v_or_b32_e32 v4, 0x280, v0
	v_cmp_gt_u32_e32 vcc, s8, v4
	s_and_saveexec_b64 s[2:3], vcc
	s_cbranch_execz .LBB345_23
; %bb.22:
	v_lshlrev_b32_e32 v4, 3, v4
	global_load_dwordx2 v[6:7], v4, s[0:1]
	s_movk_i32 s4, 0xff
	v_bfe_u32 v4, v1, 16, 8
	s_mov_b32 s5, 0x3020104
	v_perm_b32 v2, v2, v2, s5
	s_waitcnt vmcnt(0)
	v_cmp_neq_f64_e32 vcc, 0, v[6:7]
	s_nop 1
	v_cndmask_b32_e64 v6, 0, 1, vcc
	v_lshlrev_b16_e32 v6, 8, v6
	v_bitop3_b16 v1, v1, v6, s4 bitop3:0xec
	v_and_b32_e32 v1, 0xffff, v1
	v_lshl_or_b32 v1, v4, 16, v1
.LBB345_23:
	s_or_b64 exec, exec, s[2:3]
	v_or_b32_e32 v4, 0x300, v0
	v_cmp_gt_u32_e32 vcc, s8, v4
	s_and_saveexec_b64 s[2:3], vcc
	s_cbranch_execz .LBB345_25
; %bb.24:
	v_lshlrev_b32_e32 v4, 3, v4
	global_load_dwordx2 v[6:7], v4, s[0:1]
	v_mov_b32_e32 v4, 8
	s_movk_i32 s0, 0xff
	v_lshrrev_b32_sdwa v4, v4, v1 dst_sel:BYTE_1 dst_unused:UNUSED_PAD src0_sel:DWORD src1_sel:DWORD
	s_mov_b32 s1, 0x3020104
	v_bitop3_b16 v1, v1, v4, s0 bitop3:0xec
	v_and_b32_e32 v1, 0xffff, v1
	v_perm_b32 v2, v2, v2, s1
	s_waitcnt vmcnt(0)
	v_cmp_neq_f64_e32 vcc, 0, v[6:7]
	s_nop 1
	v_cndmask_b32_e64 v4, 0, 1, vcc
	v_lshl_or_b32 v1, v4, 16, v1
.LBB345_25:
	s_or_b64 exec, exec, s[2:3]
	v_lshrrev_b32_e32 v4, 8, v2
	ds_write_b8 v0, v5
	ds_write_b8 v0, v4 offset:128
	ds_write_b8_d16_hi v0, v2 offset:256
	v_lshrrev_b32_e32 v2, 24, v2
	ds_write_b8 v0, v2 offset:384
	ds_write_b8 v0, v1 offset:512
	v_lshrrev_b32_e32 v2, 8, v1
	ds_write_b8 v0, v2 offset:640
	ds_write_b8_d16_hi v0, v1 offset:768
	s_waitcnt lgkmcnt(0)
	s_barrier
.LBB345_26:
	s_movk_i32 s0, 0xffcf
	v_mad_i32_i24 v1, v0, s0, v3
	ds_read_u8 v2, v1
	ds_read_u8 v3, v1 offset:1
	ds_read_u8 v4, v1 offset:2
	;; [unrolled: 1-line block ×6, first 2 shown]
	s_waitcnt lgkmcnt(6)
	v_and_b32_e32 v26, 1, v2
	v_mov_b32_e32 v27, 0
	s_waitcnt lgkmcnt(5)
	v_and_b32_e32 v24, 1, v3
	s_waitcnt lgkmcnt(4)
	v_and_b32_e32 v22, 1, v4
	;; [unrolled: 2-line block ×3, first 2 shown]
	v_mov_b32_e32 v21, v27
	v_add3_u32 v2, v24, v26, v22
	v_mov_b32_e32 v3, v27
	s_waitcnt lgkmcnt(2)
	v_and_b32_e32 v18, 1, v6
	v_mov_b32_e32 v19, v27
	v_lshl_add_u64 v[2:3], v[2:3], 0, v[20:21]
	s_waitcnt lgkmcnt(1)
	v_and_b32_e32 v16, 1, v7
	v_mov_b32_e32 v17, v27
	v_lshl_add_u64 v[2:3], v[2:3], 0, v[18:19]
	;; [unrolled: 4-line block ×3, first 2 shown]
	v_lshl_add_u64 v[28:29], v[2:3], 0, v[14:15]
	v_mbcnt_lo_u32_b32 v2, -1, 0
	v_mbcnt_hi_u32_b32 v15, -1, v2
	v_and_b32_e32 v41, 15, v15
	s_cmp_lg_u32 s24, 0
	v_mov_b32_e32 v25, v27
	v_mov_b32_e32 v23, v27
	v_cmp_eq_u32_e64 s[4:5], 0, v41
	v_cmp_lt_u32_e64 s[2:3], 1, v41
	v_cmp_lt_u32_e64 s[0:1], 3, v41
	;; [unrolled: 1-line block ×3, first 2 shown]
	v_and_b32_e32 v40, 16, v15
	v_cmp_eq_u32_e64 s[6:7], 0, v15
	v_cmp_ne_u32_e32 vcc, 0, v15
	s_barrier
	s_cbranch_scc0 .LBB345_54
; %bb.27:
	v_mov_b32_dpp v2, v28 row_shr:1 row_mask:0xf bank_mask:0xf
	v_mov_b32_e32 v3, v27
	v_mov_b32_dpp v5, v27 row_shr:1 row_mask:0xf bank_mask:0xf
	v_mov_b32_e32 v4, v27
	v_lshl_add_u64 v[2:3], v[28:29], 0, v[2:3]
	v_lshl_add_u64 v[4:5], v[4:5], 0, v[2:3]
	v_cndmask_b32_e64 v6, v5, 0, s[4:5]
	v_cndmask_b32_e64 v7, v2, v28, s[4:5]
	v_cndmask_b32_e64 v3, v5, v29, s[4:5]
	v_cndmask_b32_e64 v2, v4, v28, s[4:5]
	v_mov_b32_dpp v4, v7 row_shr:2 row_mask:0xf bank_mask:0xf
	v_mov_b32_dpp v5, v6 row_shr:2 row_mask:0xf bank_mask:0xf
	v_lshl_add_u64 v[4:5], v[4:5], 0, v[2:3]
	v_cndmask_b32_e64 v6, v6, v5, s[2:3]
	v_cndmask_b32_e64 v7, v7, v4, s[2:3]
	v_cndmask_b32_e64 v3, v3, v5, s[2:3]
	v_cndmask_b32_e64 v2, v2, v4, s[2:3]
	v_mov_b32_dpp v4, v7 row_shr:4 row_mask:0xf bank_mask:0xf
	v_mov_b32_dpp v5, v6 row_shr:4 row_mask:0xf bank_mask:0xf
	;; [unrolled: 7-line block ×3, first 2 shown]
	v_lshl_add_u64 v[4:5], v[4:5], 0, v[2:3]
	v_cndmask_b32_e64 v8, v6, v5, s[8:9]
	v_cndmask_b32_e64 v9, v7, v4, s[8:9]
	;; [unrolled: 1-line block ×4, first 2 shown]
	v_mov_b32_dpp v2, v9 row_bcast:15 row_mask:0xf bank_mask:0xf
	v_mov_b32_dpp v3, v8 row_bcast:15 row_mask:0xf bank_mask:0xf
	v_lshl_add_u64 v[6:7], v[2:3], 0, v[4:5]
	v_cmp_eq_u32_e64 s[0:1], 0, v40
	s_nop 1
	v_cndmask_b32_e64 v2, v7, v8, s[0:1]
	v_cndmask_b32_e64 v3, v6, v9, s[0:1]
	s_nop 0
	v_mov_b32_dpp v9, v2 row_bcast:31 row_mask:0xf bank_mask:0xf
	v_mov_b32_dpp v8, v3 row_bcast:31 row_mask:0xf bank_mask:0xf
	v_mov_b64_e32 v[2:3], v[28:29]
	s_and_saveexec_b64 s[8:9], vcc
; %bb.28:
	v_cmp_lt_u32_e32 vcc, 31, v15
	v_cndmask_b32_e64 v3, v7, v5, s[0:1]
	v_cndmask_b32_e64 v2, v6, v4, s[0:1]
	v_cndmask_b32_e32 v5, 0, v9, vcc
	v_cndmask_b32_e32 v4, 0, v8, vcc
	v_lshl_add_u64 v[2:3], v[4:5], 0, v[2:3]
; %bb.29:
	s_or_b64 exec, exec, s[8:9]
	v_or_b32_e32 v5, 63, v0
	v_lshrrev_b32_e32 v4, 6, v0
	v_cmp_eq_u32_e32 vcc, v0, v5
	s_and_saveexec_b64 s[0:1], vcc
; %bb.30:
	v_lshlrev_b32_e32 v5, 3, v4
	ds_write_b64 v5, v[2:3]
; %bb.31:
	s_or_b64 exec, exec, s[0:1]
	v_cmp_gt_u32_e32 vcc, 2, v0
	s_waitcnt lgkmcnt(0)
	s_barrier
	s_and_saveexec_b64 s[0:1], vcc
	s_cbranch_execz .LBB345_33
; %bb.32:
	v_lshlrev_b32_e32 v5, 3, v0
	ds_read_b64 v[6:7], v5
	v_and_b32_e32 v8, 1, v15
	v_cmp_eq_u32_e32 vcc, 1, v8
	s_waitcnt lgkmcnt(0)
	v_mov_b32_dpp v30, v6 row_shr:1 row_mask:0xf bank_mask:0xf
	v_mov_b32_dpp v9, v7 row_shr:1 row_mask:0xf bank_mask:0xf
	v_cndmask_b32_e32 v9, 0, v9, vcc
	v_cndmask_b32_e32 v8, 0, v30, vcc
	v_lshl_add_u64 v[6:7], v[8:9], 0, v[6:7]
	ds_write_b64 v5, v[6:7]
.LBB345_33:
	s_or_b64 exec, exec, s[0:1]
	v_cmp_gt_u32_e32 vcc, 64, v0
	v_cmp_lt_u32_e64 s[0:1], 63, v0
	s_waitcnt lgkmcnt(0)
	s_barrier
                                        ; implicit-def: $vgpr30_vgpr31
	s_and_saveexec_b64 s[8:9], s[0:1]
	s_cbranch_execz .LBB345_35
; %bb.34:
	v_lshl_add_u32 v4, v4, 3, -8
	ds_read_b64 v[30:31], v4
	s_waitcnt lgkmcnt(0)
	v_lshl_add_u64 v[2:3], v[30:31], 0, v[2:3]
.LBB345_35:
	s_or_b64 exec, exec, s[8:9]
	v_add_u32_e32 v4, -1, v15
	v_and_b32_e32 v5, 64, v15
	v_cmp_lt_i32_e64 s[0:1], v4, v5
	s_nop 1
	v_cndmask_b32_e64 v4, v4, v15, s[0:1]
	v_lshlrev_b32_e32 v4, 2, v4
	ds_bpermute_b32 v42, v4, v2
	ds_bpermute_b32 v43, v4, v3
	s_and_saveexec_b64 s[22:23], vcc
	s_cbranch_execz .LBB345_59
; %bb.36:
	v_mov_b32_e32 v5, 0
	ds_read_b64 v[2:3], v5 offset:8
	s_and_saveexec_b64 s[0:1], s[6:7]
	s_cbranch_execz .LBB345_38
; %bb.37:
	s_add_i32 s8, s24, 64
	s_mov_b32 s9, 0
	s_lshl_b64 s[8:9], s[8:9], 4
	s_add_u32 s8, s20, s8
	s_addc_u32 s9, s21, s9
	v_mov_b32_e32 v4, 1
	v_mov_b64_e32 v[6:7], s[8:9]
	s_waitcnt lgkmcnt(0)
	;;#ASMSTART
	global_store_dwordx4 v[6:7], v[2:5] off sc1	
s_waitcnt vmcnt(0)
	;;#ASMEND
.LBB345_38:
	s_or_b64 exec, exec, s[0:1]
	v_xad_u32 v32, v15, -1, s24
	v_add_u32_e32 v4, 64, v32
	v_lshl_add_u64 v[34:35], v[4:5], 4, s[20:21]
	;;#ASMSTART
	global_load_dwordx4 v[6:9], v[34:35] off sc1	
s_waitcnt vmcnt(0)
	;;#ASMEND
	s_nop 0
	v_cmp_eq_u16_sdwa s[8:9], v8, v5 src0_sel:BYTE_0 src1_sel:DWORD
	s_and_saveexec_b64 s[0:1], s[8:9]
	s_cbranch_execz .LBB345_42
; %bb.39:
	s_mov_b64 s[8:9], 0
	v_mov_b32_e32 v4, 0
.LBB345_40:                             ; =>This Inner Loop Header: Depth=1
	;;#ASMSTART
	global_load_dwordx4 v[6:9], v[34:35] off sc1	
s_waitcnt vmcnt(0)
	;;#ASMEND
	s_nop 0
	v_cmp_ne_u16_sdwa s[26:27], v8, v4 src0_sel:BYTE_0 src1_sel:DWORD
	s_or_b64 s[8:9], s[26:27], s[8:9]
	s_andn2_b64 exec, exec, s[8:9]
	s_cbranch_execnz .LBB345_40
; %bb.41:
	s_or_b64 exec, exec, s[8:9]
.LBB345_42:
	s_or_b64 exec, exec, s[0:1]
	v_mov_b32_e32 v44, 2
	v_cmp_eq_u16_sdwa s[0:1], v8, v44 src0_sel:BYTE_0 src1_sel:DWORD
	v_lshlrev_b64 v[34:35], v15, -1
	v_and_b32_e32 v45, 63, v15
	v_and_b32_e32 v4, s1, v35
	v_or_b32_e32 v4, 0x80000000, v4
	v_and_b32_e32 v5, s0, v34
	v_ffbl_b32_e32 v4, v4
	v_add_u32_e32 v4, 32, v4
	v_ffbl_b32_e32 v5, v5
	v_cmp_ne_u32_e32 vcc, 63, v45
	v_min_u32_e32 v9, v5, v4
	v_mov_b32_e32 v33, 0
	v_addc_co_u32_e32 v4, vcc, 0, v15, vcc
	v_lshlrev_b32_e32 v46, 2, v4
	ds_bpermute_b32 v4, v46, v6
	ds_bpermute_b32 v37, v46, v7
	v_mov_b32_e32 v5, v33
	v_mov_b32_e32 v36, v33
	v_cmp_lt_u32_e64 s[0:1], v45, v9
	s_waitcnt lgkmcnt(1)
	v_lshl_add_u64 v[4:5], v[6:7], 0, v[4:5]
	v_cmp_gt_u32_e32 vcc, 62, v45
	s_waitcnt lgkmcnt(0)
	v_lshl_add_u64 v[36:37], v[36:37], 0, v[4:5]
	v_cndmask_b32_e64 v49, v6, v4, s[0:1]
	v_cndmask_b32_e64 v4, 0, 2, vcc
	v_cndmask_b32_e64 v5, v7, v37, s[0:1]
	v_add_lshl_u32 v47, v4, v15, 2
	ds_bpermute_b32 v38, v47, v49
	ds_bpermute_b32 v39, v47, v5
	v_cndmask_b32_e64 v4, v6, v36, s[0:1]
	v_add_u32_e32 v48, 2, v45
	v_cmp_gt_u32_e32 vcc, v48, v9
	v_cmp_gt_u32_e64 s[8:9], 60, v45
	s_waitcnt lgkmcnt(0)
	v_lshl_add_u64 v[36:37], v[38:39], 0, v[4:5]
	v_cndmask_b32_e32 v5, v37, v5, vcc
	v_cndmask_b32_e64 v37, 0, 4, s[8:9]
	v_cndmask_b32_e32 v51, v36, v49, vcc
	v_add_lshl_u32 v49, v37, v15, 2
	ds_bpermute_b32 v38, v49, v51
	ds_bpermute_b32 v39, v49, v5
	v_cndmask_b32_e32 v4, v36, v4, vcc
	v_add_u32_e32 v50, 4, v45
	v_cmp_gt_u32_e32 vcc, v50, v9
	v_cmp_gt_u32_e64 s[8:9], 56, v45
	s_waitcnt lgkmcnt(0)
	v_lshl_add_u64 v[36:37], v[38:39], 0, v[4:5]
	v_cndmask_b32_e32 v5, v37, v5, vcc
	v_cndmask_b32_e64 v37, 0, 8, s[8:9]
	v_cndmask_b32_e32 v53, v36, v51, vcc
	v_add_lshl_u32 v51, v37, v15, 2
	ds_bpermute_b32 v38, v51, v53
	ds_bpermute_b32 v39, v51, v5
	v_cndmask_b32_e32 v4, v36, v4, vcc
	;; [unrolled: 12-line block ×3, first 2 shown]
	v_add_u32_e32 v54, 16, v45
	v_cmp_gt_u32_e32 vcc, v54, v9
	v_add_u32_e32 v56, 32, v45
	s_waitcnt lgkmcnt(0)
	v_lshl_add_u64 v[36:37], v[38:39], 0, v[4:5]
	v_cndmask_b32_e32 v38, v36, v55, vcc
	v_mov_b32_e32 v55, 0x80
	v_cndmask_b32_e32 v39, v37, v5, vcc
	v_lshl_or_b32 v55, v15, 2, v55
	ds_bpermute_b32 v38, v55, v38
	ds_bpermute_b32 v39, v55, v39
	s_and_saveexec_b64 s[8:9], s[0:1]
	s_cbranch_execz .LBB345_44
; %bb.43:
	v_cndmask_b32_e32 v5, v37, v5, vcc
	v_cndmask_b32_e32 v4, v36, v4, vcc
	v_cmp_le_u32_e32 vcc, v56, v9
	s_waitcnt lgkmcnt(0)
	s_nop 0
	v_cndmask_b32_e32 v7, 0, v39, vcc
	v_cndmask_b32_e32 v6, 0, v38, vcc
	v_lshl_add_u64 v[6:7], v[6:7], 0, v[4:5]
.LBB345_44:
	s_or_b64 exec, exec, s[8:9]
	s_branch .LBB345_47
.LBB345_45:                             ;   in Loop: Header=BB345_47 Depth=1
	s_or_b64 exec, exec, s[8:9]
	v_subrev_u32_e32 v32, 64, v32
	v_lshl_add_u64 v[6:7], v[6:7], 0, v[4:5]
	s_mov_b64 s[0:1], 0
.LBB345_46:                             ;   in Loop: Header=BB345_47 Depth=1
	s_and_b64 vcc, exec, s[0:1]
	s_cbranch_vccnz .LBB345_55
.LBB345_47:                             ; =>This Loop Header: Depth=1
                                        ;     Child Loop BB345_50 Depth 2
	v_cmp_ne_u16_sdwa s[0:1], v8, v44 src0_sel:BYTE_0 src1_sel:DWORD
	v_mov_b64_e32 v[4:5], v[6:7]
	s_cmp_lg_u64 s[0:1], exec
	s_mov_b64 s[0:1], -1
                                        ; implicit-def: $vgpr6_vgpr7
	s_cbranch_scc1 .LBB345_46
; %bb.48:                               ;   in Loop: Header=BB345_47 Depth=1
	v_lshl_add_u64 v[36:37], v[32:33], 4, s[20:21]
	;;#ASMSTART
	global_load_dwordx4 v[6:9], v[36:37] off sc1	
s_waitcnt vmcnt(0)
	;;#ASMEND
	s_nop 0
	v_cmp_eq_u16_sdwa s[8:9], v8, v33 src0_sel:BYTE_0 src1_sel:DWORD
	s_and_saveexec_b64 s[0:1], s[8:9]
	s_cbranch_execz .LBB345_52
; %bb.49:                               ;   in Loop: Header=BB345_47 Depth=1
	s_mov_b64 s[8:9], 0
.LBB345_50:                             ;   Parent Loop BB345_47 Depth=1
                                        ; =>  This Inner Loop Header: Depth=2
	;;#ASMSTART
	global_load_dwordx4 v[6:9], v[36:37] off sc1	
s_waitcnt vmcnt(0)
	;;#ASMEND
	s_nop 0
	v_cmp_ne_u16_sdwa s[26:27], v8, v33 src0_sel:BYTE_0 src1_sel:DWORD
	s_or_b64 s[8:9], s[26:27], s[8:9]
	s_andn2_b64 exec, exec, s[8:9]
	s_cbranch_execnz .LBB345_50
; %bb.51:                               ;   in Loop: Header=BB345_47 Depth=1
	s_or_b64 exec, exec, s[8:9]
.LBB345_52:                             ;   in Loop: Header=BB345_47 Depth=1
	s_or_b64 exec, exec, s[0:1]
	v_cmp_eq_u16_sdwa s[0:1], v8, v44 src0_sel:BYTE_0 src1_sel:DWORD
	s_waitcnt lgkmcnt(0)
	ds_bpermute_b32 v39, v46, v7
	v_mov_b32_e32 v38, v33
	v_and_b32_e32 v36, s0, v34
	v_and_b32_e32 v9, s1, v35
	v_ffbl_b32_e32 v37, v36
	ds_bpermute_b32 v36, v46, v6
	v_or_b32_e32 v9, 0x80000000, v9
	v_ffbl_b32_e32 v9, v9
	v_add_u32_e32 v9, 32, v9
	v_min_u32_e32 v9, v37, v9
	v_mov_b32_e32 v37, v33
	s_waitcnt lgkmcnt(0)
	v_lshl_add_u64 v[36:37], v[6:7], 0, v[36:37]
	v_lshl_add_u64 v[38:39], v[38:39], 0, v[36:37]
	v_cmp_lt_u32_e64 s[0:1], v45, v9
	v_cmp_gt_u32_e32 vcc, v48, v9
	s_nop 0
	v_cndmask_b32_e64 v57, v6, v36, s[0:1]
	v_cndmask_b32_e64 v37, v7, v39, s[0:1]
	ds_bpermute_b32 v58, v47, v57
	ds_bpermute_b32 v59, v47, v37
	v_cndmask_b32_e64 v36, v6, v38, s[0:1]
	s_waitcnt lgkmcnt(0)
	v_lshl_add_u64 v[38:39], v[58:59], 0, v[36:37]
	v_cndmask_b32_e32 v57, v38, v57, vcc
	v_cndmask_b32_e32 v37, v39, v37, vcc
	ds_bpermute_b32 v58, v49, v57
	ds_bpermute_b32 v59, v49, v37
	v_cndmask_b32_e32 v36, v38, v36, vcc
	v_cmp_gt_u32_e32 vcc, v50, v9
	s_waitcnt lgkmcnt(0)
	v_lshl_add_u64 v[38:39], v[58:59], 0, v[36:37]
	v_cndmask_b32_e32 v57, v38, v57, vcc
	v_cndmask_b32_e32 v37, v39, v37, vcc
	ds_bpermute_b32 v58, v51, v57
	ds_bpermute_b32 v59, v51, v37
	v_cndmask_b32_e32 v36, v38, v36, vcc
	v_cmp_gt_u32_e32 vcc, v52, v9
	;; [unrolled: 8-line block ×3, first 2 shown]
	s_waitcnt lgkmcnt(0)
	v_lshl_add_u64 v[38:39], v[58:59], 0, v[36:37]
	v_cndmask_b32_e32 v58, v39, v37, vcc
	v_cndmask_b32_e32 v57, v38, v57, vcc
	ds_bpermute_b32 v57, v55, v57
	ds_bpermute_b32 v58, v55, v58
	s_and_saveexec_b64 s[8:9], s[0:1]
	s_cbranch_execz .LBB345_45
; %bb.53:                               ;   in Loop: Header=BB345_47 Depth=1
	v_cndmask_b32_e32 v7, v39, v37, vcc
	v_cndmask_b32_e32 v6, v38, v36, vcc
	v_cmp_le_u32_e32 vcc, v56, v9
	s_waitcnt lgkmcnt(0)
	s_nop 0
	v_cndmask_b32_e32 v37, 0, v58, vcc
	v_cndmask_b32_e32 v36, 0, v57, vcc
	v_lshl_add_u64 v[6:7], v[36:37], 0, v[6:7]
	s_branch .LBB345_45
.LBB345_54:
                                        ; implicit-def: $vgpr6_vgpr7
                                        ; implicit-def: $vgpr8_vgpr9
                                        ; implicit-def: $vgpr30_vgpr31
                                        ; implicit-def: $vgpr32_vgpr33
                                        ; implicit-def: $vgpr34_vgpr35
                                        ; implicit-def: $vgpr36_vgpr37
                                        ; implicit-def: $vgpr38_vgpr39
                                        ; implicit-def: $vgpr4_vgpr5
	s_cbranch_execnz .LBB345_60
	s_branch .LBB345_71
.LBB345_55:
	s_and_saveexec_b64 s[0:1], s[6:7]
	s_cbranch_execz .LBB345_57
; %bb.56:
	s_add_i32 s8, s24, 64
	s_mov_b32 s9, 0
	s_lshl_b64 s[8:9], s[8:9], 4
	s_add_u32 s8, s20, s8
	s_addc_u32 s9, s21, s9
	v_lshl_add_u64 v[6:7], v[4:5], 0, v[2:3]
	v_mov_b32_e32 v8, 2
	v_mov_b32_e32 v9, 0
	v_mov_b64_e32 v[32:33], s[8:9]
	;;#ASMSTART
	global_store_dwordx4 v[32:33], v[6:9] off sc1	
s_waitcnt vmcnt(0)
	;;#ASMEND
	ds_write_b128 v9, v[2:5] offset:7168
.LBB345_57:
	s_or_b64 exec, exec, s[0:1]
	s_and_b64 exec, exec, s[10:11]
; %bb.58:
	v_mov_b32_e32 v2, 0
	ds_write_b64 v2, v[4:5] offset:8
.LBB345_59:
	s_or_b64 exec, exec, s[22:23]
	v_mov_b32_e32 v6, 0
	s_waitcnt lgkmcnt(0)
	s_barrier
	ds_read_b64 v[2:3], v6 offset:8
	v_cndmask_b32_e64 v4, v42, v30, s[6:7]
	v_cndmask_b32_e64 v5, v43, v31, s[6:7]
	;; [unrolled: 1-line block ×4, first 2 shown]
	s_waitcnt lgkmcnt(0)
	v_lshl_add_u64 v[38:39], v[2:3], 0, v[4:5]
	v_lshl_add_u64 v[36:37], v[38:39], 0, v[26:27]
	;; [unrolled: 1-line block ×3, first 2 shown]
	s_barrier
	ds_read_b128 v[2:5], v6 offset:7168
	v_lshl_add_u64 v[32:33], v[34:35], 0, v[22:23]
	v_lshl_add_u64 v[30:31], v[32:33], 0, v[20:21]
	;; [unrolled: 1-line block ×4, first 2 shown]
	s_branch .LBB345_71
.LBB345_60:
	s_waitcnt lgkmcnt(0)
	v_mov_b32_e32 v4, 0
	v_mov_b32_dpp v2, v28 row_shr:1 row_mask:0xf bank_mask:0xf
	v_mov_b32_e32 v3, v4
	v_mov_b32_dpp v5, v4 row_shr:1 row_mask:0xf bank_mask:0xf
	v_lshl_add_u64 v[2:3], v[28:29], 0, v[2:3]
	v_lshl_add_u64 v[4:5], v[4:5], 0, v[2:3]
	v_cndmask_b32_e64 v6, v5, 0, s[4:5]
	v_cndmask_b32_e64 v7, v2, v28, s[4:5]
	;; [unrolled: 1-line block ×4, first 2 shown]
	v_mov_b32_dpp v4, v7 row_shr:2 row_mask:0xf bank_mask:0xf
	v_mov_b32_dpp v5, v6 row_shr:2 row_mask:0xf bank_mask:0xf
	v_lshl_add_u64 v[4:5], v[4:5], 0, v[2:3]
	v_cndmask_b32_e64 v6, v6, v5, s[2:3]
	v_cndmask_b32_e64 v7, v7, v4, s[2:3]
	;; [unrolled: 1-line block ×4, first 2 shown]
	v_mov_b32_dpp v4, v7 row_shr:4 row_mask:0xf bank_mask:0xf
	v_mov_b32_dpp v5, v6 row_shr:4 row_mask:0xf bank_mask:0xf
	v_lshl_add_u64 v[4:5], v[4:5], 0, v[2:3]
	v_cmp_lt_u32_e32 vcc, 3, v41
	v_cmp_eq_u32_e64 s[0:1], 0, v40
	v_cmp_ne_u32_e64 s[2:3], 0, v15
	v_cndmask_b32_e32 v6, v6, v5, vcc
	v_cndmask_b32_e32 v7, v7, v4, vcc
	;; [unrolled: 1-line block ×4, first 2 shown]
	v_mov_b32_dpp v4, v7 row_shr:8 row_mask:0xf bank_mask:0xf
	v_mov_b32_dpp v5, v6 row_shr:8 row_mask:0xf bank_mask:0xf
	v_lshl_add_u64 v[4:5], v[4:5], 0, v[2:3]
	v_cmp_lt_u32_e32 vcc, 7, v41
	s_nop 1
	v_cndmask_b32_e32 v6, v6, v5, vcc
	v_cndmask_b32_e32 v7, v7, v4, vcc
	;; [unrolled: 1-line block ×4, first 2 shown]
	v_mov_b32_dpp v4, v7 row_bcast:15 row_mask:0xf bank_mask:0xf
	v_mov_b32_dpp v5, v6 row_bcast:15 row_mask:0xf bank_mask:0xf
	v_lshl_add_u64 v[4:5], v[4:5], 0, v[2:3]
	v_cndmask_b32_e64 v8, v5, v6, s[0:1]
	v_cndmask_b32_e64 v6, v4, v7, s[0:1]
	v_cmp_eq_u32_e32 vcc, 0, v15
	v_mov_b32_dpp v7, v8 row_bcast:31 row_mask:0xf bank_mask:0xf
	v_mov_b32_dpp v6, v6 row_bcast:31 row_mask:0xf bank_mask:0xf
	s_and_saveexec_b64 s[4:5], s[2:3]
; %bb.61:
	v_cndmask_b32_e64 v3, v5, v3, s[0:1]
	v_cndmask_b32_e64 v2, v4, v2, s[0:1]
	v_cmp_lt_u32_e64 s[0:1], 31, v15
	s_nop 1
	v_cndmask_b32_e64 v5, 0, v7, s[0:1]
	v_cndmask_b32_e64 v4, 0, v6, s[0:1]
	v_lshl_add_u64 v[28:29], v[4:5], 0, v[2:3]
; %bb.62:
	s_or_b64 exec, exec, s[4:5]
	v_or_b32_e32 v3, 63, v0
	v_lshrrev_b32_e32 v2, 6, v0
	v_cmp_eq_u32_e64 s[0:1], v0, v3
	s_and_saveexec_b64 s[2:3], s[0:1]
; %bb.63:
	v_lshlrev_b32_e32 v3, 3, v2
	ds_write_b64 v3, v[28:29]
; %bb.64:
	s_or_b64 exec, exec, s[2:3]
	v_cmp_gt_u32_e64 s[0:1], 2, v0
	s_waitcnt lgkmcnt(0)
	s_barrier
	s_and_saveexec_b64 s[2:3], s[0:1]
	s_cbranch_execz .LBB345_66
; %bb.65:
	v_add_u32_e32 v1, v1, v0
	ds_read_b64 v[4:5], v1
	v_and_b32_e32 v3, 1, v15
	v_cmp_eq_u32_e64 s[0:1], 1, v3
	s_waitcnt lgkmcnt(0)
	v_mov_b32_dpp v6, v4 row_shr:1 row_mask:0xf bank_mask:0xf
	v_mov_b32_dpp v7, v5 row_shr:1 row_mask:0xf bank_mask:0xf
	v_cndmask_b32_e64 v7, 0, v7, s[0:1]
	v_cndmask_b32_e64 v6, 0, v6, s[0:1]
	v_lshl_add_u64 v[4:5], v[6:7], 0, v[4:5]
	ds_write_b64 v1, v[4:5]
.LBB345_66:
	s_or_b64 exec, exec, s[2:3]
	v_cmp_lt_u32_e64 s[0:1], 63, v0
	v_mov_b64_e32 v[6:7], 0
	s_waitcnt lgkmcnt(0)
	s_barrier
	s_and_saveexec_b64 s[2:3], s[0:1]
; %bb.67:
	v_lshl_add_u32 v1, v2, 3, -8
	ds_read_b64 v[6:7], v1
; %bb.68:
	s_or_b64 exec, exec, s[2:3]
	v_add_u32_e32 v1, -1, v15
	v_and_b32_e32 v4, 64, v15
	v_cmp_lt_i32_e64 s[0:1], v1, v4
	s_waitcnt lgkmcnt(0)
	v_lshl_add_u64 v[2:3], v[6:7], 0, v[28:29]
	v_mov_b32_e32 v5, 0
	v_cndmask_b32_e64 v1, v1, v15, s[0:1]
	v_lshlrev_b32_e32 v4, 2, v1
	ds_bpermute_b32 v1, v4, v2
	ds_bpermute_b32 v8, v4, v3
	ds_read_b64 v[2:3], v5 offset:8
	s_and_saveexec_b64 s[0:1], s[10:11]
	s_cbranch_execz .LBB345_70
; %bb.69:
	s_add_u32 s2, s20, 0x400
	s_addc_u32 s3, s21, 0
	v_mov_b32_e32 v4, 2
	v_mov_b64_e32 v[28:29], s[2:3]
	s_waitcnt lgkmcnt(0)
	;;#ASMSTART
	global_store_dwordx4 v[28:29], v[2:5] off sc1	
s_waitcnt vmcnt(0)
	;;#ASMEND
.LBB345_70:
	s_or_b64 exec, exec, s[0:1]
	s_waitcnt lgkmcnt(2)
	v_cndmask_b32_e32 v1, v1, v6, vcc
	s_waitcnt lgkmcnt(1)
	v_cndmask_b32_e32 v4, v8, v7, vcc
	v_cndmask_b32_e64 v39, v4, 0, s[10:11]
	v_cndmask_b32_e64 v38, v1, 0, s[10:11]
	v_lshl_add_u64 v[36:37], v[38:39], 0, v[26:27]
	v_lshl_add_u64 v[34:35], v[36:37], 0, v[24:25]
	;; [unrolled: 1-line block ×6, first 2 shown]
	s_waitcnt lgkmcnt(0)
	s_barrier
	v_mov_b64_e32 v[4:5], 0
.LBB345_71:
	s_mov_b64 s[0:1], 0x81
	s_waitcnt lgkmcnt(0)
	v_cmp_gt_u64_e32 vcc, s[0:1], v[2:3]
	s_mov_b64 s[2:3], -1
	v_lshl_add_u64 v[28:29], v[4:5], 0, v[2:3]
	v_cmp_eq_u32_e64 s[0:1], 1, v26
	s_cbranch_vccnz .LBB345_75
; %bb.72:
	s_and_b64 vcc, exec, s[2:3]
	s_cbranch_vccnz .LBB345_90
.LBB345_73:
	s_and_b64 s[0:1], s[10:11], s[14:15]
	s_and_saveexec_b64 s[2:3], s[0:1]
	s_cbranch_execnz .LBB345_101
.LBB345_74:
	s_endpgm
.LBB345_75:
	v_cmp_lt_u64_e32 vcc, v[38:39], v[28:29]
	s_or_b64 s[2:3], s[18:19], vcc
	s_and_b64 s[2:3], s[2:3], s[0:1]
	s_and_saveexec_b64 s[0:1], s[2:3]
	s_cbranch_execz .LBB345_77
; %bb.76:
	s_waitcnt vmcnt(0)
	v_lshlrev_b64 v[40:41], 3, v[10:11]
	v_lshl_add_u64 v[40:41], s[16:17], 0, v[40:41]
	v_lshl_add_u64 v[40:41], v[38:39], 3, v[40:41]
	global_store_dwordx2 v[40:41], v[68:69], off
.LBB345_77:
	s_or_b64 exec, exec, s[0:1]
	v_cmp_lt_u64_e32 vcc, v[36:37], v[28:29]
	s_or_b64 s[0:1], s[18:19], vcc
	v_cmp_eq_u32_e32 vcc, 1, v24
	s_and_b64 s[2:3], s[0:1], vcc
	s_and_saveexec_b64 s[0:1], s[2:3]
	s_cbranch_execz .LBB345_79
; %bb.78:
	s_waitcnt vmcnt(0)
	v_lshlrev_b64 v[40:41], 3, v[10:11]
	v_lshl_add_u64 v[40:41], s[16:17], 0, v[40:41]
	v_lshl_add_u64 v[40:41], v[36:37], 3, v[40:41]
	global_store_dwordx2 v[40:41], v[70:71], off
.LBB345_79:
	s_or_b64 exec, exec, s[0:1]
	v_cmp_lt_u64_e32 vcc, v[34:35], v[28:29]
	s_or_b64 s[0:1], s[18:19], vcc
	v_cmp_eq_u32_e32 vcc, 1, v22
	s_and_b64 s[2:3], s[0:1], vcc
	;; [unrolled: 14-line block ×6, first 2 shown]
	s_and_saveexec_b64 s[0:1], s[2:3]
	s_cbranch_execz .LBB345_89
; %bb.88:
	s_waitcnt vmcnt(0)
	v_lshlrev_b64 v[40:41], 3, v[10:11]
	v_lshl_add_u64 v[40:41], s[16:17], 0, v[40:41]
	v_lshl_add_u64 v[40:41], v[6:7], 3, v[40:41]
	global_store_dwordx2 v[40:41], v[12:13], off
.LBB345_89:
	s_or_b64 exec, exec, s[0:1]
	s_branch .LBB345_73
.LBB345_90:
	v_cmp_eq_u32_e32 vcc, 1, v26
	s_and_saveexec_b64 s[0:1], vcc
	s_cbranch_execnz .LBB345_102
; %bb.91:
	s_or_b64 exec, exec, s[0:1]
	v_cmp_eq_u32_e32 vcc, 1, v24
	s_and_saveexec_b64 s[0:1], vcc
	s_cbranch_execnz .LBB345_103
.LBB345_92:
	s_or_b64 exec, exec, s[0:1]
	v_cmp_eq_u32_e32 vcc, 1, v22
	s_and_saveexec_b64 s[0:1], vcc
	s_cbranch_execnz .LBB345_104
.LBB345_93:
	s_or_b64 exec, exec, s[0:1]
	v_cmp_eq_u32_e32 vcc, 1, v20
	s_and_saveexec_b64 s[0:1], vcc
	s_cbranch_execnz .LBB345_105
.LBB345_94:
	s_or_b64 exec, exec, s[0:1]
	v_cmp_eq_u32_e32 vcc, 1, v18
	s_and_saveexec_b64 s[0:1], vcc
	s_cbranch_execnz .LBB345_106
.LBB345_95:
	s_or_b64 exec, exec, s[0:1]
	v_cmp_eq_u32_e32 vcc, 1, v16
	s_and_saveexec_b64 s[0:1], vcc
	s_cbranch_execnz .LBB345_107
.LBB345_96:
	s_or_b64 exec, exec, s[0:1]
	v_cmp_eq_u32_e32 vcc, 1, v14
	s_and_saveexec_b64 s[0:1], vcc
.LBB345_97:
	v_sub_u32_e32 v1, v6, v4
	v_lshlrev_b32_e32 v1, 3, v1
	ds_write_b64 v1, v[12:13]
.LBB345_98:
	s_or_b64 exec, exec, s[0:1]
	v_lshlrev_b64 v[4:5], 3, v[4:5]
	v_mov_b32_e32 v1, 0
	v_lshl_add_u64 v[4:5], s[16:17], 0, v[4:5]
	s_waitcnt vmcnt(0)
	v_lshlrev_b64 v[8:9], 3, v[10:11]
	v_mov_b64_e32 v[6:7], v[0:1]
	v_lshl_add_u64 v[4:5], v[4:5], 0, v[8:9]
	v_or_b32_e32 v0, 0x80, v0
	s_mov_b64 s[0:1], 0
	s_waitcnt lgkmcnt(0)
	s_barrier
.LBB345_99:                             ; =>This Inner Loop Header: Depth=1
	v_lshlrev_b32_e32 v12, 3, v6
	ds_read_b64 v[12:13], v12
	v_cmp_le_u64_e32 vcc, v[2:3], v[0:1]
	v_lshl_add_u64 v[8:9], v[6:7], 3, v[4:5]
	v_mov_b64_e32 v[6:7], v[0:1]
	v_add_u32_e32 v0, 0x80, v0
	s_or_b64 s[0:1], vcc, s[0:1]
	s_waitcnt lgkmcnt(0)
	global_store_dwordx2 v[8:9], v[12:13], off
	s_andn2_b64 exec, exec, s[0:1]
	s_cbranch_execnz .LBB345_99
; %bb.100:
	s_or_b64 exec, exec, s[0:1]
	s_and_b64 s[0:1], s[10:11], s[14:15]
	s_and_saveexec_b64 s[2:3], s[0:1]
	s_cbranch_execz .LBB345_74
.LBB345_101:
	v_mov_b32_e32 v2, 0
	s_waitcnt vmcnt(0)
	v_lshl_add_u64 v[0:1], v[28:29], 0, v[10:11]
	global_store_dwordx2 v2, v[0:1], s[12:13]
	s_endpgm
.LBB345_102:
	v_sub_u32_e32 v1, v38, v4
	v_lshlrev_b32_e32 v1, 3, v1
	ds_write_b64 v1, v[68:69]
	s_or_b64 exec, exec, s[0:1]
	v_cmp_eq_u32_e32 vcc, 1, v24
	s_and_saveexec_b64 s[0:1], vcc
	s_cbranch_execz .LBB345_92
.LBB345_103:
	v_sub_u32_e32 v1, v36, v4
	v_lshlrev_b32_e32 v1, 3, v1
	ds_write_b64 v1, v[70:71]
	s_or_b64 exec, exec, s[0:1]
	v_cmp_eq_u32_e32 vcc, 1, v22
	s_and_saveexec_b64 s[0:1], vcc
	s_cbranch_execz .LBB345_93
.LBB345_104:
	v_sub_u32_e32 v1, v34, v4
	v_lshlrev_b32_e32 v1, 3, v1
	ds_write_b64 v1, v[64:65]
	s_or_b64 exec, exec, s[0:1]
	v_cmp_eq_u32_e32 vcc, 1, v20
	s_and_saveexec_b64 s[0:1], vcc
	s_cbranch_execz .LBB345_94
.LBB345_105:
	v_sub_u32_e32 v1, v32, v4
	v_lshlrev_b32_e32 v1, 3, v1
	ds_write_b64 v1, v[66:67]
	s_or_b64 exec, exec, s[0:1]
	v_cmp_eq_u32_e32 vcc, 1, v18
	s_and_saveexec_b64 s[0:1], vcc
	s_cbranch_execz .LBB345_95
.LBB345_106:
	v_sub_u32_e32 v1, v30, v4
	v_lshlrev_b32_e32 v1, 3, v1
	ds_write_b64 v1, v[60:61]
	s_or_b64 exec, exec, s[0:1]
	v_cmp_eq_u32_e32 vcc, 1, v16
	s_and_saveexec_b64 s[0:1], vcc
	s_cbranch_execz .LBB345_96
.LBB345_107:
	v_sub_u32_e32 v1, v8, v4
	v_lshlrev_b32_e32 v1, 3, v1
	ds_write_b64 v1, v[62:63]
	s_or_b64 exec, exec, s[0:1]
	v_cmp_eq_u32_e32 vcc, 1, v14
	s_and_saveexec_b64 s[0:1], vcc
	s_cbranch_execnz .LBB345_97
	s_branch .LBB345_98
	.section	.rodata,"a",@progbits
	.p2align	6, 0x0
	.amdhsa_kernel _ZN7rocprim17ROCPRIM_400000_NS6detail17trampoline_kernelINS0_14default_configENS1_25partition_config_selectorILNS1_17partition_subalgoE5ElNS0_10empty_typeEbEEZZNS1_14partition_implILS5_5ELb0ES3_mN6hipcub16HIPCUB_304000_NS21CountingInputIteratorIllEEPS6_NSA_22TransformInputIteratorIb7NonZeroIdEPdlEENS0_5tupleIJPlS6_EEENSJ_IJSD_SD_EEES6_SK_JS6_EEE10hipError_tPvRmT3_T4_T5_T6_T7_T9_mT8_P12ihipStream_tbDpT10_ENKUlT_T0_E_clISt17integral_constantIbLb0EES15_IbLb1EEEEDaS11_S12_EUlS11_E_NS1_11comp_targetILNS1_3genE0ELNS1_11target_archE4294967295ELNS1_3gpuE0ELNS1_3repE0EEENS1_30default_config_static_selectorELNS0_4arch9wavefront6targetE1EEEvT1_
		.amdhsa_group_segment_fixed_size 7184
		.amdhsa_private_segment_fixed_size 0
		.amdhsa_kernarg_size 136
		.amdhsa_user_sgpr_count 2
		.amdhsa_user_sgpr_dispatch_ptr 0
		.amdhsa_user_sgpr_queue_ptr 0
		.amdhsa_user_sgpr_kernarg_segment_ptr 1
		.amdhsa_user_sgpr_dispatch_id 0
		.amdhsa_user_sgpr_kernarg_preload_length 0
		.amdhsa_user_sgpr_kernarg_preload_offset 0
		.amdhsa_user_sgpr_private_segment_size 0
		.amdhsa_uses_dynamic_stack 0
		.amdhsa_enable_private_segment 0
		.amdhsa_system_sgpr_workgroup_id_x 1
		.amdhsa_system_sgpr_workgroup_id_y 0
		.amdhsa_system_sgpr_workgroup_id_z 0
		.amdhsa_system_sgpr_workgroup_info 0
		.amdhsa_system_vgpr_workitem_id 0
		.amdhsa_next_free_vgpr 72
		.amdhsa_next_free_sgpr 28
		.amdhsa_accum_offset 72
		.amdhsa_reserve_vcc 1
		.amdhsa_float_round_mode_32 0
		.amdhsa_float_round_mode_16_64 0
		.amdhsa_float_denorm_mode_32 3
		.amdhsa_float_denorm_mode_16_64 3
		.amdhsa_dx10_clamp 1
		.amdhsa_ieee_mode 1
		.amdhsa_fp16_overflow 0
		.amdhsa_tg_split 0
		.amdhsa_exception_fp_ieee_invalid_op 0
		.amdhsa_exception_fp_denorm_src 0
		.amdhsa_exception_fp_ieee_div_zero 0
		.amdhsa_exception_fp_ieee_overflow 0
		.amdhsa_exception_fp_ieee_underflow 0
		.amdhsa_exception_fp_ieee_inexact 0
		.amdhsa_exception_int_div_zero 0
	.end_amdhsa_kernel
	.section	.text._ZN7rocprim17ROCPRIM_400000_NS6detail17trampoline_kernelINS0_14default_configENS1_25partition_config_selectorILNS1_17partition_subalgoE5ElNS0_10empty_typeEbEEZZNS1_14partition_implILS5_5ELb0ES3_mN6hipcub16HIPCUB_304000_NS21CountingInputIteratorIllEEPS6_NSA_22TransformInputIteratorIb7NonZeroIdEPdlEENS0_5tupleIJPlS6_EEENSJ_IJSD_SD_EEES6_SK_JS6_EEE10hipError_tPvRmT3_T4_T5_T6_T7_T9_mT8_P12ihipStream_tbDpT10_ENKUlT_T0_E_clISt17integral_constantIbLb0EES15_IbLb1EEEEDaS11_S12_EUlS11_E_NS1_11comp_targetILNS1_3genE0ELNS1_11target_archE4294967295ELNS1_3gpuE0ELNS1_3repE0EEENS1_30default_config_static_selectorELNS0_4arch9wavefront6targetE1EEEvT1_,"axG",@progbits,_ZN7rocprim17ROCPRIM_400000_NS6detail17trampoline_kernelINS0_14default_configENS1_25partition_config_selectorILNS1_17partition_subalgoE5ElNS0_10empty_typeEbEEZZNS1_14partition_implILS5_5ELb0ES3_mN6hipcub16HIPCUB_304000_NS21CountingInputIteratorIllEEPS6_NSA_22TransformInputIteratorIb7NonZeroIdEPdlEENS0_5tupleIJPlS6_EEENSJ_IJSD_SD_EEES6_SK_JS6_EEE10hipError_tPvRmT3_T4_T5_T6_T7_T9_mT8_P12ihipStream_tbDpT10_ENKUlT_T0_E_clISt17integral_constantIbLb0EES15_IbLb1EEEEDaS11_S12_EUlS11_E_NS1_11comp_targetILNS1_3genE0ELNS1_11target_archE4294967295ELNS1_3gpuE0ELNS1_3repE0EEENS1_30default_config_static_selectorELNS0_4arch9wavefront6targetE1EEEvT1_,comdat
.Lfunc_end345:
	.size	_ZN7rocprim17ROCPRIM_400000_NS6detail17trampoline_kernelINS0_14default_configENS1_25partition_config_selectorILNS1_17partition_subalgoE5ElNS0_10empty_typeEbEEZZNS1_14partition_implILS5_5ELb0ES3_mN6hipcub16HIPCUB_304000_NS21CountingInputIteratorIllEEPS6_NSA_22TransformInputIteratorIb7NonZeroIdEPdlEENS0_5tupleIJPlS6_EEENSJ_IJSD_SD_EEES6_SK_JS6_EEE10hipError_tPvRmT3_T4_T5_T6_T7_T9_mT8_P12ihipStream_tbDpT10_ENKUlT_T0_E_clISt17integral_constantIbLb0EES15_IbLb1EEEEDaS11_S12_EUlS11_E_NS1_11comp_targetILNS1_3genE0ELNS1_11target_archE4294967295ELNS1_3gpuE0ELNS1_3repE0EEENS1_30default_config_static_selectorELNS0_4arch9wavefront6targetE1EEEvT1_, .Lfunc_end345-_ZN7rocprim17ROCPRIM_400000_NS6detail17trampoline_kernelINS0_14default_configENS1_25partition_config_selectorILNS1_17partition_subalgoE5ElNS0_10empty_typeEbEEZZNS1_14partition_implILS5_5ELb0ES3_mN6hipcub16HIPCUB_304000_NS21CountingInputIteratorIllEEPS6_NSA_22TransformInputIteratorIb7NonZeroIdEPdlEENS0_5tupleIJPlS6_EEENSJ_IJSD_SD_EEES6_SK_JS6_EEE10hipError_tPvRmT3_T4_T5_T6_T7_T9_mT8_P12ihipStream_tbDpT10_ENKUlT_T0_E_clISt17integral_constantIbLb0EES15_IbLb1EEEEDaS11_S12_EUlS11_E_NS1_11comp_targetILNS1_3genE0ELNS1_11target_archE4294967295ELNS1_3gpuE0ELNS1_3repE0EEENS1_30default_config_static_selectorELNS0_4arch9wavefront6targetE1EEEvT1_
                                        ; -- End function
	.set _ZN7rocprim17ROCPRIM_400000_NS6detail17trampoline_kernelINS0_14default_configENS1_25partition_config_selectorILNS1_17partition_subalgoE5ElNS0_10empty_typeEbEEZZNS1_14partition_implILS5_5ELb0ES3_mN6hipcub16HIPCUB_304000_NS21CountingInputIteratorIllEEPS6_NSA_22TransformInputIteratorIb7NonZeroIdEPdlEENS0_5tupleIJPlS6_EEENSJ_IJSD_SD_EEES6_SK_JS6_EEE10hipError_tPvRmT3_T4_T5_T6_T7_T9_mT8_P12ihipStream_tbDpT10_ENKUlT_T0_E_clISt17integral_constantIbLb0EES15_IbLb1EEEEDaS11_S12_EUlS11_E_NS1_11comp_targetILNS1_3genE0ELNS1_11target_archE4294967295ELNS1_3gpuE0ELNS1_3repE0EEENS1_30default_config_static_selectorELNS0_4arch9wavefront6targetE1EEEvT1_.num_vgpr, 72
	.set _ZN7rocprim17ROCPRIM_400000_NS6detail17trampoline_kernelINS0_14default_configENS1_25partition_config_selectorILNS1_17partition_subalgoE5ElNS0_10empty_typeEbEEZZNS1_14partition_implILS5_5ELb0ES3_mN6hipcub16HIPCUB_304000_NS21CountingInputIteratorIllEEPS6_NSA_22TransformInputIteratorIb7NonZeroIdEPdlEENS0_5tupleIJPlS6_EEENSJ_IJSD_SD_EEES6_SK_JS6_EEE10hipError_tPvRmT3_T4_T5_T6_T7_T9_mT8_P12ihipStream_tbDpT10_ENKUlT_T0_E_clISt17integral_constantIbLb0EES15_IbLb1EEEEDaS11_S12_EUlS11_E_NS1_11comp_targetILNS1_3genE0ELNS1_11target_archE4294967295ELNS1_3gpuE0ELNS1_3repE0EEENS1_30default_config_static_selectorELNS0_4arch9wavefront6targetE1EEEvT1_.num_agpr, 0
	.set _ZN7rocprim17ROCPRIM_400000_NS6detail17trampoline_kernelINS0_14default_configENS1_25partition_config_selectorILNS1_17partition_subalgoE5ElNS0_10empty_typeEbEEZZNS1_14partition_implILS5_5ELb0ES3_mN6hipcub16HIPCUB_304000_NS21CountingInputIteratorIllEEPS6_NSA_22TransformInputIteratorIb7NonZeroIdEPdlEENS0_5tupleIJPlS6_EEENSJ_IJSD_SD_EEES6_SK_JS6_EEE10hipError_tPvRmT3_T4_T5_T6_T7_T9_mT8_P12ihipStream_tbDpT10_ENKUlT_T0_E_clISt17integral_constantIbLb0EES15_IbLb1EEEEDaS11_S12_EUlS11_E_NS1_11comp_targetILNS1_3genE0ELNS1_11target_archE4294967295ELNS1_3gpuE0ELNS1_3repE0EEENS1_30default_config_static_selectorELNS0_4arch9wavefront6targetE1EEEvT1_.numbered_sgpr, 28
	.set _ZN7rocprim17ROCPRIM_400000_NS6detail17trampoline_kernelINS0_14default_configENS1_25partition_config_selectorILNS1_17partition_subalgoE5ElNS0_10empty_typeEbEEZZNS1_14partition_implILS5_5ELb0ES3_mN6hipcub16HIPCUB_304000_NS21CountingInputIteratorIllEEPS6_NSA_22TransformInputIteratorIb7NonZeroIdEPdlEENS0_5tupleIJPlS6_EEENSJ_IJSD_SD_EEES6_SK_JS6_EEE10hipError_tPvRmT3_T4_T5_T6_T7_T9_mT8_P12ihipStream_tbDpT10_ENKUlT_T0_E_clISt17integral_constantIbLb0EES15_IbLb1EEEEDaS11_S12_EUlS11_E_NS1_11comp_targetILNS1_3genE0ELNS1_11target_archE4294967295ELNS1_3gpuE0ELNS1_3repE0EEENS1_30default_config_static_selectorELNS0_4arch9wavefront6targetE1EEEvT1_.num_named_barrier, 0
	.set _ZN7rocprim17ROCPRIM_400000_NS6detail17trampoline_kernelINS0_14default_configENS1_25partition_config_selectorILNS1_17partition_subalgoE5ElNS0_10empty_typeEbEEZZNS1_14partition_implILS5_5ELb0ES3_mN6hipcub16HIPCUB_304000_NS21CountingInputIteratorIllEEPS6_NSA_22TransformInputIteratorIb7NonZeroIdEPdlEENS0_5tupleIJPlS6_EEENSJ_IJSD_SD_EEES6_SK_JS6_EEE10hipError_tPvRmT3_T4_T5_T6_T7_T9_mT8_P12ihipStream_tbDpT10_ENKUlT_T0_E_clISt17integral_constantIbLb0EES15_IbLb1EEEEDaS11_S12_EUlS11_E_NS1_11comp_targetILNS1_3genE0ELNS1_11target_archE4294967295ELNS1_3gpuE0ELNS1_3repE0EEENS1_30default_config_static_selectorELNS0_4arch9wavefront6targetE1EEEvT1_.private_seg_size, 0
	.set _ZN7rocprim17ROCPRIM_400000_NS6detail17trampoline_kernelINS0_14default_configENS1_25partition_config_selectorILNS1_17partition_subalgoE5ElNS0_10empty_typeEbEEZZNS1_14partition_implILS5_5ELb0ES3_mN6hipcub16HIPCUB_304000_NS21CountingInputIteratorIllEEPS6_NSA_22TransformInputIteratorIb7NonZeroIdEPdlEENS0_5tupleIJPlS6_EEENSJ_IJSD_SD_EEES6_SK_JS6_EEE10hipError_tPvRmT3_T4_T5_T6_T7_T9_mT8_P12ihipStream_tbDpT10_ENKUlT_T0_E_clISt17integral_constantIbLb0EES15_IbLb1EEEEDaS11_S12_EUlS11_E_NS1_11comp_targetILNS1_3genE0ELNS1_11target_archE4294967295ELNS1_3gpuE0ELNS1_3repE0EEENS1_30default_config_static_selectorELNS0_4arch9wavefront6targetE1EEEvT1_.uses_vcc, 1
	.set _ZN7rocprim17ROCPRIM_400000_NS6detail17trampoline_kernelINS0_14default_configENS1_25partition_config_selectorILNS1_17partition_subalgoE5ElNS0_10empty_typeEbEEZZNS1_14partition_implILS5_5ELb0ES3_mN6hipcub16HIPCUB_304000_NS21CountingInputIteratorIllEEPS6_NSA_22TransformInputIteratorIb7NonZeroIdEPdlEENS0_5tupleIJPlS6_EEENSJ_IJSD_SD_EEES6_SK_JS6_EEE10hipError_tPvRmT3_T4_T5_T6_T7_T9_mT8_P12ihipStream_tbDpT10_ENKUlT_T0_E_clISt17integral_constantIbLb0EES15_IbLb1EEEEDaS11_S12_EUlS11_E_NS1_11comp_targetILNS1_3genE0ELNS1_11target_archE4294967295ELNS1_3gpuE0ELNS1_3repE0EEENS1_30default_config_static_selectorELNS0_4arch9wavefront6targetE1EEEvT1_.uses_flat_scratch, 0
	.set _ZN7rocprim17ROCPRIM_400000_NS6detail17trampoline_kernelINS0_14default_configENS1_25partition_config_selectorILNS1_17partition_subalgoE5ElNS0_10empty_typeEbEEZZNS1_14partition_implILS5_5ELb0ES3_mN6hipcub16HIPCUB_304000_NS21CountingInputIteratorIllEEPS6_NSA_22TransformInputIteratorIb7NonZeroIdEPdlEENS0_5tupleIJPlS6_EEENSJ_IJSD_SD_EEES6_SK_JS6_EEE10hipError_tPvRmT3_T4_T5_T6_T7_T9_mT8_P12ihipStream_tbDpT10_ENKUlT_T0_E_clISt17integral_constantIbLb0EES15_IbLb1EEEEDaS11_S12_EUlS11_E_NS1_11comp_targetILNS1_3genE0ELNS1_11target_archE4294967295ELNS1_3gpuE0ELNS1_3repE0EEENS1_30default_config_static_selectorELNS0_4arch9wavefront6targetE1EEEvT1_.has_dyn_sized_stack, 0
	.set _ZN7rocprim17ROCPRIM_400000_NS6detail17trampoline_kernelINS0_14default_configENS1_25partition_config_selectorILNS1_17partition_subalgoE5ElNS0_10empty_typeEbEEZZNS1_14partition_implILS5_5ELb0ES3_mN6hipcub16HIPCUB_304000_NS21CountingInputIteratorIllEEPS6_NSA_22TransformInputIteratorIb7NonZeroIdEPdlEENS0_5tupleIJPlS6_EEENSJ_IJSD_SD_EEES6_SK_JS6_EEE10hipError_tPvRmT3_T4_T5_T6_T7_T9_mT8_P12ihipStream_tbDpT10_ENKUlT_T0_E_clISt17integral_constantIbLb0EES15_IbLb1EEEEDaS11_S12_EUlS11_E_NS1_11comp_targetILNS1_3genE0ELNS1_11target_archE4294967295ELNS1_3gpuE0ELNS1_3repE0EEENS1_30default_config_static_selectorELNS0_4arch9wavefront6targetE1EEEvT1_.has_recursion, 0
	.set _ZN7rocprim17ROCPRIM_400000_NS6detail17trampoline_kernelINS0_14default_configENS1_25partition_config_selectorILNS1_17partition_subalgoE5ElNS0_10empty_typeEbEEZZNS1_14partition_implILS5_5ELb0ES3_mN6hipcub16HIPCUB_304000_NS21CountingInputIteratorIllEEPS6_NSA_22TransformInputIteratorIb7NonZeroIdEPdlEENS0_5tupleIJPlS6_EEENSJ_IJSD_SD_EEES6_SK_JS6_EEE10hipError_tPvRmT3_T4_T5_T6_T7_T9_mT8_P12ihipStream_tbDpT10_ENKUlT_T0_E_clISt17integral_constantIbLb0EES15_IbLb1EEEEDaS11_S12_EUlS11_E_NS1_11comp_targetILNS1_3genE0ELNS1_11target_archE4294967295ELNS1_3gpuE0ELNS1_3repE0EEENS1_30default_config_static_selectorELNS0_4arch9wavefront6targetE1EEEvT1_.has_indirect_call, 0
	.section	.AMDGPU.csdata,"",@progbits
; Kernel info:
; codeLenInByte = 6260
; TotalNumSgprs: 34
; NumVgprs: 72
; NumAgprs: 0
; TotalNumVgprs: 72
; ScratchSize: 0
; MemoryBound: 0
; FloatMode: 240
; IeeeMode: 1
; LDSByteSize: 7184 bytes/workgroup (compile time only)
; SGPRBlocks: 4
; VGPRBlocks: 8
; NumSGPRsForWavesPerEU: 34
; NumVGPRsForWavesPerEU: 72
; AccumOffset: 72
; Occupancy: 7
; WaveLimiterHint : 1
; COMPUTE_PGM_RSRC2:SCRATCH_EN: 0
; COMPUTE_PGM_RSRC2:USER_SGPR: 2
; COMPUTE_PGM_RSRC2:TRAP_HANDLER: 0
; COMPUTE_PGM_RSRC2:TGID_X_EN: 1
; COMPUTE_PGM_RSRC2:TGID_Y_EN: 0
; COMPUTE_PGM_RSRC2:TGID_Z_EN: 0
; COMPUTE_PGM_RSRC2:TIDIG_COMP_CNT: 0
; COMPUTE_PGM_RSRC3_GFX90A:ACCUM_OFFSET: 17
; COMPUTE_PGM_RSRC3_GFX90A:TG_SPLIT: 0
	.section	.text._ZN7rocprim17ROCPRIM_400000_NS6detail17trampoline_kernelINS0_14default_configENS1_25partition_config_selectorILNS1_17partition_subalgoE5ElNS0_10empty_typeEbEEZZNS1_14partition_implILS5_5ELb0ES3_mN6hipcub16HIPCUB_304000_NS21CountingInputIteratorIllEEPS6_NSA_22TransformInputIteratorIb7NonZeroIdEPdlEENS0_5tupleIJPlS6_EEENSJ_IJSD_SD_EEES6_SK_JS6_EEE10hipError_tPvRmT3_T4_T5_T6_T7_T9_mT8_P12ihipStream_tbDpT10_ENKUlT_T0_E_clISt17integral_constantIbLb0EES15_IbLb1EEEEDaS11_S12_EUlS11_E_NS1_11comp_targetILNS1_3genE5ELNS1_11target_archE942ELNS1_3gpuE9ELNS1_3repE0EEENS1_30default_config_static_selectorELNS0_4arch9wavefront6targetE1EEEvT1_,"axG",@progbits,_ZN7rocprim17ROCPRIM_400000_NS6detail17trampoline_kernelINS0_14default_configENS1_25partition_config_selectorILNS1_17partition_subalgoE5ElNS0_10empty_typeEbEEZZNS1_14partition_implILS5_5ELb0ES3_mN6hipcub16HIPCUB_304000_NS21CountingInputIteratorIllEEPS6_NSA_22TransformInputIteratorIb7NonZeroIdEPdlEENS0_5tupleIJPlS6_EEENSJ_IJSD_SD_EEES6_SK_JS6_EEE10hipError_tPvRmT3_T4_T5_T6_T7_T9_mT8_P12ihipStream_tbDpT10_ENKUlT_T0_E_clISt17integral_constantIbLb0EES15_IbLb1EEEEDaS11_S12_EUlS11_E_NS1_11comp_targetILNS1_3genE5ELNS1_11target_archE942ELNS1_3gpuE9ELNS1_3repE0EEENS1_30default_config_static_selectorELNS0_4arch9wavefront6targetE1EEEvT1_,comdat
	.protected	_ZN7rocprim17ROCPRIM_400000_NS6detail17trampoline_kernelINS0_14default_configENS1_25partition_config_selectorILNS1_17partition_subalgoE5ElNS0_10empty_typeEbEEZZNS1_14partition_implILS5_5ELb0ES3_mN6hipcub16HIPCUB_304000_NS21CountingInputIteratorIllEEPS6_NSA_22TransformInputIteratorIb7NonZeroIdEPdlEENS0_5tupleIJPlS6_EEENSJ_IJSD_SD_EEES6_SK_JS6_EEE10hipError_tPvRmT3_T4_T5_T6_T7_T9_mT8_P12ihipStream_tbDpT10_ENKUlT_T0_E_clISt17integral_constantIbLb0EES15_IbLb1EEEEDaS11_S12_EUlS11_E_NS1_11comp_targetILNS1_3genE5ELNS1_11target_archE942ELNS1_3gpuE9ELNS1_3repE0EEENS1_30default_config_static_selectorELNS0_4arch9wavefront6targetE1EEEvT1_ ; -- Begin function _ZN7rocprim17ROCPRIM_400000_NS6detail17trampoline_kernelINS0_14default_configENS1_25partition_config_selectorILNS1_17partition_subalgoE5ElNS0_10empty_typeEbEEZZNS1_14partition_implILS5_5ELb0ES3_mN6hipcub16HIPCUB_304000_NS21CountingInputIteratorIllEEPS6_NSA_22TransformInputIteratorIb7NonZeroIdEPdlEENS0_5tupleIJPlS6_EEENSJ_IJSD_SD_EEES6_SK_JS6_EEE10hipError_tPvRmT3_T4_T5_T6_T7_T9_mT8_P12ihipStream_tbDpT10_ENKUlT_T0_E_clISt17integral_constantIbLb0EES15_IbLb1EEEEDaS11_S12_EUlS11_E_NS1_11comp_targetILNS1_3genE5ELNS1_11target_archE942ELNS1_3gpuE9ELNS1_3repE0EEENS1_30default_config_static_selectorELNS0_4arch9wavefront6targetE1EEEvT1_
	.globl	_ZN7rocprim17ROCPRIM_400000_NS6detail17trampoline_kernelINS0_14default_configENS1_25partition_config_selectorILNS1_17partition_subalgoE5ElNS0_10empty_typeEbEEZZNS1_14partition_implILS5_5ELb0ES3_mN6hipcub16HIPCUB_304000_NS21CountingInputIteratorIllEEPS6_NSA_22TransformInputIteratorIb7NonZeroIdEPdlEENS0_5tupleIJPlS6_EEENSJ_IJSD_SD_EEES6_SK_JS6_EEE10hipError_tPvRmT3_T4_T5_T6_T7_T9_mT8_P12ihipStream_tbDpT10_ENKUlT_T0_E_clISt17integral_constantIbLb0EES15_IbLb1EEEEDaS11_S12_EUlS11_E_NS1_11comp_targetILNS1_3genE5ELNS1_11target_archE942ELNS1_3gpuE9ELNS1_3repE0EEENS1_30default_config_static_selectorELNS0_4arch9wavefront6targetE1EEEvT1_
	.p2align	8
	.type	_ZN7rocprim17ROCPRIM_400000_NS6detail17trampoline_kernelINS0_14default_configENS1_25partition_config_selectorILNS1_17partition_subalgoE5ElNS0_10empty_typeEbEEZZNS1_14partition_implILS5_5ELb0ES3_mN6hipcub16HIPCUB_304000_NS21CountingInputIteratorIllEEPS6_NSA_22TransformInputIteratorIb7NonZeroIdEPdlEENS0_5tupleIJPlS6_EEENSJ_IJSD_SD_EEES6_SK_JS6_EEE10hipError_tPvRmT3_T4_T5_T6_T7_T9_mT8_P12ihipStream_tbDpT10_ENKUlT_T0_E_clISt17integral_constantIbLb0EES15_IbLb1EEEEDaS11_S12_EUlS11_E_NS1_11comp_targetILNS1_3genE5ELNS1_11target_archE942ELNS1_3gpuE9ELNS1_3repE0EEENS1_30default_config_static_selectorELNS0_4arch9wavefront6targetE1EEEvT1_,@function
_ZN7rocprim17ROCPRIM_400000_NS6detail17trampoline_kernelINS0_14default_configENS1_25partition_config_selectorILNS1_17partition_subalgoE5ElNS0_10empty_typeEbEEZZNS1_14partition_implILS5_5ELb0ES3_mN6hipcub16HIPCUB_304000_NS21CountingInputIteratorIllEEPS6_NSA_22TransformInputIteratorIb7NonZeroIdEPdlEENS0_5tupleIJPlS6_EEENSJ_IJSD_SD_EEES6_SK_JS6_EEE10hipError_tPvRmT3_T4_T5_T6_T7_T9_mT8_P12ihipStream_tbDpT10_ENKUlT_T0_E_clISt17integral_constantIbLb0EES15_IbLb1EEEEDaS11_S12_EUlS11_E_NS1_11comp_targetILNS1_3genE5ELNS1_11target_archE942ELNS1_3gpuE9ELNS1_3repE0EEENS1_30default_config_static_selectorELNS0_4arch9wavefront6targetE1EEEvT1_: ; @_ZN7rocprim17ROCPRIM_400000_NS6detail17trampoline_kernelINS0_14default_configENS1_25partition_config_selectorILNS1_17partition_subalgoE5ElNS0_10empty_typeEbEEZZNS1_14partition_implILS5_5ELb0ES3_mN6hipcub16HIPCUB_304000_NS21CountingInputIteratorIllEEPS6_NSA_22TransformInputIteratorIb7NonZeroIdEPdlEENS0_5tupleIJPlS6_EEENSJ_IJSD_SD_EEES6_SK_JS6_EEE10hipError_tPvRmT3_T4_T5_T6_T7_T9_mT8_P12ihipStream_tbDpT10_ENKUlT_T0_E_clISt17integral_constantIbLb0EES15_IbLb1EEEEDaS11_S12_EUlS11_E_NS1_11comp_targetILNS1_3genE5ELNS1_11target_archE942ELNS1_3gpuE9ELNS1_3repE0EEENS1_30default_config_static_selectorELNS0_4arch9wavefront6targetE1EEEvT1_
; %bb.0:
	.section	.rodata,"a",@progbits
	.p2align	6, 0x0
	.amdhsa_kernel _ZN7rocprim17ROCPRIM_400000_NS6detail17trampoline_kernelINS0_14default_configENS1_25partition_config_selectorILNS1_17partition_subalgoE5ElNS0_10empty_typeEbEEZZNS1_14partition_implILS5_5ELb0ES3_mN6hipcub16HIPCUB_304000_NS21CountingInputIteratorIllEEPS6_NSA_22TransformInputIteratorIb7NonZeroIdEPdlEENS0_5tupleIJPlS6_EEENSJ_IJSD_SD_EEES6_SK_JS6_EEE10hipError_tPvRmT3_T4_T5_T6_T7_T9_mT8_P12ihipStream_tbDpT10_ENKUlT_T0_E_clISt17integral_constantIbLb0EES15_IbLb1EEEEDaS11_S12_EUlS11_E_NS1_11comp_targetILNS1_3genE5ELNS1_11target_archE942ELNS1_3gpuE9ELNS1_3repE0EEENS1_30default_config_static_selectorELNS0_4arch9wavefront6targetE1EEEvT1_
		.amdhsa_group_segment_fixed_size 0
		.amdhsa_private_segment_fixed_size 0
		.amdhsa_kernarg_size 136
		.amdhsa_user_sgpr_count 2
		.amdhsa_user_sgpr_dispatch_ptr 0
		.amdhsa_user_sgpr_queue_ptr 0
		.amdhsa_user_sgpr_kernarg_segment_ptr 1
		.amdhsa_user_sgpr_dispatch_id 0
		.amdhsa_user_sgpr_kernarg_preload_length 0
		.amdhsa_user_sgpr_kernarg_preload_offset 0
		.amdhsa_user_sgpr_private_segment_size 0
		.amdhsa_uses_dynamic_stack 0
		.amdhsa_enable_private_segment 0
		.amdhsa_system_sgpr_workgroup_id_x 1
		.amdhsa_system_sgpr_workgroup_id_y 0
		.amdhsa_system_sgpr_workgroup_id_z 0
		.amdhsa_system_sgpr_workgroup_info 0
		.amdhsa_system_vgpr_workitem_id 0
		.amdhsa_next_free_vgpr 1
		.amdhsa_next_free_sgpr 0
		.amdhsa_accum_offset 4
		.amdhsa_reserve_vcc 0
		.amdhsa_float_round_mode_32 0
		.amdhsa_float_round_mode_16_64 0
		.amdhsa_float_denorm_mode_32 3
		.amdhsa_float_denorm_mode_16_64 3
		.amdhsa_dx10_clamp 1
		.amdhsa_ieee_mode 1
		.amdhsa_fp16_overflow 0
		.amdhsa_tg_split 0
		.amdhsa_exception_fp_ieee_invalid_op 0
		.amdhsa_exception_fp_denorm_src 0
		.amdhsa_exception_fp_ieee_div_zero 0
		.amdhsa_exception_fp_ieee_overflow 0
		.amdhsa_exception_fp_ieee_underflow 0
		.amdhsa_exception_fp_ieee_inexact 0
		.amdhsa_exception_int_div_zero 0
	.end_amdhsa_kernel
	.section	.text._ZN7rocprim17ROCPRIM_400000_NS6detail17trampoline_kernelINS0_14default_configENS1_25partition_config_selectorILNS1_17partition_subalgoE5ElNS0_10empty_typeEbEEZZNS1_14partition_implILS5_5ELb0ES3_mN6hipcub16HIPCUB_304000_NS21CountingInputIteratorIllEEPS6_NSA_22TransformInputIteratorIb7NonZeroIdEPdlEENS0_5tupleIJPlS6_EEENSJ_IJSD_SD_EEES6_SK_JS6_EEE10hipError_tPvRmT3_T4_T5_T6_T7_T9_mT8_P12ihipStream_tbDpT10_ENKUlT_T0_E_clISt17integral_constantIbLb0EES15_IbLb1EEEEDaS11_S12_EUlS11_E_NS1_11comp_targetILNS1_3genE5ELNS1_11target_archE942ELNS1_3gpuE9ELNS1_3repE0EEENS1_30default_config_static_selectorELNS0_4arch9wavefront6targetE1EEEvT1_,"axG",@progbits,_ZN7rocprim17ROCPRIM_400000_NS6detail17trampoline_kernelINS0_14default_configENS1_25partition_config_selectorILNS1_17partition_subalgoE5ElNS0_10empty_typeEbEEZZNS1_14partition_implILS5_5ELb0ES3_mN6hipcub16HIPCUB_304000_NS21CountingInputIteratorIllEEPS6_NSA_22TransformInputIteratorIb7NonZeroIdEPdlEENS0_5tupleIJPlS6_EEENSJ_IJSD_SD_EEES6_SK_JS6_EEE10hipError_tPvRmT3_T4_T5_T6_T7_T9_mT8_P12ihipStream_tbDpT10_ENKUlT_T0_E_clISt17integral_constantIbLb0EES15_IbLb1EEEEDaS11_S12_EUlS11_E_NS1_11comp_targetILNS1_3genE5ELNS1_11target_archE942ELNS1_3gpuE9ELNS1_3repE0EEENS1_30default_config_static_selectorELNS0_4arch9wavefront6targetE1EEEvT1_,comdat
.Lfunc_end346:
	.size	_ZN7rocprim17ROCPRIM_400000_NS6detail17trampoline_kernelINS0_14default_configENS1_25partition_config_selectorILNS1_17partition_subalgoE5ElNS0_10empty_typeEbEEZZNS1_14partition_implILS5_5ELb0ES3_mN6hipcub16HIPCUB_304000_NS21CountingInputIteratorIllEEPS6_NSA_22TransformInputIteratorIb7NonZeroIdEPdlEENS0_5tupleIJPlS6_EEENSJ_IJSD_SD_EEES6_SK_JS6_EEE10hipError_tPvRmT3_T4_T5_T6_T7_T9_mT8_P12ihipStream_tbDpT10_ENKUlT_T0_E_clISt17integral_constantIbLb0EES15_IbLb1EEEEDaS11_S12_EUlS11_E_NS1_11comp_targetILNS1_3genE5ELNS1_11target_archE942ELNS1_3gpuE9ELNS1_3repE0EEENS1_30default_config_static_selectorELNS0_4arch9wavefront6targetE1EEEvT1_, .Lfunc_end346-_ZN7rocprim17ROCPRIM_400000_NS6detail17trampoline_kernelINS0_14default_configENS1_25partition_config_selectorILNS1_17partition_subalgoE5ElNS0_10empty_typeEbEEZZNS1_14partition_implILS5_5ELb0ES3_mN6hipcub16HIPCUB_304000_NS21CountingInputIteratorIllEEPS6_NSA_22TransformInputIteratorIb7NonZeroIdEPdlEENS0_5tupleIJPlS6_EEENSJ_IJSD_SD_EEES6_SK_JS6_EEE10hipError_tPvRmT3_T4_T5_T6_T7_T9_mT8_P12ihipStream_tbDpT10_ENKUlT_T0_E_clISt17integral_constantIbLb0EES15_IbLb1EEEEDaS11_S12_EUlS11_E_NS1_11comp_targetILNS1_3genE5ELNS1_11target_archE942ELNS1_3gpuE9ELNS1_3repE0EEENS1_30default_config_static_selectorELNS0_4arch9wavefront6targetE1EEEvT1_
                                        ; -- End function
	.set _ZN7rocprim17ROCPRIM_400000_NS6detail17trampoline_kernelINS0_14default_configENS1_25partition_config_selectorILNS1_17partition_subalgoE5ElNS0_10empty_typeEbEEZZNS1_14partition_implILS5_5ELb0ES3_mN6hipcub16HIPCUB_304000_NS21CountingInputIteratorIllEEPS6_NSA_22TransformInputIteratorIb7NonZeroIdEPdlEENS0_5tupleIJPlS6_EEENSJ_IJSD_SD_EEES6_SK_JS6_EEE10hipError_tPvRmT3_T4_T5_T6_T7_T9_mT8_P12ihipStream_tbDpT10_ENKUlT_T0_E_clISt17integral_constantIbLb0EES15_IbLb1EEEEDaS11_S12_EUlS11_E_NS1_11comp_targetILNS1_3genE5ELNS1_11target_archE942ELNS1_3gpuE9ELNS1_3repE0EEENS1_30default_config_static_selectorELNS0_4arch9wavefront6targetE1EEEvT1_.num_vgpr, 0
	.set _ZN7rocprim17ROCPRIM_400000_NS6detail17trampoline_kernelINS0_14default_configENS1_25partition_config_selectorILNS1_17partition_subalgoE5ElNS0_10empty_typeEbEEZZNS1_14partition_implILS5_5ELb0ES3_mN6hipcub16HIPCUB_304000_NS21CountingInputIteratorIllEEPS6_NSA_22TransformInputIteratorIb7NonZeroIdEPdlEENS0_5tupleIJPlS6_EEENSJ_IJSD_SD_EEES6_SK_JS6_EEE10hipError_tPvRmT3_T4_T5_T6_T7_T9_mT8_P12ihipStream_tbDpT10_ENKUlT_T0_E_clISt17integral_constantIbLb0EES15_IbLb1EEEEDaS11_S12_EUlS11_E_NS1_11comp_targetILNS1_3genE5ELNS1_11target_archE942ELNS1_3gpuE9ELNS1_3repE0EEENS1_30default_config_static_selectorELNS0_4arch9wavefront6targetE1EEEvT1_.num_agpr, 0
	.set _ZN7rocprim17ROCPRIM_400000_NS6detail17trampoline_kernelINS0_14default_configENS1_25partition_config_selectorILNS1_17partition_subalgoE5ElNS0_10empty_typeEbEEZZNS1_14partition_implILS5_5ELb0ES3_mN6hipcub16HIPCUB_304000_NS21CountingInputIteratorIllEEPS6_NSA_22TransformInputIteratorIb7NonZeroIdEPdlEENS0_5tupleIJPlS6_EEENSJ_IJSD_SD_EEES6_SK_JS6_EEE10hipError_tPvRmT3_T4_T5_T6_T7_T9_mT8_P12ihipStream_tbDpT10_ENKUlT_T0_E_clISt17integral_constantIbLb0EES15_IbLb1EEEEDaS11_S12_EUlS11_E_NS1_11comp_targetILNS1_3genE5ELNS1_11target_archE942ELNS1_3gpuE9ELNS1_3repE0EEENS1_30default_config_static_selectorELNS0_4arch9wavefront6targetE1EEEvT1_.numbered_sgpr, 0
	.set _ZN7rocprim17ROCPRIM_400000_NS6detail17trampoline_kernelINS0_14default_configENS1_25partition_config_selectorILNS1_17partition_subalgoE5ElNS0_10empty_typeEbEEZZNS1_14partition_implILS5_5ELb0ES3_mN6hipcub16HIPCUB_304000_NS21CountingInputIteratorIllEEPS6_NSA_22TransformInputIteratorIb7NonZeroIdEPdlEENS0_5tupleIJPlS6_EEENSJ_IJSD_SD_EEES6_SK_JS6_EEE10hipError_tPvRmT3_T4_T5_T6_T7_T9_mT8_P12ihipStream_tbDpT10_ENKUlT_T0_E_clISt17integral_constantIbLb0EES15_IbLb1EEEEDaS11_S12_EUlS11_E_NS1_11comp_targetILNS1_3genE5ELNS1_11target_archE942ELNS1_3gpuE9ELNS1_3repE0EEENS1_30default_config_static_selectorELNS0_4arch9wavefront6targetE1EEEvT1_.num_named_barrier, 0
	.set _ZN7rocprim17ROCPRIM_400000_NS6detail17trampoline_kernelINS0_14default_configENS1_25partition_config_selectorILNS1_17partition_subalgoE5ElNS0_10empty_typeEbEEZZNS1_14partition_implILS5_5ELb0ES3_mN6hipcub16HIPCUB_304000_NS21CountingInputIteratorIllEEPS6_NSA_22TransformInputIteratorIb7NonZeroIdEPdlEENS0_5tupleIJPlS6_EEENSJ_IJSD_SD_EEES6_SK_JS6_EEE10hipError_tPvRmT3_T4_T5_T6_T7_T9_mT8_P12ihipStream_tbDpT10_ENKUlT_T0_E_clISt17integral_constantIbLb0EES15_IbLb1EEEEDaS11_S12_EUlS11_E_NS1_11comp_targetILNS1_3genE5ELNS1_11target_archE942ELNS1_3gpuE9ELNS1_3repE0EEENS1_30default_config_static_selectorELNS0_4arch9wavefront6targetE1EEEvT1_.private_seg_size, 0
	.set _ZN7rocprim17ROCPRIM_400000_NS6detail17trampoline_kernelINS0_14default_configENS1_25partition_config_selectorILNS1_17partition_subalgoE5ElNS0_10empty_typeEbEEZZNS1_14partition_implILS5_5ELb0ES3_mN6hipcub16HIPCUB_304000_NS21CountingInputIteratorIllEEPS6_NSA_22TransformInputIteratorIb7NonZeroIdEPdlEENS0_5tupleIJPlS6_EEENSJ_IJSD_SD_EEES6_SK_JS6_EEE10hipError_tPvRmT3_T4_T5_T6_T7_T9_mT8_P12ihipStream_tbDpT10_ENKUlT_T0_E_clISt17integral_constantIbLb0EES15_IbLb1EEEEDaS11_S12_EUlS11_E_NS1_11comp_targetILNS1_3genE5ELNS1_11target_archE942ELNS1_3gpuE9ELNS1_3repE0EEENS1_30default_config_static_selectorELNS0_4arch9wavefront6targetE1EEEvT1_.uses_vcc, 0
	.set _ZN7rocprim17ROCPRIM_400000_NS6detail17trampoline_kernelINS0_14default_configENS1_25partition_config_selectorILNS1_17partition_subalgoE5ElNS0_10empty_typeEbEEZZNS1_14partition_implILS5_5ELb0ES3_mN6hipcub16HIPCUB_304000_NS21CountingInputIteratorIllEEPS6_NSA_22TransformInputIteratorIb7NonZeroIdEPdlEENS0_5tupleIJPlS6_EEENSJ_IJSD_SD_EEES6_SK_JS6_EEE10hipError_tPvRmT3_T4_T5_T6_T7_T9_mT8_P12ihipStream_tbDpT10_ENKUlT_T0_E_clISt17integral_constantIbLb0EES15_IbLb1EEEEDaS11_S12_EUlS11_E_NS1_11comp_targetILNS1_3genE5ELNS1_11target_archE942ELNS1_3gpuE9ELNS1_3repE0EEENS1_30default_config_static_selectorELNS0_4arch9wavefront6targetE1EEEvT1_.uses_flat_scratch, 0
	.set _ZN7rocprim17ROCPRIM_400000_NS6detail17trampoline_kernelINS0_14default_configENS1_25partition_config_selectorILNS1_17partition_subalgoE5ElNS0_10empty_typeEbEEZZNS1_14partition_implILS5_5ELb0ES3_mN6hipcub16HIPCUB_304000_NS21CountingInputIteratorIllEEPS6_NSA_22TransformInputIteratorIb7NonZeroIdEPdlEENS0_5tupleIJPlS6_EEENSJ_IJSD_SD_EEES6_SK_JS6_EEE10hipError_tPvRmT3_T4_T5_T6_T7_T9_mT8_P12ihipStream_tbDpT10_ENKUlT_T0_E_clISt17integral_constantIbLb0EES15_IbLb1EEEEDaS11_S12_EUlS11_E_NS1_11comp_targetILNS1_3genE5ELNS1_11target_archE942ELNS1_3gpuE9ELNS1_3repE0EEENS1_30default_config_static_selectorELNS0_4arch9wavefront6targetE1EEEvT1_.has_dyn_sized_stack, 0
	.set _ZN7rocprim17ROCPRIM_400000_NS6detail17trampoline_kernelINS0_14default_configENS1_25partition_config_selectorILNS1_17partition_subalgoE5ElNS0_10empty_typeEbEEZZNS1_14partition_implILS5_5ELb0ES3_mN6hipcub16HIPCUB_304000_NS21CountingInputIteratorIllEEPS6_NSA_22TransformInputIteratorIb7NonZeroIdEPdlEENS0_5tupleIJPlS6_EEENSJ_IJSD_SD_EEES6_SK_JS6_EEE10hipError_tPvRmT3_T4_T5_T6_T7_T9_mT8_P12ihipStream_tbDpT10_ENKUlT_T0_E_clISt17integral_constantIbLb0EES15_IbLb1EEEEDaS11_S12_EUlS11_E_NS1_11comp_targetILNS1_3genE5ELNS1_11target_archE942ELNS1_3gpuE9ELNS1_3repE0EEENS1_30default_config_static_selectorELNS0_4arch9wavefront6targetE1EEEvT1_.has_recursion, 0
	.set _ZN7rocprim17ROCPRIM_400000_NS6detail17trampoline_kernelINS0_14default_configENS1_25partition_config_selectorILNS1_17partition_subalgoE5ElNS0_10empty_typeEbEEZZNS1_14partition_implILS5_5ELb0ES3_mN6hipcub16HIPCUB_304000_NS21CountingInputIteratorIllEEPS6_NSA_22TransformInputIteratorIb7NonZeroIdEPdlEENS0_5tupleIJPlS6_EEENSJ_IJSD_SD_EEES6_SK_JS6_EEE10hipError_tPvRmT3_T4_T5_T6_T7_T9_mT8_P12ihipStream_tbDpT10_ENKUlT_T0_E_clISt17integral_constantIbLb0EES15_IbLb1EEEEDaS11_S12_EUlS11_E_NS1_11comp_targetILNS1_3genE5ELNS1_11target_archE942ELNS1_3gpuE9ELNS1_3repE0EEENS1_30default_config_static_selectorELNS0_4arch9wavefront6targetE1EEEvT1_.has_indirect_call, 0
	.section	.AMDGPU.csdata,"",@progbits
; Kernel info:
; codeLenInByte = 0
; TotalNumSgprs: 6
; NumVgprs: 0
; NumAgprs: 0
; TotalNumVgprs: 0
; ScratchSize: 0
; MemoryBound: 0
; FloatMode: 240
; IeeeMode: 1
; LDSByteSize: 0 bytes/workgroup (compile time only)
; SGPRBlocks: 0
; VGPRBlocks: 0
; NumSGPRsForWavesPerEU: 6
; NumVGPRsForWavesPerEU: 1
; AccumOffset: 4
; Occupancy: 8
; WaveLimiterHint : 0
; COMPUTE_PGM_RSRC2:SCRATCH_EN: 0
; COMPUTE_PGM_RSRC2:USER_SGPR: 2
; COMPUTE_PGM_RSRC2:TRAP_HANDLER: 0
; COMPUTE_PGM_RSRC2:TGID_X_EN: 1
; COMPUTE_PGM_RSRC2:TGID_Y_EN: 0
; COMPUTE_PGM_RSRC2:TGID_Z_EN: 0
; COMPUTE_PGM_RSRC2:TIDIG_COMP_CNT: 0
; COMPUTE_PGM_RSRC3_GFX90A:ACCUM_OFFSET: 0
; COMPUTE_PGM_RSRC3_GFX90A:TG_SPLIT: 0
	.section	.text._ZN7rocprim17ROCPRIM_400000_NS6detail17trampoline_kernelINS0_14default_configENS1_25partition_config_selectorILNS1_17partition_subalgoE5ElNS0_10empty_typeEbEEZZNS1_14partition_implILS5_5ELb0ES3_mN6hipcub16HIPCUB_304000_NS21CountingInputIteratorIllEEPS6_NSA_22TransformInputIteratorIb7NonZeroIdEPdlEENS0_5tupleIJPlS6_EEENSJ_IJSD_SD_EEES6_SK_JS6_EEE10hipError_tPvRmT3_T4_T5_T6_T7_T9_mT8_P12ihipStream_tbDpT10_ENKUlT_T0_E_clISt17integral_constantIbLb0EES15_IbLb1EEEEDaS11_S12_EUlS11_E_NS1_11comp_targetILNS1_3genE4ELNS1_11target_archE910ELNS1_3gpuE8ELNS1_3repE0EEENS1_30default_config_static_selectorELNS0_4arch9wavefront6targetE1EEEvT1_,"axG",@progbits,_ZN7rocprim17ROCPRIM_400000_NS6detail17trampoline_kernelINS0_14default_configENS1_25partition_config_selectorILNS1_17partition_subalgoE5ElNS0_10empty_typeEbEEZZNS1_14partition_implILS5_5ELb0ES3_mN6hipcub16HIPCUB_304000_NS21CountingInputIteratorIllEEPS6_NSA_22TransformInputIteratorIb7NonZeroIdEPdlEENS0_5tupleIJPlS6_EEENSJ_IJSD_SD_EEES6_SK_JS6_EEE10hipError_tPvRmT3_T4_T5_T6_T7_T9_mT8_P12ihipStream_tbDpT10_ENKUlT_T0_E_clISt17integral_constantIbLb0EES15_IbLb1EEEEDaS11_S12_EUlS11_E_NS1_11comp_targetILNS1_3genE4ELNS1_11target_archE910ELNS1_3gpuE8ELNS1_3repE0EEENS1_30default_config_static_selectorELNS0_4arch9wavefront6targetE1EEEvT1_,comdat
	.protected	_ZN7rocprim17ROCPRIM_400000_NS6detail17trampoline_kernelINS0_14default_configENS1_25partition_config_selectorILNS1_17partition_subalgoE5ElNS0_10empty_typeEbEEZZNS1_14partition_implILS5_5ELb0ES3_mN6hipcub16HIPCUB_304000_NS21CountingInputIteratorIllEEPS6_NSA_22TransformInputIteratorIb7NonZeroIdEPdlEENS0_5tupleIJPlS6_EEENSJ_IJSD_SD_EEES6_SK_JS6_EEE10hipError_tPvRmT3_T4_T5_T6_T7_T9_mT8_P12ihipStream_tbDpT10_ENKUlT_T0_E_clISt17integral_constantIbLb0EES15_IbLb1EEEEDaS11_S12_EUlS11_E_NS1_11comp_targetILNS1_3genE4ELNS1_11target_archE910ELNS1_3gpuE8ELNS1_3repE0EEENS1_30default_config_static_selectorELNS0_4arch9wavefront6targetE1EEEvT1_ ; -- Begin function _ZN7rocprim17ROCPRIM_400000_NS6detail17trampoline_kernelINS0_14default_configENS1_25partition_config_selectorILNS1_17partition_subalgoE5ElNS0_10empty_typeEbEEZZNS1_14partition_implILS5_5ELb0ES3_mN6hipcub16HIPCUB_304000_NS21CountingInputIteratorIllEEPS6_NSA_22TransformInputIteratorIb7NonZeroIdEPdlEENS0_5tupleIJPlS6_EEENSJ_IJSD_SD_EEES6_SK_JS6_EEE10hipError_tPvRmT3_T4_T5_T6_T7_T9_mT8_P12ihipStream_tbDpT10_ENKUlT_T0_E_clISt17integral_constantIbLb0EES15_IbLb1EEEEDaS11_S12_EUlS11_E_NS1_11comp_targetILNS1_3genE4ELNS1_11target_archE910ELNS1_3gpuE8ELNS1_3repE0EEENS1_30default_config_static_selectorELNS0_4arch9wavefront6targetE1EEEvT1_
	.globl	_ZN7rocprim17ROCPRIM_400000_NS6detail17trampoline_kernelINS0_14default_configENS1_25partition_config_selectorILNS1_17partition_subalgoE5ElNS0_10empty_typeEbEEZZNS1_14partition_implILS5_5ELb0ES3_mN6hipcub16HIPCUB_304000_NS21CountingInputIteratorIllEEPS6_NSA_22TransformInputIteratorIb7NonZeroIdEPdlEENS0_5tupleIJPlS6_EEENSJ_IJSD_SD_EEES6_SK_JS6_EEE10hipError_tPvRmT3_T4_T5_T6_T7_T9_mT8_P12ihipStream_tbDpT10_ENKUlT_T0_E_clISt17integral_constantIbLb0EES15_IbLb1EEEEDaS11_S12_EUlS11_E_NS1_11comp_targetILNS1_3genE4ELNS1_11target_archE910ELNS1_3gpuE8ELNS1_3repE0EEENS1_30default_config_static_selectorELNS0_4arch9wavefront6targetE1EEEvT1_
	.p2align	8
	.type	_ZN7rocprim17ROCPRIM_400000_NS6detail17trampoline_kernelINS0_14default_configENS1_25partition_config_selectorILNS1_17partition_subalgoE5ElNS0_10empty_typeEbEEZZNS1_14partition_implILS5_5ELb0ES3_mN6hipcub16HIPCUB_304000_NS21CountingInputIteratorIllEEPS6_NSA_22TransformInputIteratorIb7NonZeroIdEPdlEENS0_5tupleIJPlS6_EEENSJ_IJSD_SD_EEES6_SK_JS6_EEE10hipError_tPvRmT3_T4_T5_T6_T7_T9_mT8_P12ihipStream_tbDpT10_ENKUlT_T0_E_clISt17integral_constantIbLb0EES15_IbLb1EEEEDaS11_S12_EUlS11_E_NS1_11comp_targetILNS1_3genE4ELNS1_11target_archE910ELNS1_3gpuE8ELNS1_3repE0EEENS1_30default_config_static_selectorELNS0_4arch9wavefront6targetE1EEEvT1_,@function
_ZN7rocprim17ROCPRIM_400000_NS6detail17trampoline_kernelINS0_14default_configENS1_25partition_config_selectorILNS1_17partition_subalgoE5ElNS0_10empty_typeEbEEZZNS1_14partition_implILS5_5ELb0ES3_mN6hipcub16HIPCUB_304000_NS21CountingInputIteratorIllEEPS6_NSA_22TransformInputIteratorIb7NonZeroIdEPdlEENS0_5tupleIJPlS6_EEENSJ_IJSD_SD_EEES6_SK_JS6_EEE10hipError_tPvRmT3_T4_T5_T6_T7_T9_mT8_P12ihipStream_tbDpT10_ENKUlT_T0_E_clISt17integral_constantIbLb0EES15_IbLb1EEEEDaS11_S12_EUlS11_E_NS1_11comp_targetILNS1_3genE4ELNS1_11target_archE910ELNS1_3gpuE8ELNS1_3repE0EEENS1_30default_config_static_selectorELNS0_4arch9wavefront6targetE1EEEvT1_: ; @_ZN7rocprim17ROCPRIM_400000_NS6detail17trampoline_kernelINS0_14default_configENS1_25partition_config_selectorILNS1_17partition_subalgoE5ElNS0_10empty_typeEbEEZZNS1_14partition_implILS5_5ELb0ES3_mN6hipcub16HIPCUB_304000_NS21CountingInputIteratorIllEEPS6_NSA_22TransformInputIteratorIb7NonZeroIdEPdlEENS0_5tupleIJPlS6_EEENSJ_IJSD_SD_EEES6_SK_JS6_EEE10hipError_tPvRmT3_T4_T5_T6_T7_T9_mT8_P12ihipStream_tbDpT10_ENKUlT_T0_E_clISt17integral_constantIbLb0EES15_IbLb1EEEEDaS11_S12_EUlS11_E_NS1_11comp_targetILNS1_3genE4ELNS1_11target_archE910ELNS1_3gpuE8ELNS1_3repE0EEENS1_30default_config_static_selectorELNS0_4arch9wavefront6targetE1EEEvT1_
; %bb.0:
	.section	.rodata,"a",@progbits
	.p2align	6, 0x0
	.amdhsa_kernel _ZN7rocprim17ROCPRIM_400000_NS6detail17trampoline_kernelINS0_14default_configENS1_25partition_config_selectorILNS1_17partition_subalgoE5ElNS0_10empty_typeEbEEZZNS1_14partition_implILS5_5ELb0ES3_mN6hipcub16HIPCUB_304000_NS21CountingInputIteratorIllEEPS6_NSA_22TransformInputIteratorIb7NonZeroIdEPdlEENS0_5tupleIJPlS6_EEENSJ_IJSD_SD_EEES6_SK_JS6_EEE10hipError_tPvRmT3_T4_T5_T6_T7_T9_mT8_P12ihipStream_tbDpT10_ENKUlT_T0_E_clISt17integral_constantIbLb0EES15_IbLb1EEEEDaS11_S12_EUlS11_E_NS1_11comp_targetILNS1_3genE4ELNS1_11target_archE910ELNS1_3gpuE8ELNS1_3repE0EEENS1_30default_config_static_selectorELNS0_4arch9wavefront6targetE1EEEvT1_
		.amdhsa_group_segment_fixed_size 0
		.amdhsa_private_segment_fixed_size 0
		.amdhsa_kernarg_size 136
		.amdhsa_user_sgpr_count 2
		.amdhsa_user_sgpr_dispatch_ptr 0
		.amdhsa_user_sgpr_queue_ptr 0
		.amdhsa_user_sgpr_kernarg_segment_ptr 1
		.amdhsa_user_sgpr_dispatch_id 0
		.amdhsa_user_sgpr_kernarg_preload_length 0
		.amdhsa_user_sgpr_kernarg_preload_offset 0
		.amdhsa_user_sgpr_private_segment_size 0
		.amdhsa_uses_dynamic_stack 0
		.amdhsa_enable_private_segment 0
		.amdhsa_system_sgpr_workgroup_id_x 1
		.amdhsa_system_sgpr_workgroup_id_y 0
		.amdhsa_system_sgpr_workgroup_id_z 0
		.amdhsa_system_sgpr_workgroup_info 0
		.amdhsa_system_vgpr_workitem_id 0
		.amdhsa_next_free_vgpr 1
		.amdhsa_next_free_sgpr 0
		.amdhsa_accum_offset 4
		.amdhsa_reserve_vcc 0
		.amdhsa_float_round_mode_32 0
		.amdhsa_float_round_mode_16_64 0
		.amdhsa_float_denorm_mode_32 3
		.amdhsa_float_denorm_mode_16_64 3
		.amdhsa_dx10_clamp 1
		.amdhsa_ieee_mode 1
		.amdhsa_fp16_overflow 0
		.amdhsa_tg_split 0
		.amdhsa_exception_fp_ieee_invalid_op 0
		.amdhsa_exception_fp_denorm_src 0
		.amdhsa_exception_fp_ieee_div_zero 0
		.amdhsa_exception_fp_ieee_overflow 0
		.amdhsa_exception_fp_ieee_underflow 0
		.amdhsa_exception_fp_ieee_inexact 0
		.amdhsa_exception_int_div_zero 0
	.end_amdhsa_kernel
	.section	.text._ZN7rocprim17ROCPRIM_400000_NS6detail17trampoline_kernelINS0_14default_configENS1_25partition_config_selectorILNS1_17partition_subalgoE5ElNS0_10empty_typeEbEEZZNS1_14partition_implILS5_5ELb0ES3_mN6hipcub16HIPCUB_304000_NS21CountingInputIteratorIllEEPS6_NSA_22TransformInputIteratorIb7NonZeroIdEPdlEENS0_5tupleIJPlS6_EEENSJ_IJSD_SD_EEES6_SK_JS6_EEE10hipError_tPvRmT3_T4_T5_T6_T7_T9_mT8_P12ihipStream_tbDpT10_ENKUlT_T0_E_clISt17integral_constantIbLb0EES15_IbLb1EEEEDaS11_S12_EUlS11_E_NS1_11comp_targetILNS1_3genE4ELNS1_11target_archE910ELNS1_3gpuE8ELNS1_3repE0EEENS1_30default_config_static_selectorELNS0_4arch9wavefront6targetE1EEEvT1_,"axG",@progbits,_ZN7rocprim17ROCPRIM_400000_NS6detail17trampoline_kernelINS0_14default_configENS1_25partition_config_selectorILNS1_17partition_subalgoE5ElNS0_10empty_typeEbEEZZNS1_14partition_implILS5_5ELb0ES3_mN6hipcub16HIPCUB_304000_NS21CountingInputIteratorIllEEPS6_NSA_22TransformInputIteratorIb7NonZeroIdEPdlEENS0_5tupleIJPlS6_EEENSJ_IJSD_SD_EEES6_SK_JS6_EEE10hipError_tPvRmT3_T4_T5_T6_T7_T9_mT8_P12ihipStream_tbDpT10_ENKUlT_T0_E_clISt17integral_constantIbLb0EES15_IbLb1EEEEDaS11_S12_EUlS11_E_NS1_11comp_targetILNS1_3genE4ELNS1_11target_archE910ELNS1_3gpuE8ELNS1_3repE0EEENS1_30default_config_static_selectorELNS0_4arch9wavefront6targetE1EEEvT1_,comdat
.Lfunc_end347:
	.size	_ZN7rocprim17ROCPRIM_400000_NS6detail17trampoline_kernelINS0_14default_configENS1_25partition_config_selectorILNS1_17partition_subalgoE5ElNS0_10empty_typeEbEEZZNS1_14partition_implILS5_5ELb0ES3_mN6hipcub16HIPCUB_304000_NS21CountingInputIteratorIllEEPS6_NSA_22TransformInputIteratorIb7NonZeroIdEPdlEENS0_5tupleIJPlS6_EEENSJ_IJSD_SD_EEES6_SK_JS6_EEE10hipError_tPvRmT3_T4_T5_T6_T7_T9_mT8_P12ihipStream_tbDpT10_ENKUlT_T0_E_clISt17integral_constantIbLb0EES15_IbLb1EEEEDaS11_S12_EUlS11_E_NS1_11comp_targetILNS1_3genE4ELNS1_11target_archE910ELNS1_3gpuE8ELNS1_3repE0EEENS1_30default_config_static_selectorELNS0_4arch9wavefront6targetE1EEEvT1_, .Lfunc_end347-_ZN7rocprim17ROCPRIM_400000_NS6detail17trampoline_kernelINS0_14default_configENS1_25partition_config_selectorILNS1_17partition_subalgoE5ElNS0_10empty_typeEbEEZZNS1_14partition_implILS5_5ELb0ES3_mN6hipcub16HIPCUB_304000_NS21CountingInputIteratorIllEEPS6_NSA_22TransformInputIteratorIb7NonZeroIdEPdlEENS0_5tupleIJPlS6_EEENSJ_IJSD_SD_EEES6_SK_JS6_EEE10hipError_tPvRmT3_T4_T5_T6_T7_T9_mT8_P12ihipStream_tbDpT10_ENKUlT_T0_E_clISt17integral_constantIbLb0EES15_IbLb1EEEEDaS11_S12_EUlS11_E_NS1_11comp_targetILNS1_3genE4ELNS1_11target_archE910ELNS1_3gpuE8ELNS1_3repE0EEENS1_30default_config_static_selectorELNS0_4arch9wavefront6targetE1EEEvT1_
                                        ; -- End function
	.set _ZN7rocprim17ROCPRIM_400000_NS6detail17trampoline_kernelINS0_14default_configENS1_25partition_config_selectorILNS1_17partition_subalgoE5ElNS0_10empty_typeEbEEZZNS1_14partition_implILS5_5ELb0ES3_mN6hipcub16HIPCUB_304000_NS21CountingInputIteratorIllEEPS6_NSA_22TransformInputIteratorIb7NonZeroIdEPdlEENS0_5tupleIJPlS6_EEENSJ_IJSD_SD_EEES6_SK_JS6_EEE10hipError_tPvRmT3_T4_T5_T6_T7_T9_mT8_P12ihipStream_tbDpT10_ENKUlT_T0_E_clISt17integral_constantIbLb0EES15_IbLb1EEEEDaS11_S12_EUlS11_E_NS1_11comp_targetILNS1_3genE4ELNS1_11target_archE910ELNS1_3gpuE8ELNS1_3repE0EEENS1_30default_config_static_selectorELNS0_4arch9wavefront6targetE1EEEvT1_.num_vgpr, 0
	.set _ZN7rocprim17ROCPRIM_400000_NS6detail17trampoline_kernelINS0_14default_configENS1_25partition_config_selectorILNS1_17partition_subalgoE5ElNS0_10empty_typeEbEEZZNS1_14partition_implILS5_5ELb0ES3_mN6hipcub16HIPCUB_304000_NS21CountingInputIteratorIllEEPS6_NSA_22TransformInputIteratorIb7NonZeroIdEPdlEENS0_5tupleIJPlS6_EEENSJ_IJSD_SD_EEES6_SK_JS6_EEE10hipError_tPvRmT3_T4_T5_T6_T7_T9_mT8_P12ihipStream_tbDpT10_ENKUlT_T0_E_clISt17integral_constantIbLb0EES15_IbLb1EEEEDaS11_S12_EUlS11_E_NS1_11comp_targetILNS1_3genE4ELNS1_11target_archE910ELNS1_3gpuE8ELNS1_3repE0EEENS1_30default_config_static_selectorELNS0_4arch9wavefront6targetE1EEEvT1_.num_agpr, 0
	.set _ZN7rocprim17ROCPRIM_400000_NS6detail17trampoline_kernelINS0_14default_configENS1_25partition_config_selectorILNS1_17partition_subalgoE5ElNS0_10empty_typeEbEEZZNS1_14partition_implILS5_5ELb0ES3_mN6hipcub16HIPCUB_304000_NS21CountingInputIteratorIllEEPS6_NSA_22TransformInputIteratorIb7NonZeroIdEPdlEENS0_5tupleIJPlS6_EEENSJ_IJSD_SD_EEES6_SK_JS6_EEE10hipError_tPvRmT3_T4_T5_T6_T7_T9_mT8_P12ihipStream_tbDpT10_ENKUlT_T0_E_clISt17integral_constantIbLb0EES15_IbLb1EEEEDaS11_S12_EUlS11_E_NS1_11comp_targetILNS1_3genE4ELNS1_11target_archE910ELNS1_3gpuE8ELNS1_3repE0EEENS1_30default_config_static_selectorELNS0_4arch9wavefront6targetE1EEEvT1_.numbered_sgpr, 0
	.set _ZN7rocprim17ROCPRIM_400000_NS6detail17trampoline_kernelINS0_14default_configENS1_25partition_config_selectorILNS1_17partition_subalgoE5ElNS0_10empty_typeEbEEZZNS1_14partition_implILS5_5ELb0ES3_mN6hipcub16HIPCUB_304000_NS21CountingInputIteratorIllEEPS6_NSA_22TransformInputIteratorIb7NonZeroIdEPdlEENS0_5tupleIJPlS6_EEENSJ_IJSD_SD_EEES6_SK_JS6_EEE10hipError_tPvRmT3_T4_T5_T6_T7_T9_mT8_P12ihipStream_tbDpT10_ENKUlT_T0_E_clISt17integral_constantIbLb0EES15_IbLb1EEEEDaS11_S12_EUlS11_E_NS1_11comp_targetILNS1_3genE4ELNS1_11target_archE910ELNS1_3gpuE8ELNS1_3repE0EEENS1_30default_config_static_selectorELNS0_4arch9wavefront6targetE1EEEvT1_.num_named_barrier, 0
	.set _ZN7rocprim17ROCPRIM_400000_NS6detail17trampoline_kernelINS0_14default_configENS1_25partition_config_selectorILNS1_17partition_subalgoE5ElNS0_10empty_typeEbEEZZNS1_14partition_implILS5_5ELb0ES3_mN6hipcub16HIPCUB_304000_NS21CountingInputIteratorIllEEPS6_NSA_22TransformInputIteratorIb7NonZeroIdEPdlEENS0_5tupleIJPlS6_EEENSJ_IJSD_SD_EEES6_SK_JS6_EEE10hipError_tPvRmT3_T4_T5_T6_T7_T9_mT8_P12ihipStream_tbDpT10_ENKUlT_T0_E_clISt17integral_constantIbLb0EES15_IbLb1EEEEDaS11_S12_EUlS11_E_NS1_11comp_targetILNS1_3genE4ELNS1_11target_archE910ELNS1_3gpuE8ELNS1_3repE0EEENS1_30default_config_static_selectorELNS0_4arch9wavefront6targetE1EEEvT1_.private_seg_size, 0
	.set _ZN7rocprim17ROCPRIM_400000_NS6detail17trampoline_kernelINS0_14default_configENS1_25partition_config_selectorILNS1_17partition_subalgoE5ElNS0_10empty_typeEbEEZZNS1_14partition_implILS5_5ELb0ES3_mN6hipcub16HIPCUB_304000_NS21CountingInputIteratorIllEEPS6_NSA_22TransformInputIteratorIb7NonZeroIdEPdlEENS0_5tupleIJPlS6_EEENSJ_IJSD_SD_EEES6_SK_JS6_EEE10hipError_tPvRmT3_T4_T5_T6_T7_T9_mT8_P12ihipStream_tbDpT10_ENKUlT_T0_E_clISt17integral_constantIbLb0EES15_IbLb1EEEEDaS11_S12_EUlS11_E_NS1_11comp_targetILNS1_3genE4ELNS1_11target_archE910ELNS1_3gpuE8ELNS1_3repE0EEENS1_30default_config_static_selectorELNS0_4arch9wavefront6targetE1EEEvT1_.uses_vcc, 0
	.set _ZN7rocprim17ROCPRIM_400000_NS6detail17trampoline_kernelINS0_14default_configENS1_25partition_config_selectorILNS1_17partition_subalgoE5ElNS0_10empty_typeEbEEZZNS1_14partition_implILS5_5ELb0ES3_mN6hipcub16HIPCUB_304000_NS21CountingInputIteratorIllEEPS6_NSA_22TransformInputIteratorIb7NonZeroIdEPdlEENS0_5tupleIJPlS6_EEENSJ_IJSD_SD_EEES6_SK_JS6_EEE10hipError_tPvRmT3_T4_T5_T6_T7_T9_mT8_P12ihipStream_tbDpT10_ENKUlT_T0_E_clISt17integral_constantIbLb0EES15_IbLb1EEEEDaS11_S12_EUlS11_E_NS1_11comp_targetILNS1_3genE4ELNS1_11target_archE910ELNS1_3gpuE8ELNS1_3repE0EEENS1_30default_config_static_selectorELNS0_4arch9wavefront6targetE1EEEvT1_.uses_flat_scratch, 0
	.set _ZN7rocprim17ROCPRIM_400000_NS6detail17trampoline_kernelINS0_14default_configENS1_25partition_config_selectorILNS1_17partition_subalgoE5ElNS0_10empty_typeEbEEZZNS1_14partition_implILS5_5ELb0ES3_mN6hipcub16HIPCUB_304000_NS21CountingInputIteratorIllEEPS6_NSA_22TransformInputIteratorIb7NonZeroIdEPdlEENS0_5tupleIJPlS6_EEENSJ_IJSD_SD_EEES6_SK_JS6_EEE10hipError_tPvRmT3_T4_T5_T6_T7_T9_mT8_P12ihipStream_tbDpT10_ENKUlT_T0_E_clISt17integral_constantIbLb0EES15_IbLb1EEEEDaS11_S12_EUlS11_E_NS1_11comp_targetILNS1_3genE4ELNS1_11target_archE910ELNS1_3gpuE8ELNS1_3repE0EEENS1_30default_config_static_selectorELNS0_4arch9wavefront6targetE1EEEvT1_.has_dyn_sized_stack, 0
	.set _ZN7rocprim17ROCPRIM_400000_NS6detail17trampoline_kernelINS0_14default_configENS1_25partition_config_selectorILNS1_17partition_subalgoE5ElNS0_10empty_typeEbEEZZNS1_14partition_implILS5_5ELb0ES3_mN6hipcub16HIPCUB_304000_NS21CountingInputIteratorIllEEPS6_NSA_22TransformInputIteratorIb7NonZeroIdEPdlEENS0_5tupleIJPlS6_EEENSJ_IJSD_SD_EEES6_SK_JS6_EEE10hipError_tPvRmT3_T4_T5_T6_T7_T9_mT8_P12ihipStream_tbDpT10_ENKUlT_T0_E_clISt17integral_constantIbLb0EES15_IbLb1EEEEDaS11_S12_EUlS11_E_NS1_11comp_targetILNS1_3genE4ELNS1_11target_archE910ELNS1_3gpuE8ELNS1_3repE0EEENS1_30default_config_static_selectorELNS0_4arch9wavefront6targetE1EEEvT1_.has_recursion, 0
	.set _ZN7rocprim17ROCPRIM_400000_NS6detail17trampoline_kernelINS0_14default_configENS1_25partition_config_selectorILNS1_17partition_subalgoE5ElNS0_10empty_typeEbEEZZNS1_14partition_implILS5_5ELb0ES3_mN6hipcub16HIPCUB_304000_NS21CountingInputIteratorIllEEPS6_NSA_22TransformInputIteratorIb7NonZeroIdEPdlEENS0_5tupleIJPlS6_EEENSJ_IJSD_SD_EEES6_SK_JS6_EEE10hipError_tPvRmT3_T4_T5_T6_T7_T9_mT8_P12ihipStream_tbDpT10_ENKUlT_T0_E_clISt17integral_constantIbLb0EES15_IbLb1EEEEDaS11_S12_EUlS11_E_NS1_11comp_targetILNS1_3genE4ELNS1_11target_archE910ELNS1_3gpuE8ELNS1_3repE0EEENS1_30default_config_static_selectorELNS0_4arch9wavefront6targetE1EEEvT1_.has_indirect_call, 0
	.section	.AMDGPU.csdata,"",@progbits
; Kernel info:
; codeLenInByte = 0
; TotalNumSgprs: 6
; NumVgprs: 0
; NumAgprs: 0
; TotalNumVgprs: 0
; ScratchSize: 0
; MemoryBound: 0
; FloatMode: 240
; IeeeMode: 1
; LDSByteSize: 0 bytes/workgroup (compile time only)
; SGPRBlocks: 0
; VGPRBlocks: 0
; NumSGPRsForWavesPerEU: 6
; NumVGPRsForWavesPerEU: 1
; AccumOffset: 4
; Occupancy: 8
; WaveLimiterHint : 0
; COMPUTE_PGM_RSRC2:SCRATCH_EN: 0
; COMPUTE_PGM_RSRC2:USER_SGPR: 2
; COMPUTE_PGM_RSRC2:TRAP_HANDLER: 0
; COMPUTE_PGM_RSRC2:TGID_X_EN: 1
; COMPUTE_PGM_RSRC2:TGID_Y_EN: 0
; COMPUTE_PGM_RSRC2:TGID_Z_EN: 0
; COMPUTE_PGM_RSRC2:TIDIG_COMP_CNT: 0
; COMPUTE_PGM_RSRC3_GFX90A:ACCUM_OFFSET: 0
; COMPUTE_PGM_RSRC3_GFX90A:TG_SPLIT: 0
	.section	.text._ZN7rocprim17ROCPRIM_400000_NS6detail17trampoline_kernelINS0_14default_configENS1_25partition_config_selectorILNS1_17partition_subalgoE5ElNS0_10empty_typeEbEEZZNS1_14partition_implILS5_5ELb0ES3_mN6hipcub16HIPCUB_304000_NS21CountingInputIteratorIllEEPS6_NSA_22TransformInputIteratorIb7NonZeroIdEPdlEENS0_5tupleIJPlS6_EEENSJ_IJSD_SD_EEES6_SK_JS6_EEE10hipError_tPvRmT3_T4_T5_T6_T7_T9_mT8_P12ihipStream_tbDpT10_ENKUlT_T0_E_clISt17integral_constantIbLb0EES15_IbLb1EEEEDaS11_S12_EUlS11_E_NS1_11comp_targetILNS1_3genE3ELNS1_11target_archE908ELNS1_3gpuE7ELNS1_3repE0EEENS1_30default_config_static_selectorELNS0_4arch9wavefront6targetE1EEEvT1_,"axG",@progbits,_ZN7rocprim17ROCPRIM_400000_NS6detail17trampoline_kernelINS0_14default_configENS1_25partition_config_selectorILNS1_17partition_subalgoE5ElNS0_10empty_typeEbEEZZNS1_14partition_implILS5_5ELb0ES3_mN6hipcub16HIPCUB_304000_NS21CountingInputIteratorIllEEPS6_NSA_22TransformInputIteratorIb7NonZeroIdEPdlEENS0_5tupleIJPlS6_EEENSJ_IJSD_SD_EEES6_SK_JS6_EEE10hipError_tPvRmT3_T4_T5_T6_T7_T9_mT8_P12ihipStream_tbDpT10_ENKUlT_T0_E_clISt17integral_constantIbLb0EES15_IbLb1EEEEDaS11_S12_EUlS11_E_NS1_11comp_targetILNS1_3genE3ELNS1_11target_archE908ELNS1_3gpuE7ELNS1_3repE0EEENS1_30default_config_static_selectorELNS0_4arch9wavefront6targetE1EEEvT1_,comdat
	.protected	_ZN7rocprim17ROCPRIM_400000_NS6detail17trampoline_kernelINS0_14default_configENS1_25partition_config_selectorILNS1_17partition_subalgoE5ElNS0_10empty_typeEbEEZZNS1_14partition_implILS5_5ELb0ES3_mN6hipcub16HIPCUB_304000_NS21CountingInputIteratorIllEEPS6_NSA_22TransformInputIteratorIb7NonZeroIdEPdlEENS0_5tupleIJPlS6_EEENSJ_IJSD_SD_EEES6_SK_JS6_EEE10hipError_tPvRmT3_T4_T5_T6_T7_T9_mT8_P12ihipStream_tbDpT10_ENKUlT_T0_E_clISt17integral_constantIbLb0EES15_IbLb1EEEEDaS11_S12_EUlS11_E_NS1_11comp_targetILNS1_3genE3ELNS1_11target_archE908ELNS1_3gpuE7ELNS1_3repE0EEENS1_30default_config_static_selectorELNS0_4arch9wavefront6targetE1EEEvT1_ ; -- Begin function _ZN7rocprim17ROCPRIM_400000_NS6detail17trampoline_kernelINS0_14default_configENS1_25partition_config_selectorILNS1_17partition_subalgoE5ElNS0_10empty_typeEbEEZZNS1_14partition_implILS5_5ELb0ES3_mN6hipcub16HIPCUB_304000_NS21CountingInputIteratorIllEEPS6_NSA_22TransformInputIteratorIb7NonZeroIdEPdlEENS0_5tupleIJPlS6_EEENSJ_IJSD_SD_EEES6_SK_JS6_EEE10hipError_tPvRmT3_T4_T5_T6_T7_T9_mT8_P12ihipStream_tbDpT10_ENKUlT_T0_E_clISt17integral_constantIbLb0EES15_IbLb1EEEEDaS11_S12_EUlS11_E_NS1_11comp_targetILNS1_3genE3ELNS1_11target_archE908ELNS1_3gpuE7ELNS1_3repE0EEENS1_30default_config_static_selectorELNS0_4arch9wavefront6targetE1EEEvT1_
	.globl	_ZN7rocprim17ROCPRIM_400000_NS6detail17trampoline_kernelINS0_14default_configENS1_25partition_config_selectorILNS1_17partition_subalgoE5ElNS0_10empty_typeEbEEZZNS1_14partition_implILS5_5ELb0ES3_mN6hipcub16HIPCUB_304000_NS21CountingInputIteratorIllEEPS6_NSA_22TransformInputIteratorIb7NonZeroIdEPdlEENS0_5tupleIJPlS6_EEENSJ_IJSD_SD_EEES6_SK_JS6_EEE10hipError_tPvRmT3_T4_T5_T6_T7_T9_mT8_P12ihipStream_tbDpT10_ENKUlT_T0_E_clISt17integral_constantIbLb0EES15_IbLb1EEEEDaS11_S12_EUlS11_E_NS1_11comp_targetILNS1_3genE3ELNS1_11target_archE908ELNS1_3gpuE7ELNS1_3repE0EEENS1_30default_config_static_selectorELNS0_4arch9wavefront6targetE1EEEvT1_
	.p2align	8
	.type	_ZN7rocprim17ROCPRIM_400000_NS6detail17trampoline_kernelINS0_14default_configENS1_25partition_config_selectorILNS1_17partition_subalgoE5ElNS0_10empty_typeEbEEZZNS1_14partition_implILS5_5ELb0ES3_mN6hipcub16HIPCUB_304000_NS21CountingInputIteratorIllEEPS6_NSA_22TransformInputIteratorIb7NonZeroIdEPdlEENS0_5tupleIJPlS6_EEENSJ_IJSD_SD_EEES6_SK_JS6_EEE10hipError_tPvRmT3_T4_T5_T6_T7_T9_mT8_P12ihipStream_tbDpT10_ENKUlT_T0_E_clISt17integral_constantIbLb0EES15_IbLb1EEEEDaS11_S12_EUlS11_E_NS1_11comp_targetILNS1_3genE3ELNS1_11target_archE908ELNS1_3gpuE7ELNS1_3repE0EEENS1_30default_config_static_selectorELNS0_4arch9wavefront6targetE1EEEvT1_,@function
_ZN7rocprim17ROCPRIM_400000_NS6detail17trampoline_kernelINS0_14default_configENS1_25partition_config_selectorILNS1_17partition_subalgoE5ElNS0_10empty_typeEbEEZZNS1_14partition_implILS5_5ELb0ES3_mN6hipcub16HIPCUB_304000_NS21CountingInputIteratorIllEEPS6_NSA_22TransformInputIteratorIb7NonZeroIdEPdlEENS0_5tupleIJPlS6_EEENSJ_IJSD_SD_EEES6_SK_JS6_EEE10hipError_tPvRmT3_T4_T5_T6_T7_T9_mT8_P12ihipStream_tbDpT10_ENKUlT_T0_E_clISt17integral_constantIbLb0EES15_IbLb1EEEEDaS11_S12_EUlS11_E_NS1_11comp_targetILNS1_3genE3ELNS1_11target_archE908ELNS1_3gpuE7ELNS1_3repE0EEENS1_30default_config_static_selectorELNS0_4arch9wavefront6targetE1EEEvT1_: ; @_ZN7rocprim17ROCPRIM_400000_NS6detail17trampoline_kernelINS0_14default_configENS1_25partition_config_selectorILNS1_17partition_subalgoE5ElNS0_10empty_typeEbEEZZNS1_14partition_implILS5_5ELb0ES3_mN6hipcub16HIPCUB_304000_NS21CountingInputIteratorIllEEPS6_NSA_22TransformInputIteratorIb7NonZeroIdEPdlEENS0_5tupleIJPlS6_EEENSJ_IJSD_SD_EEES6_SK_JS6_EEE10hipError_tPvRmT3_T4_T5_T6_T7_T9_mT8_P12ihipStream_tbDpT10_ENKUlT_T0_E_clISt17integral_constantIbLb0EES15_IbLb1EEEEDaS11_S12_EUlS11_E_NS1_11comp_targetILNS1_3genE3ELNS1_11target_archE908ELNS1_3gpuE7ELNS1_3repE0EEENS1_30default_config_static_selectorELNS0_4arch9wavefront6targetE1EEEvT1_
; %bb.0:
	.section	.rodata,"a",@progbits
	.p2align	6, 0x0
	.amdhsa_kernel _ZN7rocprim17ROCPRIM_400000_NS6detail17trampoline_kernelINS0_14default_configENS1_25partition_config_selectorILNS1_17partition_subalgoE5ElNS0_10empty_typeEbEEZZNS1_14partition_implILS5_5ELb0ES3_mN6hipcub16HIPCUB_304000_NS21CountingInputIteratorIllEEPS6_NSA_22TransformInputIteratorIb7NonZeroIdEPdlEENS0_5tupleIJPlS6_EEENSJ_IJSD_SD_EEES6_SK_JS6_EEE10hipError_tPvRmT3_T4_T5_T6_T7_T9_mT8_P12ihipStream_tbDpT10_ENKUlT_T0_E_clISt17integral_constantIbLb0EES15_IbLb1EEEEDaS11_S12_EUlS11_E_NS1_11comp_targetILNS1_3genE3ELNS1_11target_archE908ELNS1_3gpuE7ELNS1_3repE0EEENS1_30default_config_static_selectorELNS0_4arch9wavefront6targetE1EEEvT1_
		.amdhsa_group_segment_fixed_size 0
		.amdhsa_private_segment_fixed_size 0
		.amdhsa_kernarg_size 136
		.amdhsa_user_sgpr_count 2
		.amdhsa_user_sgpr_dispatch_ptr 0
		.amdhsa_user_sgpr_queue_ptr 0
		.amdhsa_user_sgpr_kernarg_segment_ptr 1
		.amdhsa_user_sgpr_dispatch_id 0
		.amdhsa_user_sgpr_kernarg_preload_length 0
		.amdhsa_user_sgpr_kernarg_preload_offset 0
		.amdhsa_user_sgpr_private_segment_size 0
		.amdhsa_uses_dynamic_stack 0
		.amdhsa_enable_private_segment 0
		.amdhsa_system_sgpr_workgroup_id_x 1
		.amdhsa_system_sgpr_workgroup_id_y 0
		.amdhsa_system_sgpr_workgroup_id_z 0
		.amdhsa_system_sgpr_workgroup_info 0
		.amdhsa_system_vgpr_workitem_id 0
		.amdhsa_next_free_vgpr 1
		.amdhsa_next_free_sgpr 0
		.amdhsa_accum_offset 4
		.amdhsa_reserve_vcc 0
		.amdhsa_float_round_mode_32 0
		.amdhsa_float_round_mode_16_64 0
		.amdhsa_float_denorm_mode_32 3
		.amdhsa_float_denorm_mode_16_64 3
		.amdhsa_dx10_clamp 1
		.amdhsa_ieee_mode 1
		.amdhsa_fp16_overflow 0
		.amdhsa_tg_split 0
		.amdhsa_exception_fp_ieee_invalid_op 0
		.amdhsa_exception_fp_denorm_src 0
		.amdhsa_exception_fp_ieee_div_zero 0
		.amdhsa_exception_fp_ieee_overflow 0
		.amdhsa_exception_fp_ieee_underflow 0
		.amdhsa_exception_fp_ieee_inexact 0
		.amdhsa_exception_int_div_zero 0
	.end_amdhsa_kernel
	.section	.text._ZN7rocprim17ROCPRIM_400000_NS6detail17trampoline_kernelINS0_14default_configENS1_25partition_config_selectorILNS1_17partition_subalgoE5ElNS0_10empty_typeEbEEZZNS1_14partition_implILS5_5ELb0ES3_mN6hipcub16HIPCUB_304000_NS21CountingInputIteratorIllEEPS6_NSA_22TransformInputIteratorIb7NonZeroIdEPdlEENS0_5tupleIJPlS6_EEENSJ_IJSD_SD_EEES6_SK_JS6_EEE10hipError_tPvRmT3_T4_T5_T6_T7_T9_mT8_P12ihipStream_tbDpT10_ENKUlT_T0_E_clISt17integral_constantIbLb0EES15_IbLb1EEEEDaS11_S12_EUlS11_E_NS1_11comp_targetILNS1_3genE3ELNS1_11target_archE908ELNS1_3gpuE7ELNS1_3repE0EEENS1_30default_config_static_selectorELNS0_4arch9wavefront6targetE1EEEvT1_,"axG",@progbits,_ZN7rocprim17ROCPRIM_400000_NS6detail17trampoline_kernelINS0_14default_configENS1_25partition_config_selectorILNS1_17partition_subalgoE5ElNS0_10empty_typeEbEEZZNS1_14partition_implILS5_5ELb0ES3_mN6hipcub16HIPCUB_304000_NS21CountingInputIteratorIllEEPS6_NSA_22TransformInputIteratorIb7NonZeroIdEPdlEENS0_5tupleIJPlS6_EEENSJ_IJSD_SD_EEES6_SK_JS6_EEE10hipError_tPvRmT3_T4_T5_T6_T7_T9_mT8_P12ihipStream_tbDpT10_ENKUlT_T0_E_clISt17integral_constantIbLb0EES15_IbLb1EEEEDaS11_S12_EUlS11_E_NS1_11comp_targetILNS1_3genE3ELNS1_11target_archE908ELNS1_3gpuE7ELNS1_3repE0EEENS1_30default_config_static_selectorELNS0_4arch9wavefront6targetE1EEEvT1_,comdat
.Lfunc_end348:
	.size	_ZN7rocprim17ROCPRIM_400000_NS6detail17trampoline_kernelINS0_14default_configENS1_25partition_config_selectorILNS1_17partition_subalgoE5ElNS0_10empty_typeEbEEZZNS1_14partition_implILS5_5ELb0ES3_mN6hipcub16HIPCUB_304000_NS21CountingInputIteratorIllEEPS6_NSA_22TransformInputIteratorIb7NonZeroIdEPdlEENS0_5tupleIJPlS6_EEENSJ_IJSD_SD_EEES6_SK_JS6_EEE10hipError_tPvRmT3_T4_T5_T6_T7_T9_mT8_P12ihipStream_tbDpT10_ENKUlT_T0_E_clISt17integral_constantIbLb0EES15_IbLb1EEEEDaS11_S12_EUlS11_E_NS1_11comp_targetILNS1_3genE3ELNS1_11target_archE908ELNS1_3gpuE7ELNS1_3repE0EEENS1_30default_config_static_selectorELNS0_4arch9wavefront6targetE1EEEvT1_, .Lfunc_end348-_ZN7rocprim17ROCPRIM_400000_NS6detail17trampoline_kernelINS0_14default_configENS1_25partition_config_selectorILNS1_17partition_subalgoE5ElNS0_10empty_typeEbEEZZNS1_14partition_implILS5_5ELb0ES3_mN6hipcub16HIPCUB_304000_NS21CountingInputIteratorIllEEPS6_NSA_22TransformInputIteratorIb7NonZeroIdEPdlEENS0_5tupleIJPlS6_EEENSJ_IJSD_SD_EEES6_SK_JS6_EEE10hipError_tPvRmT3_T4_T5_T6_T7_T9_mT8_P12ihipStream_tbDpT10_ENKUlT_T0_E_clISt17integral_constantIbLb0EES15_IbLb1EEEEDaS11_S12_EUlS11_E_NS1_11comp_targetILNS1_3genE3ELNS1_11target_archE908ELNS1_3gpuE7ELNS1_3repE0EEENS1_30default_config_static_selectorELNS0_4arch9wavefront6targetE1EEEvT1_
                                        ; -- End function
	.set _ZN7rocprim17ROCPRIM_400000_NS6detail17trampoline_kernelINS0_14default_configENS1_25partition_config_selectorILNS1_17partition_subalgoE5ElNS0_10empty_typeEbEEZZNS1_14partition_implILS5_5ELb0ES3_mN6hipcub16HIPCUB_304000_NS21CountingInputIteratorIllEEPS6_NSA_22TransformInputIteratorIb7NonZeroIdEPdlEENS0_5tupleIJPlS6_EEENSJ_IJSD_SD_EEES6_SK_JS6_EEE10hipError_tPvRmT3_T4_T5_T6_T7_T9_mT8_P12ihipStream_tbDpT10_ENKUlT_T0_E_clISt17integral_constantIbLb0EES15_IbLb1EEEEDaS11_S12_EUlS11_E_NS1_11comp_targetILNS1_3genE3ELNS1_11target_archE908ELNS1_3gpuE7ELNS1_3repE0EEENS1_30default_config_static_selectorELNS0_4arch9wavefront6targetE1EEEvT1_.num_vgpr, 0
	.set _ZN7rocprim17ROCPRIM_400000_NS6detail17trampoline_kernelINS0_14default_configENS1_25partition_config_selectorILNS1_17partition_subalgoE5ElNS0_10empty_typeEbEEZZNS1_14partition_implILS5_5ELb0ES3_mN6hipcub16HIPCUB_304000_NS21CountingInputIteratorIllEEPS6_NSA_22TransformInputIteratorIb7NonZeroIdEPdlEENS0_5tupleIJPlS6_EEENSJ_IJSD_SD_EEES6_SK_JS6_EEE10hipError_tPvRmT3_T4_T5_T6_T7_T9_mT8_P12ihipStream_tbDpT10_ENKUlT_T0_E_clISt17integral_constantIbLb0EES15_IbLb1EEEEDaS11_S12_EUlS11_E_NS1_11comp_targetILNS1_3genE3ELNS1_11target_archE908ELNS1_3gpuE7ELNS1_3repE0EEENS1_30default_config_static_selectorELNS0_4arch9wavefront6targetE1EEEvT1_.num_agpr, 0
	.set _ZN7rocprim17ROCPRIM_400000_NS6detail17trampoline_kernelINS0_14default_configENS1_25partition_config_selectorILNS1_17partition_subalgoE5ElNS0_10empty_typeEbEEZZNS1_14partition_implILS5_5ELb0ES3_mN6hipcub16HIPCUB_304000_NS21CountingInputIteratorIllEEPS6_NSA_22TransformInputIteratorIb7NonZeroIdEPdlEENS0_5tupleIJPlS6_EEENSJ_IJSD_SD_EEES6_SK_JS6_EEE10hipError_tPvRmT3_T4_T5_T6_T7_T9_mT8_P12ihipStream_tbDpT10_ENKUlT_T0_E_clISt17integral_constantIbLb0EES15_IbLb1EEEEDaS11_S12_EUlS11_E_NS1_11comp_targetILNS1_3genE3ELNS1_11target_archE908ELNS1_3gpuE7ELNS1_3repE0EEENS1_30default_config_static_selectorELNS0_4arch9wavefront6targetE1EEEvT1_.numbered_sgpr, 0
	.set _ZN7rocprim17ROCPRIM_400000_NS6detail17trampoline_kernelINS0_14default_configENS1_25partition_config_selectorILNS1_17partition_subalgoE5ElNS0_10empty_typeEbEEZZNS1_14partition_implILS5_5ELb0ES3_mN6hipcub16HIPCUB_304000_NS21CountingInputIteratorIllEEPS6_NSA_22TransformInputIteratorIb7NonZeroIdEPdlEENS0_5tupleIJPlS6_EEENSJ_IJSD_SD_EEES6_SK_JS6_EEE10hipError_tPvRmT3_T4_T5_T6_T7_T9_mT8_P12ihipStream_tbDpT10_ENKUlT_T0_E_clISt17integral_constantIbLb0EES15_IbLb1EEEEDaS11_S12_EUlS11_E_NS1_11comp_targetILNS1_3genE3ELNS1_11target_archE908ELNS1_3gpuE7ELNS1_3repE0EEENS1_30default_config_static_selectorELNS0_4arch9wavefront6targetE1EEEvT1_.num_named_barrier, 0
	.set _ZN7rocprim17ROCPRIM_400000_NS6detail17trampoline_kernelINS0_14default_configENS1_25partition_config_selectorILNS1_17partition_subalgoE5ElNS0_10empty_typeEbEEZZNS1_14partition_implILS5_5ELb0ES3_mN6hipcub16HIPCUB_304000_NS21CountingInputIteratorIllEEPS6_NSA_22TransformInputIteratorIb7NonZeroIdEPdlEENS0_5tupleIJPlS6_EEENSJ_IJSD_SD_EEES6_SK_JS6_EEE10hipError_tPvRmT3_T4_T5_T6_T7_T9_mT8_P12ihipStream_tbDpT10_ENKUlT_T0_E_clISt17integral_constantIbLb0EES15_IbLb1EEEEDaS11_S12_EUlS11_E_NS1_11comp_targetILNS1_3genE3ELNS1_11target_archE908ELNS1_3gpuE7ELNS1_3repE0EEENS1_30default_config_static_selectorELNS0_4arch9wavefront6targetE1EEEvT1_.private_seg_size, 0
	.set _ZN7rocprim17ROCPRIM_400000_NS6detail17trampoline_kernelINS0_14default_configENS1_25partition_config_selectorILNS1_17partition_subalgoE5ElNS0_10empty_typeEbEEZZNS1_14partition_implILS5_5ELb0ES3_mN6hipcub16HIPCUB_304000_NS21CountingInputIteratorIllEEPS6_NSA_22TransformInputIteratorIb7NonZeroIdEPdlEENS0_5tupleIJPlS6_EEENSJ_IJSD_SD_EEES6_SK_JS6_EEE10hipError_tPvRmT3_T4_T5_T6_T7_T9_mT8_P12ihipStream_tbDpT10_ENKUlT_T0_E_clISt17integral_constantIbLb0EES15_IbLb1EEEEDaS11_S12_EUlS11_E_NS1_11comp_targetILNS1_3genE3ELNS1_11target_archE908ELNS1_3gpuE7ELNS1_3repE0EEENS1_30default_config_static_selectorELNS0_4arch9wavefront6targetE1EEEvT1_.uses_vcc, 0
	.set _ZN7rocprim17ROCPRIM_400000_NS6detail17trampoline_kernelINS0_14default_configENS1_25partition_config_selectorILNS1_17partition_subalgoE5ElNS0_10empty_typeEbEEZZNS1_14partition_implILS5_5ELb0ES3_mN6hipcub16HIPCUB_304000_NS21CountingInputIteratorIllEEPS6_NSA_22TransformInputIteratorIb7NonZeroIdEPdlEENS0_5tupleIJPlS6_EEENSJ_IJSD_SD_EEES6_SK_JS6_EEE10hipError_tPvRmT3_T4_T5_T6_T7_T9_mT8_P12ihipStream_tbDpT10_ENKUlT_T0_E_clISt17integral_constantIbLb0EES15_IbLb1EEEEDaS11_S12_EUlS11_E_NS1_11comp_targetILNS1_3genE3ELNS1_11target_archE908ELNS1_3gpuE7ELNS1_3repE0EEENS1_30default_config_static_selectorELNS0_4arch9wavefront6targetE1EEEvT1_.uses_flat_scratch, 0
	.set _ZN7rocprim17ROCPRIM_400000_NS6detail17trampoline_kernelINS0_14default_configENS1_25partition_config_selectorILNS1_17partition_subalgoE5ElNS0_10empty_typeEbEEZZNS1_14partition_implILS5_5ELb0ES3_mN6hipcub16HIPCUB_304000_NS21CountingInputIteratorIllEEPS6_NSA_22TransformInputIteratorIb7NonZeroIdEPdlEENS0_5tupleIJPlS6_EEENSJ_IJSD_SD_EEES6_SK_JS6_EEE10hipError_tPvRmT3_T4_T5_T6_T7_T9_mT8_P12ihipStream_tbDpT10_ENKUlT_T0_E_clISt17integral_constantIbLb0EES15_IbLb1EEEEDaS11_S12_EUlS11_E_NS1_11comp_targetILNS1_3genE3ELNS1_11target_archE908ELNS1_3gpuE7ELNS1_3repE0EEENS1_30default_config_static_selectorELNS0_4arch9wavefront6targetE1EEEvT1_.has_dyn_sized_stack, 0
	.set _ZN7rocprim17ROCPRIM_400000_NS6detail17trampoline_kernelINS0_14default_configENS1_25partition_config_selectorILNS1_17partition_subalgoE5ElNS0_10empty_typeEbEEZZNS1_14partition_implILS5_5ELb0ES3_mN6hipcub16HIPCUB_304000_NS21CountingInputIteratorIllEEPS6_NSA_22TransformInputIteratorIb7NonZeroIdEPdlEENS0_5tupleIJPlS6_EEENSJ_IJSD_SD_EEES6_SK_JS6_EEE10hipError_tPvRmT3_T4_T5_T6_T7_T9_mT8_P12ihipStream_tbDpT10_ENKUlT_T0_E_clISt17integral_constantIbLb0EES15_IbLb1EEEEDaS11_S12_EUlS11_E_NS1_11comp_targetILNS1_3genE3ELNS1_11target_archE908ELNS1_3gpuE7ELNS1_3repE0EEENS1_30default_config_static_selectorELNS0_4arch9wavefront6targetE1EEEvT1_.has_recursion, 0
	.set _ZN7rocprim17ROCPRIM_400000_NS6detail17trampoline_kernelINS0_14default_configENS1_25partition_config_selectorILNS1_17partition_subalgoE5ElNS0_10empty_typeEbEEZZNS1_14partition_implILS5_5ELb0ES3_mN6hipcub16HIPCUB_304000_NS21CountingInputIteratorIllEEPS6_NSA_22TransformInputIteratorIb7NonZeroIdEPdlEENS0_5tupleIJPlS6_EEENSJ_IJSD_SD_EEES6_SK_JS6_EEE10hipError_tPvRmT3_T4_T5_T6_T7_T9_mT8_P12ihipStream_tbDpT10_ENKUlT_T0_E_clISt17integral_constantIbLb0EES15_IbLb1EEEEDaS11_S12_EUlS11_E_NS1_11comp_targetILNS1_3genE3ELNS1_11target_archE908ELNS1_3gpuE7ELNS1_3repE0EEENS1_30default_config_static_selectorELNS0_4arch9wavefront6targetE1EEEvT1_.has_indirect_call, 0
	.section	.AMDGPU.csdata,"",@progbits
; Kernel info:
; codeLenInByte = 0
; TotalNumSgprs: 6
; NumVgprs: 0
; NumAgprs: 0
; TotalNumVgprs: 0
; ScratchSize: 0
; MemoryBound: 0
; FloatMode: 240
; IeeeMode: 1
; LDSByteSize: 0 bytes/workgroup (compile time only)
; SGPRBlocks: 0
; VGPRBlocks: 0
; NumSGPRsForWavesPerEU: 6
; NumVGPRsForWavesPerEU: 1
; AccumOffset: 4
; Occupancy: 8
; WaveLimiterHint : 0
; COMPUTE_PGM_RSRC2:SCRATCH_EN: 0
; COMPUTE_PGM_RSRC2:USER_SGPR: 2
; COMPUTE_PGM_RSRC2:TRAP_HANDLER: 0
; COMPUTE_PGM_RSRC2:TGID_X_EN: 1
; COMPUTE_PGM_RSRC2:TGID_Y_EN: 0
; COMPUTE_PGM_RSRC2:TGID_Z_EN: 0
; COMPUTE_PGM_RSRC2:TIDIG_COMP_CNT: 0
; COMPUTE_PGM_RSRC3_GFX90A:ACCUM_OFFSET: 0
; COMPUTE_PGM_RSRC3_GFX90A:TG_SPLIT: 0
	.section	.text._ZN7rocprim17ROCPRIM_400000_NS6detail17trampoline_kernelINS0_14default_configENS1_25partition_config_selectorILNS1_17partition_subalgoE5ElNS0_10empty_typeEbEEZZNS1_14partition_implILS5_5ELb0ES3_mN6hipcub16HIPCUB_304000_NS21CountingInputIteratorIllEEPS6_NSA_22TransformInputIteratorIb7NonZeroIdEPdlEENS0_5tupleIJPlS6_EEENSJ_IJSD_SD_EEES6_SK_JS6_EEE10hipError_tPvRmT3_T4_T5_T6_T7_T9_mT8_P12ihipStream_tbDpT10_ENKUlT_T0_E_clISt17integral_constantIbLb0EES15_IbLb1EEEEDaS11_S12_EUlS11_E_NS1_11comp_targetILNS1_3genE2ELNS1_11target_archE906ELNS1_3gpuE6ELNS1_3repE0EEENS1_30default_config_static_selectorELNS0_4arch9wavefront6targetE1EEEvT1_,"axG",@progbits,_ZN7rocprim17ROCPRIM_400000_NS6detail17trampoline_kernelINS0_14default_configENS1_25partition_config_selectorILNS1_17partition_subalgoE5ElNS0_10empty_typeEbEEZZNS1_14partition_implILS5_5ELb0ES3_mN6hipcub16HIPCUB_304000_NS21CountingInputIteratorIllEEPS6_NSA_22TransformInputIteratorIb7NonZeroIdEPdlEENS0_5tupleIJPlS6_EEENSJ_IJSD_SD_EEES6_SK_JS6_EEE10hipError_tPvRmT3_T4_T5_T6_T7_T9_mT8_P12ihipStream_tbDpT10_ENKUlT_T0_E_clISt17integral_constantIbLb0EES15_IbLb1EEEEDaS11_S12_EUlS11_E_NS1_11comp_targetILNS1_3genE2ELNS1_11target_archE906ELNS1_3gpuE6ELNS1_3repE0EEENS1_30default_config_static_selectorELNS0_4arch9wavefront6targetE1EEEvT1_,comdat
	.protected	_ZN7rocprim17ROCPRIM_400000_NS6detail17trampoline_kernelINS0_14default_configENS1_25partition_config_selectorILNS1_17partition_subalgoE5ElNS0_10empty_typeEbEEZZNS1_14partition_implILS5_5ELb0ES3_mN6hipcub16HIPCUB_304000_NS21CountingInputIteratorIllEEPS6_NSA_22TransformInputIteratorIb7NonZeroIdEPdlEENS0_5tupleIJPlS6_EEENSJ_IJSD_SD_EEES6_SK_JS6_EEE10hipError_tPvRmT3_T4_T5_T6_T7_T9_mT8_P12ihipStream_tbDpT10_ENKUlT_T0_E_clISt17integral_constantIbLb0EES15_IbLb1EEEEDaS11_S12_EUlS11_E_NS1_11comp_targetILNS1_3genE2ELNS1_11target_archE906ELNS1_3gpuE6ELNS1_3repE0EEENS1_30default_config_static_selectorELNS0_4arch9wavefront6targetE1EEEvT1_ ; -- Begin function _ZN7rocprim17ROCPRIM_400000_NS6detail17trampoline_kernelINS0_14default_configENS1_25partition_config_selectorILNS1_17partition_subalgoE5ElNS0_10empty_typeEbEEZZNS1_14partition_implILS5_5ELb0ES3_mN6hipcub16HIPCUB_304000_NS21CountingInputIteratorIllEEPS6_NSA_22TransformInputIteratorIb7NonZeroIdEPdlEENS0_5tupleIJPlS6_EEENSJ_IJSD_SD_EEES6_SK_JS6_EEE10hipError_tPvRmT3_T4_T5_T6_T7_T9_mT8_P12ihipStream_tbDpT10_ENKUlT_T0_E_clISt17integral_constantIbLb0EES15_IbLb1EEEEDaS11_S12_EUlS11_E_NS1_11comp_targetILNS1_3genE2ELNS1_11target_archE906ELNS1_3gpuE6ELNS1_3repE0EEENS1_30default_config_static_selectorELNS0_4arch9wavefront6targetE1EEEvT1_
	.globl	_ZN7rocprim17ROCPRIM_400000_NS6detail17trampoline_kernelINS0_14default_configENS1_25partition_config_selectorILNS1_17partition_subalgoE5ElNS0_10empty_typeEbEEZZNS1_14partition_implILS5_5ELb0ES3_mN6hipcub16HIPCUB_304000_NS21CountingInputIteratorIllEEPS6_NSA_22TransformInputIteratorIb7NonZeroIdEPdlEENS0_5tupleIJPlS6_EEENSJ_IJSD_SD_EEES6_SK_JS6_EEE10hipError_tPvRmT3_T4_T5_T6_T7_T9_mT8_P12ihipStream_tbDpT10_ENKUlT_T0_E_clISt17integral_constantIbLb0EES15_IbLb1EEEEDaS11_S12_EUlS11_E_NS1_11comp_targetILNS1_3genE2ELNS1_11target_archE906ELNS1_3gpuE6ELNS1_3repE0EEENS1_30default_config_static_selectorELNS0_4arch9wavefront6targetE1EEEvT1_
	.p2align	8
	.type	_ZN7rocprim17ROCPRIM_400000_NS6detail17trampoline_kernelINS0_14default_configENS1_25partition_config_selectorILNS1_17partition_subalgoE5ElNS0_10empty_typeEbEEZZNS1_14partition_implILS5_5ELb0ES3_mN6hipcub16HIPCUB_304000_NS21CountingInputIteratorIllEEPS6_NSA_22TransformInputIteratorIb7NonZeroIdEPdlEENS0_5tupleIJPlS6_EEENSJ_IJSD_SD_EEES6_SK_JS6_EEE10hipError_tPvRmT3_T4_T5_T6_T7_T9_mT8_P12ihipStream_tbDpT10_ENKUlT_T0_E_clISt17integral_constantIbLb0EES15_IbLb1EEEEDaS11_S12_EUlS11_E_NS1_11comp_targetILNS1_3genE2ELNS1_11target_archE906ELNS1_3gpuE6ELNS1_3repE0EEENS1_30default_config_static_selectorELNS0_4arch9wavefront6targetE1EEEvT1_,@function
_ZN7rocprim17ROCPRIM_400000_NS6detail17trampoline_kernelINS0_14default_configENS1_25partition_config_selectorILNS1_17partition_subalgoE5ElNS0_10empty_typeEbEEZZNS1_14partition_implILS5_5ELb0ES3_mN6hipcub16HIPCUB_304000_NS21CountingInputIteratorIllEEPS6_NSA_22TransformInputIteratorIb7NonZeroIdEPdlEENS0_5tupleIJPlS6_EEENSJ_IJSD_SD_EEES6_SK_JS6_EEE10hipError_tPvRmT3_T4_T5_T6_T7_T9_mT8_P12ihipStream_tbDpT10_ENKUlT_T0_E_clISt17integral_constantIbLb0EES15_IbLb1EEEEDaS11_S12_EUlS11_E_NS1_11comp_targetILNS1_3genE2ELNS1_11target_archE906ELNS1_3gpuE6ELNS1_3repE0EEENS1_30default_config_static_selectorELNS0_4arch9wavefront6targetE1EEEvT1_: ; @_ZN7rocprim17ROCPRIM_400000_NS6detail17trampoline_kernelINS0_14default_configENS1_25partition_config_selectorILNS1_17partition_subalgoE5ElNS0_10empty_typeEbEEZZNS1_14partition_implILS5_5ELb0ES3_mN6hipcub16HIPCUB_304000_NS21CountingInputIteratorIllEEPS6_NSA_22TransformInputIteratorIb7NonZeroIdEPdlEENS0_5tupleIJPlS6_EEENSJ_IJSD_SD_EEES6_SK_JS6_EEE10hipError_tPvRmT3_T4_T5_T6_T7_T9_mT8_P12ihipStream_tbDpT10_ENKUlT_T0_E_clISt17integral_constantIbLb0EES15_IbLb1EEEEDaS11_S12_EUlS11_E_NS1_11comp_targetILNS1_3genE2ELNS1_11target_archE906ELNS1_3gpuE6ELNS1_3repE0EEENS1_30default_config_static_selectorELNS0_4arch9wavefront6targetE1EEEvT1_
; %bb.0:
	.section	.rodata,"a",@progbits
	.p2align	6, 0x0
	.amdhsa_kernel _ZN7rocprim17ROCPRIM_400000_NS6detail17trampoline_kernelINS0_14default_configENS1_25partition_config_selectorILNS1_17partition_subalgoE5ElNS0_10empty_typeEbEEZZNS1_14partition_implILS5_5ELb0ES3_mN6hipcub16HIPCUB_304000_NS21CountingInputIteratorIllEEPS6_NSA_22TransformInputIteratorIb7NonZeroIdEPdlEENS0_5tupleIJPlS6_EEENSJ_IJSD_SD_EEES6_SK_JS6_EEE10hipError_tPvRmT3_T4_T5_T6_T7_T9_mT8_P12ihipStream_tbDpT10_ENKUlT_T0_E_clISt17integral_constantIbLb0EES15_IbLb1EEEEDaS11_S12_EUlS11_E_NS1_11comp_targetILNS1_3genE2ELNS1_11target_archE906ELNS1_3gpuE6ELNS1_3repE0EEENS1_30default_config_static_selectorELNS0_4arch9wavefront6targetE1EEEvT1_
		.amdhsa_group_segment_fixed_size 0
		.amdhsa_private_segment_fixed_size 0
		.amdhsa_kernarg_size 136
		.amdhsa_user_sgpr_count 2
		.amdhsa_user_sgpr_dispatch_ptr 0
		.amdhsa_user_sgpr_queue_ptr 0
		.amdhsa_user_sgpr_kernarg_segment_ptr 1
		.amdhsa_user_sgpr_dispatch_id 0
		.amdhsa_user_sgpr_kernarg_preload_length 0
		.amdhsa_user_sgpr_kernarg_preload_offset 0
		.amdhsa_user_sgpr_private_segment_size 0
		.amdhsa_uses_dynamic_stack 0
		.amdhsa_enable_private_segment 0
		.amdhsa_system_sgpr_workgroup_id_x 1
		.amdhsa_system_sgpr_workgroup_id_y 0
		.amdhsa_system_sgpr_workgroup_id_z 0
		.amdhsa_system_sgpr_workgroup_info 0
		.amdhsa_system_vgpr_workitem_id 0
		.amdhsa_next_free_vgpr 1
		.amdhsa_next_free_sgpr 0
		.amdhsa_accum_offset 4
		.amdhsa_reserve_vcc 0
		.amdhsa_float_round_mode_32 0
		.amdhsa_float_round_mode_16_64 0
		.amdhsa_float_denorm_mode_32 3
		.amdhsa_float_denorm_mode_16_64 3
		.amdhsa_dx10_clamp 1
		.amdhsa_ieee_mode 1
		.amdhsa_fp16_overflow 0
		.amdhsa_tg_split 0
		.amdhsa_exception_fp_ieee_invalid_op 0
		.amdhsa_exception_fp_denorm_src 0
		.amdhsa_exception_fp_ieee_div_zero 0
		.amdhsa_exception_fp_ieee_overflow 0
		.amdhsa_exception_fp_ieee_underflow 0
		.amdhsa_exception_fp_ieee_inexact 0
		.amdhsa_exception_int_div_zero 0
	.end_amdhsa_kernel
	.section	.text._ZN7rocprim17ROCPRIM_400000_NS6detail17trampoline_kernelINS0_14default_configENS1_25partition_config_selectorILNS1_17partition_subalgoE5ElNS0_10empty_typeEbEEZZNS1_14partition_implILS5_5ELb0ES3_mN6hipcub16HIPCUB_304000_NS21CountingInputIteratorIllEEPS6_NSA_22TransformInputIteratorIb7NonZeroIdEPdlEENS0_5tupleIJPlS6_EEENSJ_IJSD_SD_EEES6_SK_JS6_EEE10hipError_tPvRmT3_T4_T5_T6_T7_T9_mT8_P12ihipStream_tbDpT10_ENKUlT_T0_E_clISt17integral_constantIbLb0EES15_IbLb1EEEEDaS11_S12_EUlS11_E_NS1_11comp_targetILNS1_3genE2ELNS1_11target_archE906ELNS1_3gpuE6ELNS1_3repE0EEENS1_30default_config_static_selectorELNS0_4arch9wavefront6targetE1EEEvT1_,"axG",@progbits,_ZN7rocprim17ROCPRIM_400000_NS6detail17trampoline_kernelINS0_14default_configENS1_25partition_config_selectorILNS1_17partition_subalgoE5ElNS0_10empty_typeEbEEZZNS1_14partition_implILS5_5ELb0ES3_mN6hipcub16HIPCUB_304000_NS21CountingInputIteratorIllEEPS6_NSA_22TransformInputIteratorIb7NonZeroIdEPdlEENS0_5tupleIJPlS6_EEENSJ_IJSD_SD_EEES6_SK_JS6_EEE10hipError_tPvRmT3_T4_T5_T6_T7_T9_mT8_P12ihipStream_tbDpT10_ENKUlT_T0_E_clISt17integral_constantIbLb0EES15_IbLb1EEEEDaS11_S12_EUlS11_E_NS1_11comp_targetILNS1_3genE2ELNS1_11target_archE906ELNS1_3gpuE6ELNS1_3repE0EEENS1_30default_config_static_selectorELNS0_4arch9wavefront6targetE1EEEvT1_,comdat
.Lfunc_end349:
	.size	_ZN7rocprim17ROCPRIM_400000_NS6detail17trampoline_kernelINS0_14default_configENS1_25partition_config_selectorILNS1_17partition_subalgoE5ElNS0_10empty_typeEbEEZZNS1_14partition_implILS5_5ELb0ES3_mN6hipcub16HIPCUB_304000_NS21CountingInputIteratorIllEEPS6_NSA_22TransformInputIteratorIb7NonZeroIdEPdlEENS0_5tupleIJPlS6_EEENSJ_IJSD_SD_EEES6_SK_JS6_EEE10hipError_tPvRmT3_T4_T5_T6_T7_T9_mT8_P12ihipStream_tbDpT10_ENKUlT_T0_E_clISt17integral_constantIbLb0EES15_IbLb1EEEEDaS11_S12_EUlS11_E_NS1_11comp_targetILNS1_3genE2ELNS1_11target_archE906ELNS1_3gpuE6ELNS1_3repE0EEENS1_30default_config_static_selectorELNS0_4arch9wavefront6targetE1EEEvT1_, .Lfunc_end349-_ZN7rocprim17ROCPRIM_400000_NS6detail17trampoline_kernelINS0_14default_configENS1_25partition_config_selectorILNS1_17partition_subalgoE5ElNS0_10empty_typeEbEEZZNS1_14partition_implILS5_5ELb0ES3_mN6hipcub16HIPCUB_304000_NS21CountingInputIteratorIllEEPS6_NSA_22TransformInputIteratorIb7NonZeroIdEPdlEENS0_5tupleIJPlS6_EEENSJ_IJSD_SD_EEES6_SK_JS6_EEE10hipError_tPvRmT3_T4_T5_T6_T7_T9_mT8_P12ihipStream_tbDpT10_ENKUlT_T0_E_clISt17integral_constantIbLb0EES15_IbLb1EEEEDaS11_S12_EUlS11_E_NS1_11comp_targetILNS1_3genE2ELNS1_11target_archE906ELNS1_3gpuE6ELNS1_3repE0EEENS1_30default_config_static_selectorELNS0_4arch9wavefront6targetE1EEEvT1_
                                        ; -- End function
	.set _ZN7rocprim17ROCPRIM_400000_NS6detail17trampoline_kernelINS0_14default_configENS1_25partition_config_selectorILNS1_17partition_subalgoE5ElNS0_10empty_typeEbEEZZNS1_14partition_implILS5_5ELb0ES3_mN6hipcub16HIPCUB_304000_NS21CountingInputIteratorIllEEPS6_NSA_22TransformInputIteratorIb7NonZeroIdEPdlEENS0_5tupleIJPlS6_EEENSJ_IJSD_SD_EEES6_SK_JS6_EEE10hipError_tPvRmT3_T4_T5_T6_T7_T9_mT8_P12ihipStream_tbDpT10_ENKUlT_T0_E_clISt17integral_constantIbLb0EES15_IbLb1EEEEDaS11_S12_EUlS11_E_NS1_11comp_targetILNS1_3genE2ELNS1_11target_archE906ELNS1_3gpuE6ELNS1_3repE0EEENS1_30default_config_static_selectorELNS0_4arch9wavefront6targetE1EEEvT1_.num_vgpr, 0
	.set _ZN7rocprim17ROCPRIM_400000_NS6detail17trampoline_kernelINS0_14default_configENS1_25partition_config_selectorILNS1_17partition_subalgoE5ElNS0_10empty_typeEbEEZZNS1_14partition_implILS5_5ELb0ES3_mN6hipcub16HIPCUB_304000_NS21CountingInputIteratorIllEEPS6_NSA_22TransformInputIteratorIb7NonZeroIdEPdlEENS0_5tupleIJPlS6_EEENSJ_IJSD_SD_EEES6_SK_JS6_EEE10hipError_tPvRmT3_T4_T5_T6_T7_T9_mT8_P12ihipStream_tbDpT10_ENKUlT_T0_E_clISt17integral_constantIbLb0EES15_IbLb1EEEEDaS11_S12_EUlS11_E_NS1_11comp_targetILNS1_3genE2ELNS1_11target_archE906ELNS1_3gpuE6ELNS1_3repE0EEENS1_30default_config_static_selectorELNS0_4arch9wavefront6targetE1EEEvT1_.num_agpr, 0
	.set _ZN7rocprim17ROCPRIM_400000_NS6detail17trampoline_kernelINS0_14default_configENS1_25partition_config_selectorILNS1_17partition_subalgoE5ElNS0_10empty_typeEbEEZZNS1_14partition_implILS5_5ELb0ES3_mN6hipcub16HIPCUB_304000_NS21CountingInputIteratorIllEEPS6_NSA_22TransformInputIteratorIb7NonZeroIdEPdlEENS0_5tupleIJPlS6_EEENSJ_IJSD_SD_EEES6_SK_JS6_EEE10hipError_tPvRmT3_T4_T5_T6_T7_T9_mT8_P12ihipStream_tbDpT10_ENKUlT_T0_E_clISt17integral_constantIbLb0EES15_IbLb1EEEEDaS11_S12_EUlS11_E_NS1_11comp_targetILNS1_3genE2ELNS1_11target_archE906ELNS1_3gpuE6ELNS1_3repE0EEENS1_30default_config_static_selectorELNS0_4arch9wavefront6targetE1EEEvT1_.numbered_sgpr, 0
	.set _ZN7rocprim17ROCPRIM_400000_NS6detail17trampoline_kernelINS0_14default_configENS1_25partition_config_selectorILNS1_17partition_subalgoE5ElNS0_10empty_typeEbEEZZNS1_14partition_implILS5_5ELb0ES3_mN6hipcub16HIPCUB_304000_NS21CountingInputIteratorIllEEPS6_NSA_22TransformInputIteratorIb7NonZeroIdEPdlEENS0_5tupleIJPlS6_EEENSJ_IJSD_SD_EEES6_SK_JS6_EEE10hipError_tPvRmT3_T4_T5_T6_T7_T9_mT8_P12ihipStream_tbDpT10_ENKUlT_T0_E_clISt17integral_constantIbLb0EES15_IbLb1EEEEDaS11_S12_EUlS11_E_NS1_11comp_targetILNS1_3genE2ELNS1_11target_archE906ELNS1_3gpuE6ELNS1_3repE0EEENS1_30default_config_static_selectorELNS0_4arch9wavefront6targetE1EEEvT1_.num_named_barrier, 0
	.set _ZN7rocprim17ROCPRIM_400000_NS6detail17trampoline_kernelINS0_14default_configENS1_25partition_config_selectorILNS1_17partition_subalgoE5ElNS0_10empty_typeEbEEZZNS1_14partition_implILS5_5ELb0ES3_mN6hipcub16HIPCUB_304000_NS21CountingInputIteratorIllEEPS6_NSA_22TransformInputIteratorIb7NonZeroIdEPdlEENS0_5tupleIJPlS6_EEENSJ_IJSD_SD_EEES6_SK_JS6_EEE10hipError_tPvRmT3_T4_T5_T6_T7_T9_mT8_P12ihipStream_tbDpT10_ENKUlT_T0_E_clISt17integral_constantIbLb0EES15_IbLb1EEEEDaS11_S12_EUlS11_E_NS1_11comp_targetILNS1_3genE2ELNS1_11target_archE906ELNS1_3gpuE6ELNS1_3repE0EEENS1_30default_config_static_selectorELNS0_4arch9wavefront6targetE1EEEvT1_.private_seg_size, 0
	.set _ZN7rocprim17ROCPRIM_400000_NS6detail17trampoline_kernelINS0_14default_configENS1_25partition_config_selectorILNS1_17partition_subalgoE5ElNS0_10empty_typeEbEEZZNS1_14partition_implILS5_5ELb0ES3_mN6hipcub16HIPCUB_304000_NS21CountingInputIteratorIllEEPS6_NSA_22TransformInputIteratorIb7NonZeroIdEPdlEENS0_5tupleIJPlS6_EEENSJ_IJSD_SD_EEES6_SK_JS6_EEE10hipError_tPvRmT3_T4_T5_T6_T7_T9_mT8_P12ihipStream_tbDpT10_ENKUlT_T0_E_clISt17integral_constantIbLb0EES15_IbLb1EEEEDaS11_S12_EUlS11_E_NS1_11comp_targetILNS1_3genE2ELNS1_11target_archE906ELNS1_3gpuE6ELNS1_3repE0EEENS1_30default_config_static_selectorELNS0_4arch9wavefront6targetE1EEEvT1_.uses_vcc, 0
	.set _ZN7rocprim17ROCPRIM_400000_NS6detail17trampoline_kernelINS0_14default_configENS1_25partition_config_selectorILNS1_17partition_subalgoE5ElNS0_10empty_typeEbEEZZNS1_14partition_implILS5_5ELb0ES3_mN6hipcub16HIPCUB_304000_NS21CountingInputIteratorIllEEPS6_NSA_22TransformInputIteratorIb7NonZeroIdEPdlEENS0_5tupleIJPlS6_EEENSJ_IJSD_SD_EEES6_SK_JS6_EEE10hipError_tPvRmT3_T4_T5_T6_T7_T9_mT8_P12ihipStream_tbDpT10_ENKUlT_T0_E_clISt17integral_constantIbLb0EES15_IbLb1EEEEDaS11_S12_EUlS11_E_NS1_11comp_targetILNS1_3genE2ELNS1_11target_archE906ELNS1_3gpuE6ELNS1_3repE0EEENS1_30default_config_static_selectorELNS0_4arch9wavefront6targetE1EEEvT1_.uses_flat_scratch, 0
	.set _ZN7rocprim17ROCPRIM_400000_NS6detail17trampoline_kernelINS0_14default_configENS1_25partition_config_selectorILNS1_17partition_subalgoE5ElNS0_10empty_typeEbEEZZNS1_14partition_implILS5_5ELb0ES3_mN6hipcub16HIPCUB_304000_NS21CountingInputIteratorIllEEPS6_NSA_22TransformInputIteratorIb7NonZeroIdEPdlEENS0_5tupleIJPlS6_EEENSJ_IJSD_SD_EEES6_SK_JS6_EEE10hipError_tPvRmT3_T4_T5_T6_T7_T9_mT8_P12ihipStream_tbDpT10_ENKUlT_T0_E_clISt17integral_constantIbLb0EES15_IbLb1EEEEDaS11_S12_EUlS11_E_NS1_11comp_targetILNS1_3genE2ELNS1_11target_archE906ELNS1_3gpuE6ELNS1_3repE0EEENS1_30default_config_static_selectorELNS0_4arch9wavefront6targetE1EEEvT1_.has_dyn_sized_stack, 0
	.set _ZN7rocprim17ROCPRIM_400000_NS6detail17trampoline_kernelINS0_14default_configENS1_25partition_config_selectorILNS1_17partition_subalgoE5ElNS0_10empty_typeEbEEZZNS1_14partition_implILS5_5ELb0ES3_mN6hipcub16HIPCUB_304000_NS21CountingInputIteratorIllEEPS6_NSA_22TransformInputIteratorIb7NonZeroIdEPdlEENS0_5tupleIJPlS6_EEENSJ_IJSD_SD_EEES6_SK_JS6_EEE10hipError_tPvRmT3_T4_T5_T6_T7_T9_mT8_P12ihipStream_tbDpT10_ENKUlT_T0_E_clISt17integral_constantIbLb0EES15_IbLb1EEEEDaS11_S12_EUlS11_E_NS1_11comp_targetILNS1_3genE2ELNS1_11target_archE906ELNS1_3gpuE6ELNS1_3repE0EEENS1_30default_config_static_selectorELNS0_4arch9wavefront6targetE1EEEvT1_.has_recursion, 0
	.set _ZN7rocprim17ROCPRIM_400000_NS6detail17trampoline_kernelINS0_14default_configENS1_25partition_config_selectorILNS1_17partition_subalgoE5ElNS0_10empty_typeEbEEZZNS1_14partition_implILS5_5ELb0ES3_mN6hipcub16HIPCUB_304000_NS21CountingInputIteratorIllEEPS6_NSA_22TransformInputIteratorIb7NonZeroIdEPdlEENS0_5tupleIJPlS6_EEENSJ_IJSD_SD_EEES6_SK_JS6_EEE10hipError_tPvRmT3_T4_T5_T6_T7_T9_mT8_P12ihipStream_tbDpT10_ENKUlT_T0_E_clISt17integral_constantIbLb0EES15_IbLb1EEEEDaS11_S12_EUlS11_E_NS1_11comp_targetILNS1_3genE2ELNS1_11target_archE906ELNS1_3gpuE6ELNS1_3repE0EEENS1_30default_config_static_selectorELNS0_4arch9wavefront6targetE1EEEvT1_.has_indirect_call, 0
	.section	.AMDGPU.csdata,"",@progbits
; Kernel info:
; codeLenInByte = 0
; TotalNumSgprs: 6
; NumVgprs: 0
; NumAgprs: 0
; TotalNumVgprs: 0
; ScratchSize: 0
; MemoryBound: 0
; FloatMode: 240
; IeeeMode: 1
; LDSByteSize: 0 bytes/workgroup (compile time only)
; SGPRBlocks: 0
; VGPRBlocks: 0
; NumSGPRsForWavesPerEU: 6
; NumVGPRsForWavesPerEU: 1
; AccumOffset: 4
; Occupancy: 8
; WaveLimiterHint : 0
; COMPUTE_PGM_RSRC2:SCRATCH_EN: 0
; COMPUTE_PGM_RSRC2:USER_SGPR: 2
; COMPUTE_PGM_RSRC2:TRAP_HANDLER: 0
; COMPUTE_PGM_RSRC2:TGID_X_EN: 1
; COMPUTE_PGM_RSRC2:TGID_Y_EN: 0
; COMPUTE_PGM_RSRC2:TGID_Z_EN: 0
; COMPUTE_PGM_RSRC2:TIDIG_COMP_CNT: 0
; COMPUTE_PGM_RSRC3_GFX90A:ACCUM_OFFSET: 0
; COMPUTE_PGM_RSRC3_GFX90A:TG_SPLIT: 0
	.section	.text._ZN7rocprim17ROCPRIM_400000_NS6detail17trampoline_kernelINS0_14default_configENS1_25partition_config_selectorILNS1_17partition_subalgoE5ElNS0_10empty_typeEbEEZZNS1_14partition_implILS5_5ELb0ES3_mN6hipcub16HIPCUB_304000_NS21CountingInputIteratorIllEEPS6_NSA_22TransformInputIteratorIb7NonZeroIdEPdlEENS0_5tupleIJPlS6_EEENSJ_IJSD_SD_EEES6_SK_JS6_EEE10hipError_tPvRmT3_T4_T5_T6_T7_T9_mT8_P12ihipStream_tbDpT10_ENKUlT_T0_E_clISt17integral_constantIbLb0EES15_IbLb1EEEEDaS11_S12_EUlS11_E_NS1_11comp_targetILNS1_3genE10ELNS1_11target_archE1200ELNS1_3gpuE4ELNS1_3repE0EEENS1_30default_config_static_selectorELNS0_4arch9wavefront6targetE1EEEvT1_,"axG",@progbits,_ZN7rocprim17ROCPRIM_400000_NS6detail17trampoline_kernelINS0_14default_configENS1_25partition_config_selectorILNS1_17partition_subalgoE5ElNS0_10empty_typeEbEEZZNS1_14partition_implILS5_5ELb0ES3_mN6hipcub16HIPCUB_304000_NS21CountingInputIteratorIllEEPS6_NSA_22TransformInputIteratorIb7NonZeroIdEPdlEENS0_5tupleIJPlS6_EEENSJ_IJSD_SD_EEES6_SK_JS6_EEE10hipError_tPvRmT3_T4_T5_T6_T7_T9_mT8_P12ihipStream_tbDpT10_ENKUlT_T0_E_clISt17integral_constantIbLb0EES15_IbLb1EEEEDaS11_S12_EUlS11_E_NS1_11comp_targetILNS1_3genE10ELNS1_11target_archE1200ELNS1_3gpuE4ELNS1_3repE0EEENS1_30default_config_static_selectorELNS0_4arch9wavefront6targetE1EEEvT1_,comdat
	.protected	_ZN7rocprim17ROCPRIM_400000_NS6detail17trampoline_kernelINS0_14default_configENS1_25partition_config_selectorILNS1_17partition_subalgoE5ElNS0_10empty_typeEbEEZZNS1_14partition_implILS5_5ELb0ES3_mN6hipcub16HIPCUB_304000_NS21CountingInputIteratorIllEEPS6_NSA_22TransformInputIteratorIb7NonZeroIdEPdlEENS0_5tupleIJPlS6_EEENSJ_IJSD_SD_EEES6_SK_JS6_EEE10hipError_tPvRmT3_T4_T5_T6_T7_T9_mT8_P12ihipStream_tbDpT10_ENKUlT_T0_E_clISt17integral_constantIbLb0EES15_IbLb1EEEEDaS11_S12_EUlS11_E_NS1_11comp_targetILNS1_3genE10ELNS1_11target_archE1200ELNS1_3gpuE4ELNS1_3repE0EEENS1_30default_config_static_selectorELNS0_4arch9wavefront6targetE1EEEvT1_ ; -- Begin function _ZN7rocprim17ROCPRIM_400000_NS6detail17trampoline_kernelINS0_14default_configENS1_25partition_config_selectorILNS1_17partition_subalgoE5ElNS0_10empty_typeEbEEZZNS1_14partition_implILS5_5ELb0ES3_mN6hipcub16HIPCUB_304000_NS21CountingInputIteratorIllEEPS6_NSA_22TransformInputIteratorIb7NonZeroIdEPdlEENS0_5tupleIJPlS6_EEENSJ_IJSD_SD_EEES6_SK_JS6_EEE10hipError_tPvRmT3_T4_T5_T6_T7_T9_mT8_P12ihipStream_tbDpT10_ENKUlT_T0_E_clISt17integral_constantIbLb0EES15_IbLb1EEEEDaS11_S12_EUlS11_E_NS1_11comp_targetILNS1_3genE10ELNS1_11target_archE1200ELNS1_3gpuE4ELNS1_3repE0EEENS1_30default_config_static_selectorELNS0_4arch9wavefront6targetE1EEEvT1_
	.globl	_ZN7rocprim17ROCPRIM_400000_NS6detail17trampoline_kernelINS0_14default_configENS1_25partition_config_selectorILNS1_17partition_subalgoE5ElNS0_10empty_typeEbEEZZNS1_14partition_implILS5_5ELb0ES3_mN6hipcub16HIPCUB_304000_NS21CountingInputIteratorIllEEPS6_NSA_22TransformInputIteratorIb7NonZeroIdEPdlEENS0_5tupleIJPlS6_EEENSJ_IJSD_SD_EEES6_SK_JS6_EEE10hipError_tPvRmT3_T4_T5_T6_T7_T9_mT8_P12ihipStream_tbDpT10_ENKUlT_T0_E_clISt17integral_constantIbLb0EES15_IbLb1EEEEDaS11_S12_EUlS11_E_NS1_11comp_targetILNS1_3genE10ELNS1_11target_archE1200ELNS1_3gpuE4ELNS1_3repE0EEENS1_30default_config_static_selectorELNS0_4arch9wavefront6targetE1EEEvT1_
	.p2align	8
	.type	_ZN7rocprim17ROCPRIM_400000_NS6detail17trampoline_kernelINS0_14default_configENS1_25partition_config_selectorILNS1_17partition_subalgoE5ElNS0_10empty_typeEbEEZZNS1_14partition_implILS5_5ELb0ES3_mN6hipcub16HIPCUB_304000_NS21CountingInputIteratorIllEEPS6_NSA_22TransformInputIteratorIb7NonZeroIdEPdlEENS0_5tupleIJPlS6_EEENSJ_IJSD_SD_EEES6_SK_JS6_EEE10hipError_tPvRmT3_T4_T5_T6_T7_T9_mT8_P12ihipStream_tbDpT10_ENKUlT_T0_E_clISt17integral_constantIbLb0EES15_IbLb1EEEEDaS11_S12_EUlS11_E_NS1_11comp_targetILNS1_3genE10ELNS1_11target_archE1200ELNS1_3gpuE4ELNS1_3repE0EEENS1_30default_config_static_selectorELNS0_4arch9wavefront6targetE1EEEvT1_,@function
_ZN7rocprim17ROCPRIM_400000_NS6detail17trampoline_kernelINS0_14default_configENS1_25partition_config_selectorILNS1_17partition_subalgoE5ElNS0_10empty_typeEbEEZZNS1_14partition_implILS5_5ELb0ES3_mN6hipcub16HIPCUB_304000_NS21CountingInputIteratorIllEEPS6_NSA_22TransformInputIteratorIb7NonZeroIdEPdlEENS0_5tupleIJPlS6_EEENSJ_IJSD_SD_EEES6_SK_JS6_EEE10hipError_tPvRmT3_T4_T5_T6_T7_T9_mT8_P12ihipStream_tbDpT10_ENKUlT_T0_E_clISt17integral_constantIbLb0EES15_IbLb1EEEEDaS11_S12_EUlS11_E_NS1_11comp_targetILNS1_3genE10ELNS1_11target_archE1200ELNS1_3gpuE4ELNS1_3repE0EEENS1_30default_config_static_selectorELNS0_4arch9wavefront6targetE1EEEvT1_: ; @_ZN7rocprim17ROCPRIM_400000_NS6detail17trampoline_kernelINS0_14default_configENS1_25partition_config_selectorILNS1_17partition_subalgoE5ElNS0_10empty_typeEbEEZZNS1_14partition_implILS5_5ELb0ES3_mN6hipcub16HIPCUB_304000_NS21CountingInputIteratorIllEEPS6_NSA_22TransformInputIteratorIb7NonZeroIdEPdlEENS0_5tupleIJPlS6_EEENSJ_IJSD_SD_EEES6_SK_JS6_EEE10hipError_tPvRmT3_T4_T5_T6_T7_T9_mT8_P12ihipStream_tbDpT10_ENKUlT_T0_E_clISt17integral_constantIbLb0EES15_IbLb1EEEEDaS11_S12_EUlS11_E_NS1_11comp_targetILNS1_3genE10ELNS1_11target_archE1200ELNS1_3gpuE4ELNS1_3repE0EEENS1_30default_config_static_selectorELNS0_4arch9wavefront6targetE1EEEvT1_
; %bb.0:
	.section	.rodata,"a",@progbits
	.p2align	6, 0x0
	.amdhsa_kernel _ZN7rocprim17ROCPRIM_400000_NS6detail17trampoline_kernelINS0_14default_configENS1_25partition_config_selectorILNS1_17partition_subalgoE5ElNS0_10empty_typeEbEEZZNS1_14partition_implILS5_5ELb0ES3_mN6hipcub16HIPCUB_304000_NS21CountingInputIteratorIllEEPS6_NSA_22TransformInputIteratorIb7NonZeroIdEPdlEENS0_5tupleIJPlS6_EEENSJ_IJSD_SD_EEES6_SK_JS6_EEE10hipError_tPvRmT3_T4_T5_T6_T7_T9_mT8_P12ihipStream_tbDpT10_ENKUlT_T0_E_clISt17integral_constantIbLb0EES15_IbLb1EEEEDaS11_S12_EUlS11_E_NS1_11comp_targetILNS1_3genE10ELNS1_11target_archE1200ELNS1_3gpuE4ELNS1_3repE0EEENS1_30default_config_static_selectorELNS0_4arch9wavefront6targetE1EEEvT1_
		.amdhsa_group_segment_fixed_size 0
		.amdhsa_private_segment_fixed_size 0
		.amdhsa_kernarg_size 136
		.amdhsa_user_sgpr_count 2
		.amdhsa_user_sgpr_dispatch_ptr 0
		.amdhsa_user_sgpr_queue_ptr 0
		.amdhsa_user_sgpr_kernarg_segment_ptr 1
		.amdhsa_user_sgpr_dispatch_id 0
		.amdhsa_user_sgpr_kernarg_preload_length 0
		.amdhsa_user_sgpr_kernarg_preload_offset 0
		.amdhsa_user_sgpr_private_segment_size 0
		.amdhsa_uses_dynamic_stack 0
		.amdhsa_enable_private_segment 0
		.amdhsa_system_sgpr_workgroup_id_x 1
		.amdhsa_system_sgpr_workgroup_id_y 0
		.amdhsa_system_sgpr_workgroup_id_z 0
		.amdhsa_system_sgpr_workgroup_info 0
		.amdhsa_system_vgpr_workitem_id 0
		.amdhsa_next_free_vgpr 1
		.amdhsa_next_free_sgpr 0
		.amdhsa_accum_offset 4
		.amdhsa_reserve_vcc 0
		.amdhsa_float_round_mode_32 0
		.amdhsa_float_round_mode_16_64 0
		.amdhsa_float_denorm_mode_32 3
		.amdhsa_float_denorm_mode_16_64 3
		.amdhsa_dx10_clamp 1
		.amdhsa_ieee_mode 1
		.amdhsa_fp16_overflow 0
		.amdhsa_tg_split 0
		.amdhsa_exception_fp_ieee_invalid_op 0
		.amdhsa_exception_fp_denorm_src 0
		.amdhsa_exception_fp_ieee_div_zero 0
		.amdhsa_exception_fp_ieee_overflow 0
		.amdhsa_exception_fp_ieee_underflow 0
		.amdhsa_exception_fp_ieee_inexact 0
		.amdhsa_exception_int_div_zero 0
	.end_amdhsa_kernel
	.section	.text._ZN7rocprim17ROCPRIM_400000_NS6detail17trampoline_kernelINS0_14default_configENS1_25partition_config_selectorILNS1_17partition_subalgoE5ElNS0_10empty_typeEbEEZZNS1_14partition_implILS5_5ELb0ES3_mN6hipcub16HIPCUB_304000_NS21CountingInputIteratorIllEEPS6_NSA_22TransformInputIteratorIb7NonZeroIdEPdlEENS0_5tupleIJPlS6_EEENSJ_IJSD_SD_EEES6_SK_JS6_EEE10hipError_tPvRmT3_T4_T5_T6_T7_T9_mT8_P12ihipStream_tbDpT10_ENKUlT_T0_E_clISt17integral_constantIbLb0EES15_IbLb1EEEEDaS11_S12_EUlS11_E_NS1_11comp_targetILNS1_3genE10ELNS1_11target_archE1200ELNS1_3gpuE4ELNS1_3repE0EEENS1_30default_config_static_selectorELNS0_4arch9wavefront6targetE1EEEvT1_,"axG",@progbits,_ZN7rocprim17ROCPRIM_400000_NS6detail17trampoline_kernelINS0_14default_configENS1_25partition_config_selectorILNS1_17partition_subalgoE5ElNS0_10empty_typeEbEEZZNS1_14partition_implILS5_5ELb0ES3_mN6hipcub16HIPCUB_304000_NS21CountingInputIteratorIllEEPS6_NSA_22TransformInputIteratorIb7NonZeroIdEPdlEENS0_5tupleIJPlS6_EEENSJ_IJSD_SD_EEES6_SK_JS6_EEE10hipError_tPvRmT3_T4_T5_T6_T7_T9_mT8_P12ihipStream_tbDpT10_ENKUlT_T0_E_clISt17integral_constantIbLb0EES15_IbLb1EEEEDaS11_S12_EUlS11_E_NS1_11comp_targetILNS1_3genE10ELNS1_11target_archE1200ELNS1_3gpuE4ELNS1_3repE0EEENS1_30default_config_static_selectorELNS0_4arch9wavefront6targetE1EEEvT1_,comdat
.Lfunc_end350:
	.size	_ZN7rocprim17ROCPRIM_400000_NS6detail17trampoline_kernelINS0_14default_configENS1_25partition_config_selectorILNS1_17partition_subalgoE5ElNS0_10empty_typeEbEEZZNS1_14partition_implILS5_5ELb0ES3_mN6hipcub16HIPCUB_304000_NS21CountingInputIteratorIllEEPS6_NSA_22TransformInputIteratorIb7NonZeroIdEPdlEENS0_5tupleIJPlS6_EEENSJ_IJSD_SD_EEES6_SK_JS6_EEE10hipError_tPvRmT3_T4_T5_T6_T7_T9_mT8_P12ihipStream_tbDpT10_ENKUlT_T0_E_clISt17integral_constantIbLb0EES15_IbLb1EEEEDaS11_S12_EUlS11_E_NS1_11comp_targetILNS1_3genE10ELNS1_11target_archE1200ELNS1_3gpuE4ELNS1_3repE0EEENS1_30default_config_static_selectorELNS0_4arch9wavefront6targetE1EEEvT1_, .Lfunc_end350-_ZN7rocprim17ROCPRIM_400000_NS6detail17trampoline_kernelINS0_14default_configENS1_25partition_config_selectorILNS1_17partition_subalgoE5ElNS0_10empty_typeEbEEZZNS1_14partition_implILS5_5ELb0ES3_mN6hipcub16HIPCUB_304000_NS21CountingInputIteratorIllEEPS6_NSA_22TransformInputIteratorIb7NonZeroIdEPdlEENS0_5tupleIJPlS6_EEENSJ_IJSD_SD_EEES6_SK_JS6_EEE10hipError_tPvRmT3_T4_T5_T6_T7_T9_mT8_P12ihipStream_tbDpT10_ENKUlT_T0_E_clISt17integral_constantIbLb0EES15_IbLb1EEEEDaS11_S12_EUlS11_E_NS1_11comp_targetILNS1_3genE10ELNS1_11target_archE1200ELNS1_3gpuE4ELNS1_3repE0EEENS1_30default_config_static_selectorELNS0_4arch9wavefront6targetE1EEEvT1_
                                        ; -- End function
	.set _ZN7rocprim17ROCPRIM_400000_NS6detail17trampoline_kernelINS0_14default_configENS1_25partition_config_selectorILNS1_17partition_subalgoE5ElNS0_10empty_typeEbEEZZNS1_14partition_implILS5_5ELb0ES3_mN6hipcub16HIPCUB_304000_NS21CountingInputIteratorIllEEPS6_NSA_22TransformInputIteratorIb7NonZeroIdEPdlEENS0_5tupleIJPlS6_EEENSJ_IJSD_SD_EEES6_SK_JS6_EEE10hipError_tPvRmT3_T4_T5_T6_T7_T9_mT8_P12ihipStream_tbDpT10_ENKUlT_T0_E_clISt17integral_constantIbLb0EES15_IbLb1EEEEDaS11_S12_EUlS11_E_NS1_11comp_targetILNS1_3genE10ELNS1_11target_archE1200ELNS1_3gpuE4ELNS1_3repE0EEENS1_30default_config_static_selectorELNS0_4arch9wavefront6targetE1EEEvT1_.num_vgpr, 0
	.set _ZN7rocprim17ROCPRIM_400000_NS6detail17trampoline_kernelINS0_14default_configENS1_25partition_config_selectorILNS1_17partition_subalgoE5ElNS0_10empty_typeEbEEZZNS1_14partition_implILS5_5ELb0ES3_mN6hipcub16HIPCUB_304000_NS21CountingInputIteratorIllEEPS6_NSA_22TransformInputIteratorIb7NonZeroIdEPdlEENS0_5tupleIJPlS6_EEENSJ_IJSD_SD_EEES6_SK_JS6_EEE10hipError_tPvRmT3_T4_T5_T6_T7_T9_mT8_P12ihipStream_tbDpT10_ENKUlT_T0_E_clISt17integral_constantIbLb0EES15_IbLb1EEEEDaS11_S12_EUlS11_E_NS1_11comp_targetILNS1_3genE10ELNS1_11target_archE1200ELNS1_3gpuE4ELNS1_3repE0EEENS1_30default_config_static_selectorELNS0_4arch9wavefront6targetE1EEEvT1_.num_agpr, 0
	.set _ZN7rocprim17ROCPRIM_400000_NS6detail17trampoline_kernelINS0_14default_configENS1_25partition_config_selectorILNS1_17partition_subalgoE5ElNS0_10empty_typeEbEEZZNS1_14partition_implILS5_5ELb0ES3_mN6hipcub16HIPCUB_304000_NS21CountingInputIteratorIllEEPS6_NSA_22TransformInputIteratorIb7NonZeroIdEPdlEENS0_5tupleIJPlS6_EEENSJ_IJSD_SD_EEES6_SK_JS6_EEE10hipError_tPvRmT3_T4_T5_T6_T7_T9_mT8_P12ihipStream_tbDpT10_ENKUlT_T0_E_clISt17integral_constantIbLb0EES15_IbLb1EEEEDaS11_S12_EUlS11_E_NS1_11comp_targetILNS1_3genE10ELNS1_11target_archE1200ELNS1_3gpuE4ELNS1_3repE0EEENS1_30default_config_static_selectorELNS0_4arch9wavefront6targetE1EEEvT1_.numbered_sgpr, 0
	.set _ZN7rocprim17ROCPRIM_400000_NS6detail17trampoline_kernelINS0_14default_configENS1_25partition_config_selectorILNS1_17partition_subalgoE5ElNS0_10empty_typeEbEEZZNS1_14partition_implILS5_5ELb0ES3_mN6hipcub16HIPCUB_304000_NS21CountingInputIteratorIllEEPS6_NSA_22TransformInputIteratorIb7NonZeroIdEPdlEENS0_5tupleIJPlS6_EEENSJ_IJSD_SD_EEES6_SK_JS6_EEE10hipError_tPvRmT3_T4_T5_T6_T7_T9_mT8_P12ihipStream_tbDpT10_ENKUlT_T0_E_clISt17integral_constantIbLb0EES15_IbLb1EEEEDaS11_S12_EUlS11_E_NS1_11comp_targetILNS1_3genE10ELNS1_11target_archE1200ELNS1_3gpuE4ELNS1_3repE0EEENS1_30default_config_static_selectorELNS0_4arch9wavefront6targetE1EEEvT1_.num_named_barrier, 0
	.set _ZN7rocprim17ROCPRIM_400000_NS6detail17trampoline_kernelINS0_14default_configENS1_25partition_config_selectorILNS1_17partition_subalgoE5ElNS0_10empty_typeEbEEZZNS1_14partition_implILS5_5ELb0ES3_mN6hipcub16HIPCUB_304000_NS21CountingInputIteratorIllEEPS6_NSA_22TransformInputIteratorIb7NonZeroIdEPdlEENS0_5tupleIJPlS6_EEENSJ_IJSD_SD_EEES6_SK_JS6_EEE10hipError_tPvRmT3_T4_T5_T6_T7_T9_mT8_P12ihipStream_tbDpT10_ENKUlT_T0_E_clISt17integral_constantIbLb0EES15_IbLb1EEEEDaS11_S12_EUlS11_E_NS1_11comp_targetILNS1_3genE10ELNS1_11target_archE1200ELNS1_3gpuE4ELNS1_3repE0EEENS1_30default_config_static_selectorELNS0_4arch9wavefront6targetE1EEEvT1_.private_seg_size, 0
	.set _ZN7rocprim17ROCPRIM_400000_NS6detail17trampoline_kernelINS0_14default_configENS1_25partition_config_selectorILNS1_17partition_subalgoE5ElNS0_10empty_typeEbEEZZNS1_14partition_implILS5_5ELb0ES3_mN6hipcub16HIPCUB_304000_NS21CountingInputIteratorIllEEPS6_NSA_22TransformInputIteratorIb7NonZeroIdEPdlEENS0_5tupleIJPlS6_EEENSJ_IJSD_SD_EEES6_SK_JS6_EEE10hipError_tPvRmT3_T4_T5_T6_T7_T9_mT8_P12ihipStream_tbDpT10_ENKUlT_T0_E_clISt17integral_constantIbLb0EES15_IbLb1EEEEDaS11_S12_EUlS11_E_NS1_11comp_targetILNS1_3genE10ELNS1_11target_archE1200ELNS1_3gpuE4ELNS1_3repE0EEENS1_30default_config_static_selectorELNS0_4arch9wavefront6targetE1EEEvT1_.uses_vcc, 0
	.set _ZN7rocprim17ROCPRIM_400000_NS6detail17trampoline_kernelINS0_14default_configENS1_25partition_config_selectorILNS1_17partition_subalgoE5ElNS0_10empty_typeEbEEZZNS1_14partition_implILS5_5ELb0ES3_mN6hipcub16HIPCUB_304000_NS21CountingInputIteratorIllEEPS6_NSA_22TransformInputIteratorIb7NonZeroIdEPdlEENS0_5tupleIJPlS6_EEENSJ_IJSD_SD_EEES6_SK_JS6_EEE10hipError_tPvRmT3_T4_T5_T6_T7_T9_mT8_P12ihipStream_tbDpT10_ENKUlT_T0_E_clISt17integral_constantIbLb0EES15_IbLb1EEEEDaS11_S12_EUlS11_E_NS1_11comp_targetILNS1_3genE10ELNS1_11target_archE1200ELNS1_3gpuE4ELNS1_3repE0EEENS1_30default_config_static_selectorELNS0_4arch9wavefront6targetE1EEEvT1_.uses_flat_scratch, 0
	.set _ZN7rocprim17ROCPRIM_400000_NS6detail17trampoline_kernelINS0_14default_configENS1_25partition_config_selectorILNS1_17partition_subalgoE5ElNS0_10empty_typeEbEEZZNS1_14partition_implILS5_5ELb0ES3_mN6hipcub16HIPCUB_304000_NS21CountingInputIteratorIllEEPS6_NSA_22TransformInputIteratorIb7NonZeroIdEPdlEENS0_5tupleIJPlS6_EEENSJ_IJSD_SD_EEES6_SK_JS6_EEE10hipError_tPvRmT3_T4_T5_T6_T7_T9_mT8_P12ihipStream_tbDpT10_ENKUlT_T0_E_clISt17integral_constantIbLb0EES15_IbLb1EEEEDaS11_S12_EUlS11_E_NS1_11comp_targetILNS1_3genE10ELNS1_11target_archE1200ELNS1_3gpuE4ELNS1_3repE0EEENS1_30default_config_static_selectorELNS0_4arch9wavefront6targetE1EEEvT1_.has_dyn_sized_stack, 0
	.set _ZN7rocprim17ROCPRIM_400000_NS6detail17trampoline_kernelINS0_14default_configENS1_25partition_config_selectorILNS1_17partition_subalgoE5ElNS0_10empty_typeEbEEZZNS1_14partition_implILS5_5ELb0ES3_mN6hipcub16HIPCUB_304000_NS21CountingInputIteratorIllEEPS6_NSA_22TransformInputIteratorIb7NonZeroIdEPdlEENS0_5tupleIJPlS6_EEENSJ_IJSD_SD_EEES6_SK_JS6_EEE10hipError_tPvRmT3_T4_T5_T6_T7_T9_mT8_P12ihipStream_tbDpT10_ENKUlT_T0_E_clISt17integral_constantIbLb0EES15_IbLb1EEEEDaS11_S12_EUlS11_E_NS1_11comp_targetILNS1_3genE10ELNS1_11target_archE1200ELNS1_3gpuE4ELNS1_3repE0EEENS1_30default_config_static_selectorELNS0_4arch9wavefront6targetE1EEEvT1_.has_recursion, 0
	.set _ZN7rocprim17ROCPRIM_400000_NS6detail17trampoline_kernelINS0_14default_configENS1_25partition_config_selectorILNS1_17partition_subalgoE5ElNS0_10empty_typeEbEEZZNS1_14partition_implILS5_5ELb0ES3_mN6hipcub16HIPCUB_304000_NS21CountingInputIteratorIllEEPS6_NSA_22TransformInputIteratorIb7NonZeroIdEPdlEENS0_5tupleIJPlS6_EEENSJ_IJSD_SD_EEES6_SK_JS6_EEE10hipError_tPvRmT3_T4_T5_T6_T7_T9_mT8_P12ihipStream_tbDpT10_ENKUlT_T0_E_clISt17integral_constantIbLb0EES15_IbLb1EEEEDaS11_S12_EUlS11_E_NS1_11comp_targetILNS1_3genE10ELNS1_11target_archE1200ELNS1_3gpuE4ELNS1_3repE0EEENS1_30default_config_static_selectorELNS0_4arch9wavefront6targetE1EEEvT1_.has_indirect_call, 0
	.section	.AMDGPU.csdata,"",@progbits
; Kernel info:
; codeLenInByte = 0
; TotalNumSgprs: 6
; NumVgprs: 0
; NumAgprs: 0
; TotalNumVgprs: 0
; ScratchSize: 0
; MemoryBound: 0
; FloatMode: 240
; IeeeMode: 1
; LDSByteSize: 0 bytes/workgroup (compile time only)
; SGPRBlocks: 0
; VGPRBlocks: 0
; NumSGPRsForWavesPerEU: 6
; NumVGPRsForWavesPerEU: 1
; AccumOffset: 4
; Occupancy: 8
; WaveLimiterHint : 0
; COMPUTE_PGM_RSRC2:SCRATCH_EN: 0
; COMPUTE_PGM_RSRC2:USER_SGPR: 2
; COMPUTE_PGM_RSRC2:TRAP_HANDLER: 0
; COMPUTE_PGM_RSRC2:TGID_X_EN: 1
; COMPUTE_PGM_RSRC2:TGID_Y_EN: 0
; COMPUTE_PGM_RSRC2:TGID_Z_EN: 0
; COMPUTE_PGM_RSRC2:TIDIG_COMP_CNT: 0
; COMPUTE_PGM_RSRC3_GFX90A:ACCUM_OFFSET: 0
; COMPUTE_PGM_RSRC3_GFX90A:TG_SPLIT: 0
	.section	.text._ZN7rocprim17ROCPRIM_400000_NS6detail17trampoline_kernelINS0_14default_configENS1_25partition_config_selectorILNS1_17partition_subalgoE5ElNS0_10empty_typeEbEEZZNS1_14partition_implILS5_5ELb0ES3_mN6hipcub16HIPCUB_304000_NS21CountingInputIteratorIllEEPS6_NSA_22TransformInputIteratorIb7NonZeroIdEPdlEENS0_5tupleIJPlS6_EEENSJ_IJSD_SD_EEES6_SK_JS6_EEE10hipError_tPvRmT3_T4_T5_T6_T7_T9_mT8_P12ihipStream_tbDpT10_ENKUlT_T0_E_clISt17integral_constantIbLb0EES15_IbLb1EEEEDaS11_S12_EUlS11_E_NS1_11comp_targetILNS1_3genE9ELNS1_11target_archE1100ELNS1_3gpuE3ELNS1_3repE0EEENS1_30default_config_static_selectorELNS0_4arch9wavefront6targetE1EEEvT1_,"axG",@progbits,_ZN7rocprim17ROCPRIM_400000_NS6detail17trampoline_kernelINS0_14default_configENS1_25partition_config_selectorILNS1_17partition_subalgoE5ElNS0_10empty_typeEbEEZZNS1_14partition_implILS5_5ELb0ES3_mN6hipcub16HIPCUB_304000_NS21CountingInputIteratorIllEEPS6_NSA_22TransformInputIteratorIb7NonZeroIdEPdlEENS0_5tupleIJPlS6_EEENSJ_IJSD_SD_EEES6_SK_JS6_EEE10hipError_tPvRmT3_T4_T5_T6_T7_T9_mT8_P12ihipStream_tbDpT10_ENKUlT_T0_E_clISt17integral_constantIbLb0EES15_IbLb1EEEEDaS11_S12_EUlS11_E_NS1_11comp_targetILNS1_3genE9ELNS1_11target_archE1100ELNS1_3gpuE3ELNS1_3repE0EEENS1_30default_config_static_selectorELNS0_4arch9wavefront6targetE1EEEvT1_,comdat
	.protected	_ZN7rocprim17ROCPRIM_400000_NS6detail17trampoline_kernelINS0_14default_configENS1_25partition_config_selectorILNS1_17partition_subalgoE5ElNS0_10empty_typeEbEEZZNS1_14partition_implILS5_5ELb0ES3_mN6hipcub16HIPCUB_304000_NS21CountingInputIteratorIllEEPS6_NSA_22TransformInputIteratorIb7NonZeroIdEPdlEENS0_5tupleIJPlS6_EEENSJ_IJSD_SD_EEES6_SK_JS6_EEE10hipError_tPvRmT3_T4_T5_T6_T7_T9_mT8_P12ihipStream_tbDpT10_ENKUlT_T0_E_clISt17integral_constantIbLb0EES15_IbLb1EEEEDaS11_S12_EUlS11_E_NS1_11comp_targetILNS1_3genE9ELNS1_11target_archE1100ELNS1_3gpuE3ELNS1_3repE0EEENS1_30default_config_static_selectorELNS0_4arch9wavefront6targetE1EEEvT1_ ; -- Begin function _ZN7rocprim17ROCPRIM_400000_NS6detail17trampoline_kernelINS0_14default_configENS1_25partition_config_selectorILNS1_17partition_subalgoE5ElNS0_10empty_typeEbEEZZNS1_14partition_implILS5_5ELb0ES3_mN6hipcub16HIPCUB_304000_NS21CountingInputIteratorIllEEPS6_NSA_22TransformInputIteratorIb7NonZeroIdEPdlEENS0_5tupleIJPlS6_EEENSJ_IJSD_SD_EEES6_SK_JS6_EEE10hipError_tPvRmT3_T4_T5_T6_T7_T9_mT8_P12ihipStream_tbDpT10_ENKUlT_T0_E_clISt17integral_constantIbLb0EES15_IbLb1EEEEDaS11_S12_EUlS11_E_NS1_11comp_targetILNS1_3genE9ELNS1_11target_archE1100ELNS1_3gpuE3ELNS1_3repE0EEENS1_30default_config_static_selectorELNS0_4arch9wavefront6targetE1EEEvT1_
	.globl	_ZN7rocprim17ROCPRIM_400000_NS6detail17trampoline_kernelINS0_14default_configENS1_25partition_config_selectorILNS1_17partition_subalgoE5ElNS0_10empty_typeEbEEZZNS1_14partition_implILS5_5ELb0ES3_mN6hipcub16HIPCUB_304000_NS21CountingInputIteratorIllEEPS6_NSA_22TransformInputIteratorIb7NonZeroIdEPdlEENS0_5tupleIJPlS6_EEENSJ_IJSD_SD_EEES6_SK_JS6_EEE10hipError_tPvRmT3_T4_T5_T6_T7_T9_mT8_P12ihipStream_tbDpT10_ENKUlT_T0_E_clISt17integral_constantIbLb0EES15_IbLb1EEEEDaS11_S12_EUlS11_E_NS1_11comp_targetILNS1_3genE9ELNS1_11target_archE1100ELNS1_3gpuE3ELNS1_3repE0EEENS1_30default_config_static_selectorELNS0_4arch9wavefront6targetE1EEEvT1_
	.p2align	8
	.type	_ZN7rocprim17ROCPRIM_400000_NS6detail17trampoline_kernelINS0_14default_configENS1_25partition_config_selectorILNS1_17partition_subalgoE5ElNS0_10empty_typeEbEEZZNS1_14partition_implILS5_5ELb0ES3_mN6hipcub16HIPCUB_304000_NS21CountingInputIteratorIllEEPS6_NSA_22TransformInputIteratorIb7NonZeroIdEPdlEENS0_5tupleIJPlS6_EEENSJ_IJSD_SD_EEES6_SK_JS6_EEE10hipError_tPvRmT3_T4_T5_T6_T7_T9_mT8_P12ihipStream_tbDpT10_ENKUlT_T0_E_clISt17integral_constantIbLb0EES15_IbLb1EEEEDaS11_S12_EUlS11_E_NS1_11comp_targetILNS1_3genE9ELNS1_11target_archE1100ELNS1_3gpuE3ELNS1_3repE0EEENS1_30default_config_static_selectorELNS0_4arch9wavefront6targetE1EEEvT1_,@function
_ZN7rocprim17ROCPRIM_400000_NS6detail17trampoline_kernelINS0_14default_configENS1_25partition_config_selectorILNS1_17partition_subalgoE5ElNS0_10empty_typeEbEEZZNS1_14partition_implILS5_5ELb0ES3_mN6hipcub16HIPCUB_304000_NS21CountingInputIteratorIllEEPS6_NSA_22TransformInputIteratorIb7NonZeroIdEPdlEENS0_5tupleIJPlS6_EEENSJ_IJSD_SD_EEES6_SK_JS6_EEE10hipError_tPvRmT3_T4_T5_T6_T7_T9_mT8_P12ihipStream_tbDpT10_ENKUlT_T0_E_clISt17integral_constantIbLb0EES15_IbLb1EEEEDaS11_S12_EUlS11_E_NS1_11comp_targetILNS1_3genE9ELNS1_11target_archE1100ELNS1_3gpuE3ELNS1_3repE0EEENS1_30default_config_static_selectorELNS0_4arch9wavefront6targetE1EEEvT1_: ; @_ZN7rocprim17ROCPRIM_400000_NS6detail17trampoline_kernelINS0_14default_configENS1_25partition_config_selectorILNS1_17partition_subalgoE5ElNS0_10empty_typeEbEEZZNS1_14partition_implILS5_5ELb0ES3_mN6hipcub16HIPCUB_304000_NS21CountingInputIteratorIllEEPS6_NSA_22TransformInputIteratorIb7NonZeroIdEPdlEENS0_5tupleIJPlS6_EEENSJ_IJSD_SD_EEES6_SK_JS6_EEE10hipError_tPvRmT3_T4_T5_T6_T7_T9_mT8_P12ihipStream_tbDpT10_ENKUlT_T0_E_clISt17integral_constantIbLb0EES15_IbLb1EEEEDaS11_S12_EUlS11_E_NS1_11comp_targetILNS1_3genE9ELNS1_11target_archE1100ELNS1_3gpuE3ELNS1_3repE0EEENS1_30default_config_static_selectorELNS0_4arch9wavefront6targetE1EEEvT1_
; %bb.0:
	.section	.rodata,"a",@progbits
	.p2align	6, 0x0
	.amdhsa_kernel _ZN7rocprim17ROCPRIM_400000_NS6detail17trampoline_kernelINS0_14default_configENS1_25partition_config_selectorILNS1_17partition_subalgoE5ElNS0_10empty_typeEbEEZZNS1_14partition_implILS5_5ELb0ES3_mN6hipcub16HIPCUB_304000_NS21CountingInputIteratorIllEEPS6_NSA_22TransformInputIteratorIb7NonZeroIdEPdlEENS0_5tupleIJPlS6_EEENSJ_IJSD_SD_EEES6_SK_JS6_EEE10hipError_tPvRmT3_T4_T5_T6_T7_T9_mT8_P12ihipStream_tbDpT10_ENKUlT_T0_E_clISt17integral_constantIbLb0EES15_IbLb1EEEEDaS11_S12_EUlS11_E_NS1_11comp_targetILNS1_3genE9ELNS1_11target_archE1100ELNS1_3gpuE3ELNS1_3repE0EEENS1_30default_config_static_selectorELNS0_4arch9wavefront6targetE1EEEvT1_
		.amdhsa_group_segment_fixed_size 0
		.amdhsa_private_segment_fixed_size 0
		.amdhsa_kernarg_size 136
		.amdhsa_user_sgpr_count 2
		.amdhsa_user_sgpr_dispatch_ptr 0
		.amdhsa_user_sgpr_queue_ptr 0
		.amdhsa_user_sgpr_kernarg_segment_ptr 1
		.amdhsa_user_sgpr_dispatch_id 0
		.amdhsa_user_sgpr_kernarg_preload_length 0
		.amdhsa_user_sgpr_kernarg_preload_offset 0
		.amdhsa_user_sgpr_private_segment_size 0
		.amdhsa_uses_dynamic_stack 0
		.amdhsa_enable_private_segment 0
		.amdhsa_system_sgpr_workgroup_id_x 1
		.amdhsa_system_sgpr_workgroup_id_y 0
		.amdhsa_system_sgpr_workgroup_id_z 0
		.amdhsa_system_sgpr_workgroup_info 0
		.amdhsa_system_vgpr_workitem_id 0
		.amdhsa_next_free_vgpr 1
		.amdhsa_next_free_sgpr 0
		.amdhsa_accum_offset 4
		.amdhsa_reserve_vcc 0
		.amdhsa_float_round_mode_32 0
		.amdhsa_float_round_mode_16_64 0
		.amdhsa_float_denorm_mode_32 3
		.amdhsa_float_denorm_mode_16_64 3
		.amdhsa_dx10_clamp 1
		.amdhsa_ieee_mode 1
		.amdhsa_fp16_overflow 0
		.amdhsa_tg_split 0
		.amdhsa_exception_fp_ieee_invalid_op 0
		.amdhsa_exception_fp_denorm_src 0
		.amdhsa_exception_fp_ieee_div_zero 0
		.amdhsa_exception_fp_ieee_overflow 0
		.amdhsa_exception_fp_ieee_underflow 0
		.amdhsa_exception_fp_ieee_inexact 0
		.amdhsa_exception_int_div_zero 0
	.end_amdhsa_kernel
	.section	.text._ZN7rocprim17ROCPRIM_400000_NS6detail17trampoline_kernelINS0_14default_configENS1_25partition_config_selectorILNS1_17partition_subalgoE5ElNS0_10empty_typeEbEEZZNS1_14partition_implILS5_5ELb0ES3_mN6hipcub16HIPCUB_304000_NS21CountingInputIteratorIllEEPS6_NSA_22TransformInputIteratorIb7NonZeroIdEPdlEENS0_5tupleIJPlS6_EEENSJ_IJSD_SD_EEES6_SK_JS6_EEE10hipError_tPvRmT3_T4_T5_T6_T7_T9_mT8_P12ihipStream_tbDpT10_ENKUlT_T0_E_clISt17integral_constantIbLb0EES15_IbLb1EEEEDaS11_S12_EUlS11_E_NS1_11comp_targetILNS1_3genE9ELNS1_11target_archE1100ELNS1_3gpuE3ELNS1_3repE0EEENS1_30default_config_static_selectorELNS0_4arch9wavefront6targetE1EEEvT1_,"axG",@progbits,_ZN7rocprim17ROCPRIM_400000_NS6detail17trampoline_kernelINS0_14default_configENS1_25partition_config_selectorILNS1_17partition_subalgoE5ElNS0_10empty_typeEbEEZZNS1_14partition_implILS5_5ELb0ES3_mN6hipcub16HIPCUB_304000_NS21CountingInputIteratorIllEEPS6_NSA_22TransformInputIteratorIb7NonZeroIdEPdlEENS0_5tupleIJPlS6_EEENSJ_IJSD_SD_EEES6_SK_JS6_EEE10hipError_tPvRmT3_T4_T5_T6_T7_T9_mT8_P12ihipStream_tbDpT10_ENKUlT_T0_E_clISt17integral_constantIbLb0EES15_IbLb1EEEEDaS11_S12_EUlS11_E_NS1_11comp_targetILNS1_3genE9ELNS1_11target_archE1100ELNS1_3gpuE3ELNS1_3repE0EEENS1_30default_config_static_selectorELNS0_4arch9wavefront6targetE1EEEvT1_,comdat
.Lfunc_end351:
	.size	_ZN7rocprim17ROCPRIM_400000_NS6detail17trampoline_kernelINS0_14default_configENS1_25partition_config_selectorILNS1_17partition_subalgoE5ElNS0_10empty_typeEbEEZZNS1_14partition_implILS5_5ELb0ES3_mN6hipcub16HIPCUB_304000_NS21CountingInputIteratorIllEEPS6_NSA_22TransformInputIteratorIb7NonZeroIdEPdlEENS0_5tupleIJPlS6_EEENSJ_IJSD_SD_EEES6_SK_JS6_EEE10hipError_tPvRmT3_T4_T5_T6_T7_T9_mT8_P12ihipStream_tbDpT10_ENKUlT_T0_E_clISt17integral_constantIbLb0EES15_IbLb1EEEEDaS11_S12_EUlS11_E_NS1_11comp_targetILNS1_3genE9ELNS1_11target_archE1100ELNS1_3gpuE3ELNS1_3repE0EEENS1_30default_config_static_selectorELNS0_4arch9wavefront6targetE1EEEvT1_, .Lfunc_end351-_ZN7rocprim17ROCPRIM_400000_NS6detail17trampoline_kernelINS0_14default_configENS1_25partition_config_selectorILNS1_17partition_subalgoE5ElNS0_10empty_typeEbEEZZNS1_14partition_implILS5_5ELb0ES3_mN6hipcub16HIPCUB_304000_NS21CountingInputIteratorIllEEPS6_NSA_22TransformInputIteratorIb7NonZeroIdEPdlEENS0_5tupleIJPlS6_EEENSJ_IJSD_SD_EEES6_SK_JS6_EEE10hipError_tPvRmT3_T4_T5_T6_T7_T9_mT8_P12ihipStream_tbDpT10_ENKUlT_T0_E_clISt17integral_constantIbLb0EES15_IbLb1EEEEDaS11_S12_EUlS11_E_NS1_11comp_targetILNS1_3genE9ELNS1_11target_archE1100ELNS1_3gpuE3ELNS1_3repE0EEENS1_30default_config_static_selectorELNS0_4arch9wavefront6targetE1EEEvT1_
                                        ; -- End function
	.set _ZN7rocprim17ROCPRIM_400000_NS6detail17trampoline_kernelINS0_14default_configENS1_25partition_config_selectorILNS1_17partition_subalgoE5ElNS0_10empty_typeEbEEZZNS1_14partition_implILS5_5ELb0ES3_mN6hipcub16HIPCUB_304000_NS21CountingInputIteratorIllEEPS6_NSA_22TransformInputIteratorIb7NonZeroIdEPdlEENS0_5tupleIJPlS6_EEENSJ_IJSD_SD_EEES6_SK_JS6_EEE10hipError_tPvRmT3_T4_T5_T6_T7_T9_mT8_P12ihipStream_tbDpT10_ENKUlT_T0_E_clISt17integral_constantIbLb0EES15_IbLb1EEEEDaS11_S12_EUlS11_E_NS1_11comp_targetILNS1_3genE9ELNS1_11target_archE1100ELNS1_3gpuE3ELNS1_3repE0EEENS1_30default_config_static_selectorELNS0_4arch9wavefront6targetE1EEEvT1_.num_vgpr, 0
	.set _ZN7rocprim17ROCPRIM_400000_NS6detail17trampoline_kernelINS0_14default_configENS1_25partition_config_selectorILNS1_17partition_subalgoE5ElNS0_10empty_typeEbEEZZNS1_14partition_implILS5_5ELb0ES3_mN6hipcub16HIPCUB_304000_NS21CountingInputIteratorIllEEPS6_NSA_22TransformInputIteratorIb7NonZeroIdEPdlEENS0_5tupleIJPlS6_EEENSJ_IJSD_SD_EEES6_SK_JS6_EEE10hipError_tPvRmT3_T4_T5_T6_T7_T9_mT8_P12ihipStream_tbDpT10_ENKUlT_T0_E_clISt17integral_constantIbLb0EES15_IbLb1EEEEDaS11_S12_EUlS11_E_NS1_11comp_targetILNS1_3genE9ELNS1_11target_archE1100ELNS1_3gpuE3ELNS1_3repE0EEENS1_30default_config_static_selectorELNS0_4arch9wavefront6targetE1EEEvT1_.num_agpr, 0
	.set _ZN7rocprim17ROCPRIM_400000_NS6detail17trampoline_kernelINS0_14default_configENS1_25partition_config_selectorILNS1_17partition_subalgoE5ElNS0_10empty_typeEbEEZZNS1_14partition_implILS5_5ELb0ES3_mN6hipcub16HIPCUB_304000_NS21CountingInputIteratorIllEEPS6_NSA_22TransformInputIteratorIb7NonZeroIdEPdlEENS0_5tupleIJPlS6_EEENSJ_IJSD_SD_EEES6_SK_JS6_EEE10hipError_tPvRmT3_T4_T5_T6_T7_T9_mT8_P12ihipStream_tbDpT10_ENKUlT_T0_E_clISt17integral_constantIbLb0EES15_IbLb1EEEEDaS11_S12_EUlS11_E_NS1_11comp_targetILNS1_3genE9ELNS1_11target_archE1100ELNS1_3gpuE3ELNS1_3repE0EEENS1_30default_config_static_selectorELNS0_4arch9wavefront6targetE1EEEvT1_.numbered_sgpr, 0
	.set _ZN7rocprim17ROCPRIM_400000_NS6detail17trampoline_kernelINS0_14default_configENS1_25partition_config_selectorILNS1_17partition_subalgoE5ElNS0_10empty_typeEbEEZZNS1_14partition_implILS5_5ELb0ES3_mN6hipcub16HIPCUB_304000_NS21CountingInputIteratorIllEEPS6_NSA_22TransformInputIteratorIb7NonZeroIdEPdlEENS0_5tupleIJPlS6_EEENSJ_IJSD_SD_EEES6_SK_JS6_EEE10hipError_tPvRmT3_T4_T5_T6_T7_T9_mT8_P12ihipStream_tbDpT10_ENKUlT_T0_E_clISt17integral_constantIbLb0EES15_IbLb1EEEEDaS11_S12_EUlS11_E_NS1_11comp_targetILNS1_3genE9ELNS1_11target_archE1100ELNS1_3gpuE3ELNS1_3repE0EEENS1_30default_config_static_selectorELNS0_4arch9wavefront6targetE1EEEvT1_.num_named_barrier, 0
	.set _ZN7rocprim17ROCPRIM_400000_NS6detail17trampoline_kernelINS0_14default_configENS1_25partition_config_selectorILNS1_17partition_subalgoE5ElNS0_10empty_typeEbEEZZNS1_14partition_implILS5_5ELb0ES3_mN6hipcub16HIPCUB_304000_NS21CountingInputIteratorIllEEPS6_NSA_22TransformInputIteratorIb7NonZeroIdEPdlEENS0_5tupleIJPlS6_EEENSJ_IJSD_SD_EEES6_SK_JS6_EEE10hipError_tPvRmT3_T4_T5_T6_T7_T9_mT8_P12ihipStream_tbDpT10_ENKUlT_T0_E_clISt17integral_constantIbLb0EES15_IbLb1EEEEDaS11_S12_EUlS11_E_NS1_11comp_targetILNS1_3genE9ELNS1_11target_archE1100ELNS1_3gpuE3ELNS1_3repE0EEENS1_30default_config_static_selectorELNS0_4arch9wavefront6targetE1EEEvT1_.private_seg_size, 0
	.set _ZN7rocprim17ROCPRIM_400000_NS6detail17trampoline_kernelINS0_14default_configENS1_25partition_config_selectorILNS1_17partition_subalgoE5ElNS0_10empty_typeEbEEZZNS1_14partition_implILS5_5ELb0ES3_mN6hipcub16HIPCUB_304000_NS21CountingInputIteratorIllEEPS6_NSA_22TransformInputIteratorIb7NonZeroIdEPdlEENS0_5tupleIJPlS6_EEENSJ_IJSD_SD_EEES6_SK_JS6_EEE10hipError_tPvRmT3_T4_T5_T6_T7_T9_mT8_P12ihipStream_tbDpT10_ENKUlT_T0_E_clISt17integral_constantIbLb0EES15_IbLb1EEEEDaS11_S12_EUlS11_E_NS1_11comp_targetILNS1_3genE9ELNS1_11target_archE1100ELNS1_3gpuE3ELNS1_3repE0EEENS1_30default_config_static_selectorELNS0_4arch9wavefront6targetE1EEEvT1_.uses_vcc, 0
	.set _ZN7rocprim17ROCPRIM_400000_NS6detail17trampoline_kernelINS0_14default_configENS1_25partition_config_selectorILNS1_17partition_subalgoE5ElNS0_10empty_typeEbEEZZNS1_14partition_implILS5_5ELb0ES3_mN6hipcub16HIPCUB_304000_NS21CountingInputIteratorIllEEPS6_NSA_22TransformInputIteratorIb7NonZeroIdEPdlEENS0_5tupleIJPlS6_EEENSJ_IJSD_SD_EEES6_SK_JS6_EEE10hipError_tPvRmT3_T4_T5_T6_T7_T9_mT8_P12ihipStream_tbDpT10_ENKUlT_T0_E_clISt17integral_constantIbLb0EES15_IbLb1EEEEDaS11_S12_EUlS11_E_NS1_11comp_targetILNS1_3genE9ELNS1_11target_archE1100ELNS1_3gpuE3ELNS1_3repE0EEENS1_30default_config_static_selectorELNS0_4arch9wavefront6targetE1EEEvT1_.uses_flat_scratch, 0
	.set _ZN7rocprim17ROCPRIM_400000_NS6detail17trampoline_kernelINS0_14default_configENS1_25partition_config_selectorILNS1_17partition_subalgoE5ElNS0_10empty_typeEbEEZZNS1_14partition_implILS5_5ELb0ES3_mN6hipcub16HIPCUB_304000_NS21CountingInputIteratorIllEEPS6_NSA_22TransformInputIteratorIb7NonZeroIdEPdlEENS0_5tupleIJPlS6_EEENSJ_IJSD_SD_EEES6_SK_JS6_EEE10hipError_tPvRmT3_T4_T5_T6_T7_T9_mT8_P12ihipStream_tbDpT10_ENKUlT_T0_E_clISt17integral_constantIbLb0EES15_IbLb1EEEEDaS11_S12_EUlS11_E_NS1_11comp_targetILNS1_3genE9ELNS1_11target_archE1100ELNS1_3gpuE3ELNS1_3repE0EEENS1_30default_config_static_selectorELNS0_4arch9wavefront6targetE1EEEvT1_.has_dyn_sized_stack, 0
	.set _ZN7rocprim17ROCPRIM_400000_NS6detail17trampoline_kernelINS0_14default_configENS1_25partition_config_selectorILNS1_17partition_subalgoE5ElNS0_10empty_typeEbEEZZNS1_14partition_implILS5_5ELb0ES3_mN6hipcub16HIPCUB_304000_NS21CountingInputIteratorIllEEPS6_NSA_22TransformInputIteratorIb7NonZeroIdEPdlEENS0_5tupleIJPlS6_EEENSJ_IJSD_SD_EEES6_SK_JS6_EEE10hipError_tPvRmT3_T4_T5_T6_T7_T9_mT8_P12ihipStream_tbDpT10_ENKUlT_T0_E_clISt17integral_constantIbLb0EES15_IbLb1EEEEDaS11_S12_EUlS11_E_NS1_11comp_targetILNS1_3genE9ELNS1_11target_archE1100ELNS1_3gpuE3ELNS1_3repE0EEENS1_30default_config_static_selectorELNS0_4arch9wavefront6targetE1EEEvT1_.has_recursion, 0
	.set _ZN7rocprim17ROCPRIM_400000_NS6detail17trampoline_kernelINS0_14default_configENS1_25partition_config_selectorILNS1_17partition_subalgoE5ElNS0_10empty_typeEbEEZZNS1_14partition_implILS5_5ELb0ES3_mN6hipcub16HIPCUB_304000_NS21CountingInputIteratorIllEEPS6_NSA_22TransformInputIteratorIb7NonZeroIdEPdlEENS0_5tupleIJPlS6_EEENSJ_IJSD_SD_EEES6_SK_JS6_EEE10hipError_tPvRmT3_T4_T5_T6_T7_T9_mT8_P12ihipStream_tbDpT10_ENKUlT_T0_E_clISt17integral_constantIbLb0EES15_IbLb1EEEEDaS11_S12_EUlS11_E_NS1_11comp_targetILNS1_3genE9ELNS1_11target_archE1100ELNS1_3gpuE3ELNS1_3repE0EEENS1_30default_config_static_selectorELNS0_4arch9wavefront6targetE1EEEvT1_.has_indirect_call, 0
	.section	.AMDGPU.csdata,"",@progbits
; Kernel info:
; codeLenInByte = 0
; TotalNumSgprs: 6
; NumVgprs: 0
; NumAgprs: 0
; TotalNumVgprs: 0
; ScratchSize: 0
; MemoryBound: 0
; FloatMode: 240
; IeeeMode: 1
; LDSByteSize: 0 bytes/workgroup (compile time only)
; SGPRBlocks: 0
; VGPRBlocks: 0
; NumSGPRsForWavesPerEU: 6
; NumVGPRsForWavesPerEU: 1
; AccumOffset: 4
; Occupancy: 8
; WaveLimiterHint : 0
; COMPUTE_PGM_RSRC2:SCRATCH_EN: 0
; COMPUTE_PGM_RSRC2:USER_SGPR: 2
; COMPUTE_PGM_RSRC2:TRAP_HANDLER: 0
; COMPUTE_PGM_RSRC2:TGID_X_EN: 1
; COMPUTE_PGM_RSRC2:TGID_Y_EN: 0
; COMPUTE_PGM_RSRC2:TGID_Z_EN: 0
; COMPUTE_PGM_RSRC2:TIDIG_COMP_CNT: 0
; COMPUTE_PGM_RSRC3_GFX90A:ACCUM_OFFSET: 0
; COMPUTE_PGM_RSRC3_GFX90A:TG_SPLIT: 0
	.section	.text._ZN7rocprim17ROCPRIM_400000_NS6detail17trampoline_kernelINS0_14default_configENS1_25partition_config_selectorILNS1_17partition_subalgoE5ElNS0_10empty_typeEbEEZZNS1_14partition_implILS5_5ELb0ES3_mN6hipcub16HIPCUB_304000_NS21CountingInputIteratorIllEEPS6_NSA_22TransformInputIteratorIb7NonZeroIdEPdlEENS0_5tupleIJPlS6_EEENSJ_IJSD_SD_EEES6_SK_JS6_EEE10hipError_tPvRmT3_T4_T5_T6_T7_T9_mT8_P12ihipStream_tbDpT10_ENKUlT_T0_E_clISt17integral_constantIbLb0EES15_IbLb1EEEEDaS11_S12_EUlS11_E_NS1_11comp_targetILNS1_3genE8ELNS1_11target_archE1030ELNS1_3gpuE2ELNS1_3repE0EEENS1_30default_config_static_selectorELNS0_4arch9wavefront6targetE1EEEvT1_,"axG",@progbits,_ZN7rocprim17ROCPRIM_400000_NS6detail17trampoline_kernelINS0_14default_configENS1_25partition_config_selectorILNS1_17partition_subalgoE5ElNS0_10empty_typeEbEEZZNS1_14partition_implILS5_5ELb0ES3_mN6hipcub16HIPCUB_304000_NS21CountingInputIteratorIllEEPS6_NSA_22TransformInputIteratorIb7NonZeroIdEPdlEENS0_5tupleIJPlS6_EEENSJ_IJSD_SD_EEES6_SK_JS6_EEE10hipError_tPvRmT3_T4_T5_T6_T7_T9_mT8_P12ihipStream_tbDpT10_ENKUlT_T0_E_clISt17integral_constantIbLb0EES15_IbLb1EEEEDaS11_S12_EUlS11_E_NS1_11comp_targetILNS1_3genE8ELNS1_11target_archE1030ELNS1_3gpuE2ELNS1_3repE0EEENS1_30default_config_static_selectorELNS0_4arch9wavefront6targetE1EEEvT1_,comdat
	.protected	_ZN7rocprim17ROCPRIM_400000_NS6detail17trampoline_kernelINS0_14default_configENS1_25partition_config_selectorILNS1_17partition_subalgoE5ElNS0_10empty_typeEbEEZZNS1_14partition_implILS5_5ELb0ES3_mN6hipcub16HIPCUB_304000_NS21CountingInputIteratorIllEEPS6_NSA_22TransformInputIteratorIb7NonZeroIdEPdlEENS0_5tupleIJPlS6_EEENSJ_IJSD_SD_EEES6_SK_JS6_EEE10hipError_tPvRmT3_T4_T5_T6_T7_T9_mT8_P12ihipStream_tbDpT10_ENKUlT_T0_E_clISt17integral_constantIbLb0EES15_IbLb1EEEEDaS11_S12_EUlS11_E_NS1_11comp_targetILNS1_3genE8ELNS1_11target_archE1030ELNS1_3gpuE2ELNS1_3repE0EEENS1_30default_config_static_selectorELNS0_4arch9wavefront6targetE1EEEvT1_ ; -- Begin function _ZN7rocprim17ROCPRIM_400000_NS6detail17trampoline_kernelINS0_14default_configENS1_25partition_config_selectorILNS1_17partition_subalgoE5ElNS0_10empty_typeEbEEZZNS1_14partition_implILS5_5ELb0ES3_mN6hipcub16HIPCUB_304000_NS21CountingInputIteratorIllEEPS6_NSA_22TransformInputIteratorIb7NonZeroIdEPdlEENS0_5tupleIJPlS6_EEENSJ_IJSD_SD_EEES6_SK_JS6_EEE10hipError_tPvRmT3_T4_T5_T6_T7_T9_mT8_P12ihipStream_tbDpT10_ENKUlT_T0_E_clISt17integral_constantIbLb0EES15_IbLb1EEEEDaS11_S12_EUlS11_E_NS1_11comp_targetILNS1_3genE8ELNS1_11target_archE1030ELNS1_3gpuE2ELNS1_3repE0EEENS1_30default_config_static_selectorELNS0_4arch9wavefront6targetE1EEEvT1_
	.globl	_ZN7rocprim17ROCPRIM_400000_NS6detail17trampoline_kernelINS0_14default_configENS1_25partition_config_selectorILNS1_17partition_subalgoE5ElNS0_10empty_typeEbEEZZNS1_14partition_implILS5_5ELb0ES3_mN6hipcub16HIPCUB_304000_NS21CountingInputIteratorIllEEPS6_NSA_22TransformInputIteratorIb7NonZeroIdEPdlEENS0_5tupleIJPlS6_EEENSJ_IJSD_SD_EEES6_SK_JS6_EEE10hipError_tPvRmT3_T4_T5_T6_T7_T9_mT8_P12ihipStream_tbDpT10_ENKUlT_T0_E_clISt17integral_constantIbLb0EES15_IbLb1EEEEDaS11_S12_EUlS11_E_NS1_11comp_targetILNS1_3genE8ELNS1_11target_archE1030ELNS1_3gpuE2ELNS1_3repE0EEENS1_30default_config_static_selectorELNS0_4arch9wavefront6targetE1EEEvT1_
	.p2align	8
	.type	_ZN7rocprim17ROCPRIM_400000_NS6detail17trampoline_kernelINS0_14default_configENS1_25partition_config_selectorILNS1_17partition_subalgoE5ElNS0_10empty_typeEbEEZZNS1_14partition_implILS5_5ELb0ES3_mN6hipcub16HIPCUB_304000_NS21CountingInputIteratorIllEEPS6_NSA_22TransformInputIteratorIb7NonZeroIdEPdlEENS0_5tupleIJPlS6_EEENSJ_IJSD_SD_EEES6_SK_JS6_EEE10hipError_tPvRmT3_T4_T5_T6_T7_T9_mT8_P12ihipStream_tbDpT10_ENKUlT_T0_E_clISt17integral_constantIbLb0EES15_IbLb1EEEEDaS11_S12_EUlS11_E_NS1_11comp_targetILNS1_3genE8ELNS1_11target_archE1030ELNS1_3gpuE2ELNS1_3repE0EEENS1_30default_config_static_selectorELNS0_4arch9wavefront6targetE1EEEvT1_,@function
_ZN7rocprim17ROCPRIM_400000_NS6detail17trampoline_kernelINS0_14default_configENS1_25partition_config_selectorILNS1_17partition_subalgoE5ElNS0_10empty_typeEbEEZZNS1_14partition_implILS5_5ELb0ES3_mN6hipcub16HIPCUB_304000_NS21CountingInputIteratorIllEEPS6_NSA_22TransformInputIteratorIb7NonZeroIdEPdlEENS0_5tupleIJPlS6_EEENSJ_IJSD_SD_EEES6_SK_JS6_EEE10hipError_tPvRmT3_T4_T5_T6_T7_T9_mT8_P12ihipStream_tbDpT10_ENKUlT_T0_E_clISt17integral_constantIbLb0EES15_IbLb1EEEEDaS11_S12_EUlS11_E_NS1_11comp_targetILNS1_3genE8ELNS1_11target_archE1030ELNS1_3gpuE2ELNS1_3repE0EEENS1_30default_config_static_selectorELNS0_4arch9wavefront6targetE1EEEvT1_: ; @_ZN7rocprim17ROCPRIM_400000_NS6detail17trampoline_kernelINS0_14default_configENS1_25partition_config_selectorILNS1_17partition_subalgoE5ElNS0_10empty_typeEbEEZZNS1_14partition_implILS5_5ELb0ES3_mN6hipcub16HIPCUB_304000_NS21CountingInputIteratorIllEEPS6_NSA_22TransformInputIteratorIb7NonZeroIdEPdlEENS0_5tupleIJPlS6_EEENSJ_IJSD_SD_EEES6_SK_JS6_EEE10hipError_tPvRmT3_T4_T5_T6_T7_T9_mT8_P12ihipStream_tbDpT10_ENKUlT_T0_E_clISt17integral_constantIbLb0EES15_IbLb1EEEEDaS11_S12_EUlS11_E_NS1_11comp_targetILNS1_3genE8ELNS1_11target_archE1030ELNS1_3gpuE2ELNS1_3repE0EEENS1_30default_config_static_selectorELNS0_4arch9wavefront6targetE1EEEvT1_
; %bb.0:
	.section	.rodata,"a",@progbits
	.p2align	6, 0x0
	.amdhsa_kernel _ZN7rocprim17ROCPRIM_400000_NS6detail17trampoline_kernelINS0_14default_configENS1_25partition_config_selectorILNS1_17partition_subalgoE5ElNS0_10empty_typeEbEEZZNS1_14partition_implILS5_5ELb0ES3_mN6hipcub16HIPCUB_304000_NS21CountingInputIteratorIllEEPS6_NSA_22TransformInputIteratorIb7NonZeroIdEPdlEENS0_5tupleIJPlS6_EEENSJ_IJSD_SD_EEES6_SK_JS6_EEE10hipError_tPvRmT3_T4_T5_T6_T7_T9_mT8_P12ihipStream_tbDpT10_ENKUlT_T0_E_clISt17integral_constantIbLb0EES15_IbLb1EEEEDaS11_S12_EUlS11_E_NS1_11comp_targetILNS1_3genE8ELNS1_11target_archE1030ELNS1_3gpuE2ELNS1_3repE0EEENS1_30default_config_static_selectorELNS0_4arch9wavefront6targetE1EEEvT1_
		.amdhsa_group_segment_fixed_size 0
		.amdhsa_private_segment_fixed_size 0
		.amdhsa_kernarg_size 136
		.amdhsa_user_sgpr_count 2
		.amdhsa_user_sgpr_dispatch_ptr 0
		.amdhsa_user_sgpr_queue_ptr 0
		.amdhsa_user_sgpr_kernarg_segment_ptr 1
		.amdhsa_user_sgpr_dispatch_id 0
		.amdhsa_user_sgpr_kernarg_preload_length 0
		.amdhsa_user_sgpr_kernarg_preload_offset 0
		.amdhsa_user_sgpr_private_segment_size 0
		.amdhsa_uses_dynamic_stack 0
		.amdhsa_enable_private_segment 0
		.amdhsa_system_sgpr_workgroup_id_x 1
		.amdhsa_system_sgpr_workgroup_id_y 0
		.amdhsa_system_sgpr_workgroup_id_z 0
		.amdhsa_system_sgpr_workgroup_info 0
		.amdhsa_system_vgpr_workitem_id 0
		.amdhsa_next_free_vgpr 1
		.amdhsa_next_free_sgpr 0
		.amdhsa_accum_offset 4
		.amdhsa_reserve_vcc 0
		.amdhsa_float_round_mode_32 0
		.amdhsa_float_round_mode_16_64 0
		.amdhsa_float_denorm_mode_32 3
		.amdhsa_float_denorm_mode_16_64 3
		.amdhsa_dx10_clamp 1
		.amdhsa_ieee_mode 1
		.amdhsa_fp16_overflow 0
		.amdhsa_tg_split 0
		.amdhsa_exception_fp_ieee_invalid_op 0
		.amdhsa_exception_fp_denorm_src 0
		.amdhsa_exception_fp_ieee_div_zero 0
		.amdhsa_exception_fp_ieee_overflow 0
		.amdhsa_exception_fp_ieee_underflow 0
		.amdhsa_exception_fp_ieee_inexact 0
		.amdhsa_exception_int_div_zero 0
	.end_amdhsa_kernel
	.section	.text._ZN7rocprim17ROCPRIM_400000_NS6detail17trampoline_kernelINS0_14default_configENS1_25partition_config_selectorILNS1_17partition_subalgoE5ElNS0_10empty_typeEbEEZZNS1_14partition_implILS5_5ELb0ES3_mN6hipcub16HIPCUB_304000_NS21CountingInputIteratorIllEEPS6_NSA_22TransformInputIteratorIb7NonZeroIdEPdlEENS0_5tupleIJPlS6_EEENSJ_IJSD_SD_EEES6_SK_JS6_EEE10hipError_tPvRmT3_T4_T5_T6_T7_T9_mT8_P12ihipStream_tbDpT10_ENKUlT_T0_E_clISt17integral_constantIbLb0EES15_IbLb1EEEEDaS11_S12_EUlS11_E_NS1_11comp_targetILNS1_3genE8ELNS1_11target_archE1030ELNS1_3gpuE2ELNS1_3repE0EEENS1_30default_config_static_selectorELNS0_4arch9wavefront6targetE1EEEvT1_,"axG",@progbits,_ZN7rocprim17ROCPRIM_400000_NS6detail17trampoline_kernelINS0_14default_configENS1_25partition_config_selectorILNS1_17partition_subalgoE5ElNS0_10empty_typeEbEEZZNS1_14partition_implILS5_5ELb0ES3_mN6hipcub16HIPCUB_304000_NS21CountingInputIteratorIllEEPS6_NSA_22TransformInputIteratorIb7NonZeroIdEPdlEENS0_5tupleIJPlS6_EEENSJ_IJSD_SD_EEES6_SK_JS6_EEE10hipError_tPvRmT3_T4_T5_T6_T7_T9_mT8_P12ihipStream_tbDpT10_ENKUlT_T0_E_clISt17integral_constantIbLb0EES15_IbLb1EEEEDaS11_S12_EUlS11_E_NS1_11comp_targetILNS1_3genE8ELNS1_11target_archE1030ELNS1_3gpuE2ELNS1_3repE0EEENS1_30default_config_static_selectorELNS0_4arch9wavefront6targetE1EEEvT1_,comdat
.Lfunc_end352:
	.size	_ZN7rocprim17ROCPRIM_400000_NS6detail17trampoline_kernelINS0_14default_configENS1_25partition_config_selectorILNS1_17partition_subalgoE5ElNS0_10empty_typeEbEEZZNS1_14partition_implILS5_5ELb0ES3_mN6hipcub16HIPCUB_304000_NS21CountingInputIteratorIllEEPS6_NSA_22TransformInputIteratorIb7NonZeroIdEPdlEENS0_5tupleIJPlS6_EEENSJ_IJSD_SD_EEES6_SK_JS6_EEE10hipError_tPvRmT3_T4_T5_T6_T7_T9_mT8_P12ihipStream_tbDpT10_ENKUlT_T0_E_clISt17integral_constantIbLb0EES15_IbLb1EEEEDaS11_S12_EUlS11_E_NS1_11comp_targetILNS1_3genE8ELNS1_11target_archE1030ELNS1_3gpuE2ELNS1_3repE0EEENS1_30default_config_static_selectorELNS0_4arch9wavefront6targetE1EEEvT1_, .Lfunc_end352-_ZN7rocprim17ROCPRIM_400000_NS6detail17trampoline_kernelINS0_14default_configENS1_25partition_config_selectorILNS1_17partition_subalgoE5ElNS0_10empty_typeEbEEZZNS1_14partition_implILS5_5ELb0ES3_mN6hipcub16HIPCUB_304000_NS21CountingInputIteratorIllEEPS6_NSA_22TransformInputIteratorIb7NonZeroIdEPdlEENS0_5tupleIJPlS6_EEENSJ_IJSD_SD_EEES6_SK_JS6_EEE10hipError_tPvRmT3_T4_T5_T6_T7_T9_mT8_P12ihipStream_tbDpT10_ENKUlT_T0_E_clISt17integral_constantIbLb0EES15_IbLb1EEEEDaS11_S12_EUlS11_E_NS1_11comp_targetILNS1_3genE8ELNS1_11target_archE1030ELNS1_3gpuE2ELNS1_3repE0EEENS1_30default_config_static_selectorELNS0_4arch9wavefront6targetE1EEEvT1_
                                        ; -- End function
	.set _ZN7rocprim17ROCPRIM_400000_NS6detail17trampoline_kernelINS0_14default_configENS1_25partition_config_selectorILNS1_17partition_subalgoE5ElNS0_10empty_typeEbEEZZNS1_14partition_implILS5_5ELb0ES3_mN6hipcub16HIPCUB_304000_NS21CountingInputIteratorIllEEPS6_NSA_22TransformInputIteratorIb7NonZeroIdEPdlEENS0_5tupleIJPlS6_EEENSJ_IJSD_SD_EEES6_SK_JS6_EEE10hipError_tPvRmT3_T4_T5_T6_T7_T9_mT8_P12ihipStream_tbDpT10_ENKUlT_T0_E_clISt17integral_constantIbLb0EES15_IbLb1EEEEDaS11_S12_EUlS11_E_NS1_11comp_targetILNS1_3genE8ELNS1_11target_archE1030ELNS1_3gpuE2ELNS1_3repE0EEENS1_30default_config_static_selectorELNS0_4arch9wavefront6targetE1EEEvT1_.num_vgpr, 0
	.set _ZN7rocprim17ROCPRIM_400000_NS6detail17trampoline_kernelINS0_14default_configENS1_25partition_config_selectorILNS1_17partition_subalgoE5ElNS0_10empty_typeEbEEZZNS1_14partition_implILS5_5ELb0ES3_mN6hipcub16HIPCUB_304000_NS21CountingInputIteratorIllEEPS6_NSA_22TransformInputIteratorIb7NonZeroIdEPdlEENS0_5tupleIJPlS6_EEENSJ_IJSD_SD_EEES6_SK_JS6_EEE10hipError_tPvRmT3_T4_T5_T6_T7_T9_mT8_P12ihipStream_tbDpT10_ENKUlT_T0_E_clISt17integral_constantIbLb0EES15_IbLb1EEEEDaS11_S12_EUlS11_E_NS1_11comp_targetILNS1_3genE8ELNS1_11target_archE1030ELNS1_3gpuE2ELNS1_3repE0EEENS1_30default_config_static_selectorELNS0_4arch9wavefront6targetE1EEEvT1_.num_agpr, 0
	.set _ZN7rocprim17ROCPRIM_400000_NS6detail17trampoline_kernelINS0_14default_configENS1_25partition_config_selectorILNS1_17partition_subalgoE5ElNS0_10empty_typeEbEEZZNS1_14partition_implILS5_5ELb0ES3_mN6hipcub16HIPCUB_304000_NS21CountingInputIteratorIllEEPS6_NSA_22TransformInputIteratorIb7NonZeroIdEPdlEENS0_5tupleIJPlS6_EEENSJ_IJSD_SD_EEES6_SK_JS6_EEE10hipError_tPvRmT3_T4_T5_T6_T7_T9_mT8_P12ihipStream_tbDpT10_ENKUlT_T0_E_clISt17integral_constantIbLb0EES15_IbLb1EEEEDaS11_S12_EUlS11_E_NS1_11comp_targetILNS1_3genE8ELNS1_11target_archE1030ELNS1_3gpuE2ELNS1_3repE0EEENS1_30default_config_static_selectorELNS0_4arch9wavefront6targetE1EEEvT1_.numbered_sgpr, 0
	.set _ZN7rocprim17ROCPRIM_400000_NS6detail17trampoline_kernelINS0_14default_configENS1_25partition_config_selectorILNS1_17partition_subalgoE5ElNS0_10empty_typeEbEEZZNS1_14partition_implILS5_5ELb0ES3_mN6hipcub16HIPCUB_304000_NS21CountingInputIteratorIllEEPS6_NSA_22TransformInputIteratorIb7NonZeroIdEPdlEENS0_5tupleIJPlS6_EEENSJ_IJSD_SD_EEES6_SK_JS6_EEE10hipError_tPvRmT3_T4_T5_T6_T7_T9_mT8_P12ihipStream_tbDpT10_ENKUlT_T0_E_clISt17integral_constantIbLb0EES15_IbLb1EEEEDaS11_S12_EUlS11_E_NS1_11comp_targetILNS1_3genE8ELNS1_11target_archE1030ELNS1_3gpuE2ELNS1_3repE0EEENS1_30default_config_static_selectorELNS0_4arch9wavefront6targetE1EEEvT1_.num_named_barrier, 0
	.set _ZN7rocprim17ROCPRIM_400000_NS6detail17trampoline_kernelINS0_14default_configENS1_25partition_config_selectorILNS1_17partition_subalgoE5ElNS0_10empty_typeEbEEZZNS1_14partition_implILS5_5ELb0ES3_mN6hipcub16HIPCUB_304000_NS21CountingInputIteratorIllEEPS6_NSA_22TransformInputIteratorIb7NonZeroIdEPdlEENS0_5tupleIJPlS6_EEENSJ_IJSD_SD_EEES6_SK_JS6_EEE10hipError_tPvRmT3_T4_T5_T6_T7_T9_mT8_P12ihipStream_tbDpT10_ENKUlT_T0_E_clISt17integral_constantIbLb0EES15_IbLb1EEEEDaS11_S12_EUlS11_E_NS1_11comp_targetILNS1_3genE8ELNS1_11target_archE1030ELNS1_3gpuE2ELNS1_3repE0EEENS1_30default_config_static_selectorELNS0_4arch9wavefront6targetE1EEEvT1_.private_seg_size, 0
	.set _ZN7rocprim17ROCPRIM_400000_NS6detail17trampoline_kernelINS0_14default_configENS1_25partition_config_selectorILNS1_17partition_subalgoE5ElNS0_10empty_typeEbEEZZNS1_14partition_implILS5_5ELb0ES3_mN6hipcub16HIPCUB_304000_NS21CountingInputIteratorIllEEPS6_NSA_22TransformInputIteratorIb7NonZeroIdEPdlEENS0_5tupleIJPlS6_EEENSJ_IJSD_SD_EEES6_SK_JS6_EEE10hipError_tPvRmT3_T4_T5_T6_T7_T9_mT8_P12ihipStream_tbDpT10_ENKUlT_T0_E_clISt17integral_constantIbLb0EES15_IbLb1EEEEDaS11_S12_EUlS11_E_NS1_11comp_targetILNS1_3genE8ELNS1_11target_archE1030ELNS1_3gpuE2ELNS1_3repE0EEENS1_30default_config_static_selectorELNS0_4arch9wavefront6targetE1EEEvT1_.uses_vcc, 0
	.set _ZN7rocprim17ROCPRIM_400000_NS6detail17trampoline_kernelINS0_14default_configENS1_25partition_config_selectorILNS1_17partition_subalgoE5ElNS0_10empty_typeEbEEZZNS1_14partition_implILS5_5ELb0ES3_mN6hipcub16HIPCUB_304000_NS21CountingInputIteratorIllEEPS6_NSA_22TransformInputIteratorIb7NonZeroIdEPdlEENS0_5tupleIJPlS6_EEENSJ_IJSD_SD_EEES6_SK_JS6_EEE10hipError_tPvRmT3_T4_T5_T6_T7_T9_mT8_P12ihipStream_tbDpT10_ENKUlT_T0_E_clISt17integral_constantIbLb0EES15_IbLb1EEEEDaS11_S12_EUlS11_E_NS1_11comp_targetILNS1_3genE8ELNS1_11target_archE1030ELNS1_3gpuE2ELNS1_3repE0EEENS1_30default_config_static_selectorELNS0_4arch9wavefront6targetE1EEEvT1_.uses_flat_scratch, 0
	.set _ZN7rocprim17ROCPRIM_400000_NS6detail17trampoline_kernelINS0_14default_configENS1_25partition_config_selectorILNS1_17partition_subalgoE5ElNS0_10empty_typeEbEEZZNS1_14partition_implILS5_5ELb0ES3_mN6hipcub16HIPCUB_304000_NS21CountingInputIteratorIllEEPS6_NSA_22TransformInputIteratorIb7NonZeroIdEPdlEENS0_5tupleIJPlS6_EEENSJ_IJSD_SD_EEES6_SK_JS6_EEE10hipError_tPvRmT3_T4_T5_T6_T7_T9_mT8_P12ihipStream_tbDpT10_ENKUlT_T0_E_clISt17integral_constantIbLb0EES15_IbLb1EEEEDaS11_S12_EUlS11_E_NS1_11comp_targetILNS1_3genE8ELNS1_11target_archE1030ELNS1_3gpuE2ELNS1_3repE0EEENS1_30default_config_static_selectorELNS0_4arch9wavefront6targetE1EEEvT1_.has_dyn_sized_stack, 0
	.set _ZN7rocprim17ROCPRIM_400000_NS6detail17trampoline_kernelINS0_14default_configENS1_25partition_config_selectorILNS1_17partition_subalgoE5ElNS0_10empty_typeEbEEZZNS1_14partition_implILS5_5ELb0ES3_mN6hipcub16HIPCUB_304000_NS21CountingInputIteratorIllEEPS6_NSA_22TransformInputIteratorIb7NonZeroIdEPdlEENS0_5tupleIJPlS6_EEENSJ_IJSD_SD_EEES6_SK_JS6_EEE10hipError_tPvRmT3_T4_T5_T6_T7_T9_mT8_P12ihipStream_tbDpT10_ENKUlT_T0_E_clISt17integral_constantIbLb0EES15_IbLb1EEEEDaS11_S12_EUlS11_E_NS1_11comp_targetILNS1_3genE8ELNS1_11target_archE1030ELNS1_3gpuE2ELNS1_3repE0EEENS1_30default_config_static_selectorELNS0_4arch9wavefront6targetE1EEEvT1_.has_recursion, 0
	.set _ZN7rocprim17ROCPRIM_400000_NS6detail17trampoline_kernelINS0_14default_configENS1_25partition_config_selectorILNS1_17partition_subalgoE5ElNS0_10empty_typeEbEEZZNS1_14partition_implILS5_5ELb0ES3_mN6hipcub16HIPCUB_304000_NS21CountingInputIteratorIllEEPS6_NSA_22TransformInputIteratorIb7NonZeroIdEPdlEENS0_5tupleIJPlS6_EEENSJ_IJSD_SD_EEES6_SK_JS6_EEE10hipError_tPvRmT3_T4_T5_T6_T7_T9_mT8_P12ihipStream_tbDpT10_ENKUlT_T0_E_clISt17integral_constantIbLb0EES15_IbLb1EEEEDaS11_S12_EUlS11_E_NS1_11comp_targetILNS1_3genE8ELNS1_11target_archE1030ELNS1_3gpuE2ELNS1_3repE0EEENS1_30default_config_static_selectorELNS0_4arch9wavefront6targetE1EEEvT1_.has_indirect_call, 0
	.section	.AMDGPU.csdata,"",@progbits
; Kernel info:
; codeLenInByte = 0
; TotalNumSgprs: 6
; NumVgprs: 0
; NumAgprs: 0
; TotalNumVgprs: 0
; ScratchSize: 0
; MemoryBound: 0
; FloatMode: 240
; IeeeMode: 1
; LDSByteSize: 0 bytes/workgroup (compile time only)
; SGPRBlocks: 0
; VGPRBlocks: 0
; NumSGPRsForWavesPerEU: 6
; NumVGPRsForWavesPerEU: 1
; AccumOffset: 4
; Occupancy: 8
; WaveLimiterHint : 0
; COMPUTE_PGM_RSRC2:SCRATCH_EN: 0
; COMPUTE_PGM_RSRC2:USER_SGPR: 2
; COMPUTE_PGM_RSRC2:TRAP_HANDLER: 0
; COMPUTE_PGM_RSRC2:TGID_X_EN: 1
; COMPUTE_PGM_RSRC2:TGID_Y_EN: 0
; COMPUTE_PGM_RSRC2:TGID_Z_EN: 0
; COMPUTE_PGM_RSRC2:TIDIG_COMP_CNT: 0
; COMPUTE_PGM_RSRC3_GFX90A:ACCUM_OFFSET: 0
; COMPUTE_PGM_RSRC3_GFX90A:TG_SPLIT: 0
	.section	.AMDGPU.gpr_maximums,"",@progbits
	.set amdgpu.max_num_vgpr, 0
	.set amdgpu.max_num_agpr, 0
	.set amdgpu.max_num_sgpr, 0
	.section	.AMDGPU.csdata,"",@progbits
	.type	__hip_cuid_a2e36183c0d31aa8,@object ; @__hip_cuid_a2e36183c0d31aa8
	.section	.bss,"aw",@nobits
	.globl	__hip_cuid_a2e36183c0d31aa8
__hip_cuid_a2e36183c0d31aa8:
	.byte	0                               ; 0x0
	.size	__hip_cuid_a2e36183c0d31aa8, 1

	.ident	"AMD clang version 22.0.0git (https://github.com/RadeonOpenCompute/llvm-project roc-7.2.4 26084 f58b06dce1f9c15707c5f808fd002e18c2accf7e)"
	.section	".note.GNU-stack","",@progbits
	.addrsig
	.addrsig_sym __hip_cuid_a2e36183c0d31aa8
	.amdgpu_metadata
---
amdhsa.kernels:
  - .agpr_count:     0
    .args:
      - .offset:         0
        .size:           64
        .value_kind:     by_value
    .group_segment_fixed_size: 64
    .kernarg_segment_align: 8
    .kernarg_segment_size: 64
    .language:       OpenCL C
    .language_version:
      - 2
      - 0
    .max_flat_workgroup_size: 256
    .name:           _ZN7rocprim17ROCPRIM_400000_NS6detail17trampoline_kernelINS0_14default_configENS1_22reduce_config_selectorIlEEZNS1_11reduce_implILb1ES3_PlS7_lN6hipcub16HIPCUB_304000_NS6detail34convert_binary_result_type_wrapperINS9_3SumENS9_22TransformInputIteratorIb7NonZeroIaEPalEElEEEE10hipError_tPvRmT1_T2_T3_mT4_P12ihipStream_tbEUlT_E0_NS1_11comp_targetILNS1_3genE0ELNS1_11target_archE4294967295ELNS1_3gpuE0ELNS1_3repE0EEENS1_30default_config_static_selectorELNS0_4arch9wavefront6targetE1EEEvSM_
    .private_segment_fixed_size: 0
    .sgpr_count:     54
    .sgpr_spill_count: 0
    .symbol:         _ZN7rocprim17ROCPRIM_400000_NS6detail17trampoline_kernelINS0_14default_configENS1_22reduce_config_selectorIlEEZNS1_11reduce_implILb1ES3_PlS7_lN6hipcub16HIPCUB_304000_NS6detail34convert_binary_result_type_wrapperINS9_3SumENS9_22TransformInputIteratorIb7NonZeroIaEPalEElEEEE10hipError_tPvRmT1_T2_T3_mT4_P12ihipStream_tbEUlT_E0_NS1_11comp_targetILNS1_3genE0ELNS1_11target_archE4294967295ELNS1_3gpuE0ELNS1_3repE0EEENS1_30default_config_static_selectorELNS0_4arch9wavefront6targetE1EEEvSM_.kd
    .uniform_work_group_size: 1
    .uses_dynamic_stack: false
    .vgpr_count:     68
    .vgpr_spill_count: 0
    .wavefront_size: 64
  - .agpr_count:     0
    .args:
      - .offset:         0
        .size:           64
        .value_kind:     by_value
    .group_segment_fixed_size: 0
    .kernarg_segment_align: 8
    .kernarg_segment_size: 64
    .language:       OpenCL C
    .language_version:
      - 2
      - 0
    .max_flat_workgroup_size: 256
    .name:           _ZN7rocprim17ROCPRIM_400000_NS6detail17trampoline_kernelINS0_14default_configENS1_22reduce_config_selectorIlEEZNS1_11reduce_implILb1ES3_PlS7_lN6hipcub16HIPCUB_304000_NS6detail34convert_binary_result_type_wrapperINS9_3SumENS9_22TransformInputIteratorIb7NonZeroIaEPalEElEEEE10hipError_tPvRmT1_T2_T3_mT4_P12ihipStream_tbEUlT_E0_NS1_11comp_targetILNS1_3genE5ELNS1_11target_archE942ELNS1_3gpuE9ELNS1_3repE0EEENS1_30default_config_static_selectorELNS0_4arch9wavefront6targetE1EEEvSM_
    .private_segment_fixed_size: 0
    .sgpr_count:     6
    .sgpr_spill_count: 0
    .symbol:         _ZN7rocprim17ROCPRIM_400000_NS6detail17trampoline_kernelINS0_14default_configENS1_22reduce_config_selectorIlEEZNS1_11reduce_implILb1ES3_PlS7_lN6hipcub16HIPCUB_304000_NS6detail34convert_binary_result_type_wrapperINS9_3SumENS9_22TransformInputIteratorIb7NonZeroIaEPalEElEEEE10hipError_tPvRmT1_T2_T3_mT4_P12ihipStream_tbEUlT_E0_NS1_11comp_targetILNS1_3genE5ELNS1_11target_archE942ELNS1_3gpuE9ELNS1_3repE0EEENS1_30default_config_static_selectorELNS0_4arch9wavefront6targetE1EEEvSM_.kd
    .uniform_work_group_size: 1
    .uses_dynamic_stack: false
    .vgpr_count:     0
    .vgpr_spill_count: 0
    .wavefront_size: 64
  - .agpr_count:     0
    .args:
      - .offset:         0
        .size:           64
        .value_kind:     by_value
    .group_segment_fixed_size: 0
    .kernarg_segment_align: 8
    .kernarg_segment_size: 64
    .language:       OpenCL C
    .language_version:
      - 2
      - 0
    .max_flat_workgroup_size: 256
    .name:           _ZN7rocprim17ROCPRIM_400000_NS6detail17trampoline_kernelINS0_14default_configENS1_22reduce_config_selectorIlEEZNS1_11reduce_implILb1ES3_PlS7_lN6hipcub16HIPCUB_304000_NS6detail34convert_binary_result_type_wrapperINS9_3SumENS9_22TransformInputIteratorIb7NonZeroIaEPalEElEEEE10hipError_tPvRmT1_T2_T3_mT4_P12ihipStream_tbEUlT_E0_NS1_11comp_targetILNS1_3genE4ELNS1_11target_archE910ELNS1_3gpuE8ELNS1_3repE0EEENS1_30default_config_static_selectorELNS0_4arch9wavefront6targetE1EEEvSM_
    .private_segment_fixed_size: 0
    .sgpr_count:     6
    .sgpr_spill_count: 0
    .symbol:         _ZN7rocprim17ROCPRIM_400000_NS6detail17trampoline_kernelINS0_14default_configENS1_22reduce_config_selectorIlEEZNS1_11reduce_implILb1ES3_PlS7_lN6hipcub16HIPCUB_304000_NS6detail34convert_binary_result_type_wrapperINS9_3SumENS9_22TransformInputIteratorIb7NonZeroIaEPalEElEEEE10hipError_tPvRmT1_T2_T3_mT4_P12ihipStream_tbEUlT_E0_NS1_11comp_targetILNS1_3genE4ELNS1_11target_archE910ELNS1_3gpuE8ELNS1_3repE0EEENS1_30default_config_static_selectorELNS0_4arch9wavefront6targetE1EEEvSM_.kd
    .uniform_work_group_size: 1
    .uses_dynamic_stack: false
    .vgpr_count:     0
    .vgpr_spill_count: 0
    .wavefront_size: 64
  - .agpr_count:     0
    .args:
      - .offset:         0
        .size:           64
        .value_kind:     by_value
    .group_segment_fixed_size: 0
    .kernarg_segment_align: 8
    .kernarg_segment_size: 64
    .language:       OpenCL C
    .language_version:
      - 2
      - 0
    .max_flat_workgroup_size: 256
    .name:           _ZN7rocprim17ROCPRIM_400000_NS6detail17trampoline_kernelINS0_14default_configENS1_22reduce_config_selectorIlEEZNS1_11reduce_implILb1ES3_PlS7_lN6hipcub16HIPCUB_304000_NS6detail34convert_binary_result_type_wrapperINS9_3SumENS9_22TransformInputIteratorIb7NonZeroIaEPalEElEEEE10hipError_tPvRmT1_T2_T3_mT4_P12ihipStream_tbEUlT_E0_NS1_11comp_targetILNS1_3genE3ELNS1_11target_archE908ELNS1_3gpuE7ELNS1_3repE0EEENS1_30default_config_static_selectorELNS0_4arch9wavefront6targetE1EEEvSM_
    .private_segment_fixed_size: 0
    .sgpr_count:     6
    .sgpr_spill_count: 0
    .symbol:         _ZN7rocprim17ROCPRIM_400000_NS6detail17trampoline_kernelINS0_14default_configENS1_22reduce_config_selectorIlEEZNS1_11reduce_implILb1ES3_PlS7_lN6hipcub16HIPCUB_304000_NS6detail34convert_binary_result_type_wrapperINS9_3SumENS9_22TransformInputIteratorIb7NonZeroIaEPalEElEEEE10hipError_tPvRmT1_T2_T3_mT4_P12ihipStream_tbEUlT_E0_NS1_11comp_targetILNS1_3genE3ELNS1_11target_archE908ELNS1_3gpuE7ELNS1_3repE0EEENS1_30default_config_static_selectorELNS0_4arch9wavefront6targetE1EEEvSM_.kd
    .uniform_work_group_size: 1
    .uses_dynamic_stack: false
    .vgpr_count:     0
    .vgpr_spill_count: 0
    .wavefront_size: 64
  - .agpr_count:     0
    .args:
      - .offset:         0
        .size:           64
        .value_kind:     by_value
    .group_segment_fixed_size: 0
    .kernarg_segment_align: 8
    .kernarg_segment_size: 64
    .language:       OpenCL C
    .language_version:
      - 2
      - 0
    .max_flat_workgroup_size: 256
    .name:           _ZN7rocprim17ROCPRIM_400000_NS6detail17trampoline_kernelINS0_14default_configENS1_22reduce_config_selectorIlEEZNS1_11reduce_implILb1ES3_PlS7_lN6hipcub16HIPCUB_304000_NS6detail34convert_binary_result_type_wrapperINS9_3SumENS9_22TransformInputIteratorIb7NonZeroIaEPalEElEEEE10hipError_tPvRmT1_T2_T3_mT4_P12ihipStream_tbEUlT_E0_NS1_11comp_targetILNS1_3genE2ELNS1_11target_archE906ELNS1_3gpuE6ELNS1_3repE0EEENS1_30default_config_static_selectorELNS0_4arch9wavefront6targetE1EEEvSM_
    .private_segment_fixed_size: 0
    .sgpr_count:     6
    .sgpr_spill_count: 0
    .symbol:         _ZN7rocprim17ROCPRIM_400000_NS6detail17trampoline_kernelINS0_14default_configENS1_22reduce_config_selectorIlEEZNS1_11reduce_implILb1ES3_PlS7_lN6hipcub16HIPCUB_304000_NS6detail34convert_binary_result_type_wrapperINS9_3SumENS9_22TransformInputIteratorIb7NonZeroIaEPalEElEEEE10hipError_tPvRmT1_T2_T3_mT4_P12ihipStream_tbEUlT_E0_NS1_11comp_targetILNS1_3genE2ELNS1_11target_archE906ELNS1_3gpuE6ELNS1_3repE0EEENS1_30default_config_static_selectorELNS0_4arch9wavefront6targetE1EEEvSM_.kd
    .uniform_work_group_size: 1
    .uses_dynamic_stack: false
    .vgpr_count:     0
    .vgpr_spill_count: 0
    .wavefront_size: 64
  - .agpr_count:     0
    .args:
      - .offset:         0
        .size:           64
        .value_kind:     by_value
    .group_segment_fixed_size: 0
    .kernarg_segment_align: 8
    .kernarg_segment_size: 64
    .language:       OpenCL C
    .language_version:
      - 2
      - 0
    .max_flat_workgroup_size: 256
    .name:           _ZN7rocprim17ROCPRIM_400000_NS6detail17trampoline_kernelINS0_14default_configENS1_22reduce_config_selectorIlEEZNS1_11reduce_implILb1ES3_PlS7_lN6hipcub16HIPCUB_304000_NS6detail34convert_binary_result_type_wrapperINS9_3SumENS9_22TransformInputIteratorIb7NonZeroIaEPalEElEEEE10hipError_tPvRmT1_T2_T3_mT4_P12ihipStream_tbEUlT_E0_NS1_11comp_targetILNS1_3genE10ELNS1_11target_archE1201ELNS1_3gpuE5ELNS1_3repE0EEENS1_30default_config_static_selectorELNS0_4arch9wavefront6targetE1EEEvSM_
    .private_segment_fixed_size: 0
    .sgpr_count:     6
    .sgpr_spill_count: 0
    .symbol:         _ZN7rocprim17ROCPRIM_400000_NS6detail17trampoline_kernelINS0_14default_configENS1_22reduce_config_selectorIlEEZNS1_11reduce_implILb1ES3_PlS7_lN6hipcub16HIPCUB_304000_NS6detail34convert_binary_result_type_wrapperINS9_3SumENS9_22TransformInputIteratorIb7NonZeroIaEPalEElEEEE10hipError_tPvRmT1_T2_T3_mT4_P12ihipStream_tbEUlT_E0_NS1_11comp_targetILNS1_3genE10ELNS1_11target_archE1201ELNS1_3gpuE5ELNS1_3repE0EEENS1_30default_config_static_selectorELNS0_4arch9wavefront6targetE1EEEvSM_.kd
    .uniform_work_group_size: 1
    .uses_dynamic_stack: false
    .vgpr_count:     0
    .vgpr_spill_count: 0
    .wavefront_size: 64
  - .agpr_count:     0
    .args:
      - .offset:         0
        .size:           64
        .value_kind:     by_value
    .group_segment_fixed_size: 0
    .kernarg_segment_align: 8
    .kernarg_segment_size: 64
    .language:       OpenCL C
    .language_version:
      - 2
      - 0
    .max_flat_workgroup_size: 256
    .name:           _ZN7rocprim17ROCPRIM_400000_NS6detail17trampoline_kernelINS0_14default_configENS1_22reduce_config_selectorIlEEZNS1_11reduce_implILb1ES3_PlS7_lN6hipcub16HIPCUB_304000_NS6detail34convert_binary_result_type_wrapperINS9_3SumENS9_22TransformInputIteratorIb7NonZeroIaEPalEElEEEE10hipError_tPvRmT1_T2_T3_mT4_P12ihipStream_tbEUlT_E0_NS1_11comp_targetILNS1_3genE10ELNS1_11target_archE1200ELNS1_3gpuE4ELNS1_3repE0EEENS1_30default_config_static_selectorELNS0_4arch9wavefront6targetE1EEEvSM_
    .private_segment_fixed_size: 0
    .sgpr_count:     6
    .sgpr_spill_count: 0
    .symbol:         _ZN7rocprim17ROCPRIM_400000_NS6detail17trampoline_kernelINS0_14default_configENS1_22reduce_config_selectorIlEEZNS1_11reduce_implILb1ES3_PlS7_lN6hipcub16HIPCUB_304000_NS6detail34convert_binary_result_type_wrapperINS9_3SumENS9_22TransformInputIteratorIb7NonZeroIaEPalEElEEEE10hipError_tPvRmT1_T2_T3_mT4_P12ihipStream_tbEUlT_E0_NS1_11comp_targetILNS1_3genE10ELNS1_11target_archE1200ELNS1_3gpuE4ELNS1_3repE0EEENS1_30default_config_static_selectorELNS0_4arch9wavefront6targetE1EEEvSM_.kd
    .uniform_work_group_size: 1
    .uses_dynamic_stack: false
    .vgpr_count:     0
    .vgpr_spill_count: 0
    .wavefront_size: 64
  - .agpr_count:     0
    .args:
      - .offset:         0
        .size:           64
        .value_kind:     by_value
    .group_segment_fixed_size: 0
    .kernarg_segment_align: 8
    .kernarg_segment_size: 64
    .language:       OpenCL C
    .language_version:
      - 2
      - 0
    .max_flat_workgroup_size: 256
    .name:           _ZN7rocprim17ROCPRIM_400000_NS6detail17trampoline_kernelINS0_14default_configENS1_22reduce_config_selectorIlEEZNS1_11reduce_implILb1ES3_PlS7_lN6hipcub16HIPCUB_304000_NS6detail34convert_binary_result_type_wrapperINS9_3SumENS9_22TransformInputIteratorIb7NonZeroIaEPalEElEEEE10hipError_tPvRmT1_T2_T3_mT4_P12ihipStream_tbEUlT_E0_NS1_11comp_targetILNS1_3genE9ELNS1_11target_archE1100ELNS1_3gpuE3ELNS1_3repE0EEENS1_30default_config_static_selectorELNS0_4arch9wavefront6targetE1EEEvSM_
    .private_segment_fixed_size: 0
    .sgpr_count:     6
    .sgpr_spill_count: 0
    .symbol:         _ZN7rocprim17ROCPRIM_400000_NS6detail17trampoline_kernelINS0_14default_configENS1_22reduce_config_selectorIlEEZNS1_11reduce_implILb1ES3_PlS7_lN6hipcub16HIPCUB_304000_NS6detail34convert_binary_result_type_wrapperINS9_3SumENS9_22TransformInputIteratorIb7NonZeroIaEPalEElEEEE10hipError_tPvRmT1_T2_T3_mT4_P12ihipStream_tbEUlT_E0_NS1_11comp_targetILNS1_3genE9ELNS1_11target_archE1100ELNS1_3gpuE3ELNS1_3repE0EEENS1_30default_config_static_selectorELNS0_4arch9wavefront6targetE1EEEvSM_.kd
    .uniform_work_group_size: 1
    .uses_dynamic_stack: false
    .vgpr_count:     0
    .vgpr_spill_count: 0
    .wavefront_size: 64
  - .agpr_count:     0
    .args:
      - .offset:         0
        .size:           64
        .value_kind:     by_value
    .group_segment_fixed_size: 0
    .kernarg_segment_align: 8
    .kernarg_segment_size: 64
    .language:       OpenCL C
    .language_version:
      - 2
      - 0
    .max_flat_workgroup_size: 256
    .name:           _ZN7rocprim17ROCPRIM_400000_NS6detail17trampoline_kernelINS0_14default_configENS1_22reduce_config_selectorIlEEZNS1_11reduce_implILb1ES3_PlS7_lN6hipcub16HIPCUB_304000_NS6detail34convert_binary_result_type_wrapperINS9_3SumENS9_22TransformInputIteratorIb7NonZeroIaEPalEElEEEE10hipError_tPvRmT1_T2_T3_mT4_P12ihipStream_tbEUlT_E0_NS1_11comp_targetILNS1_3genE8ELNS1_11target_archE1030ELNS1_3gpuE2ELNS1_3repE0EEENS1_30default_config_static_selectorELNS0_4arch9wavefront6targetE1EEEvSM_
    .private_segment_fixed_size: 0
    .sgpr_count:     6
    .sgpr_spill_count: 0
    .symbol:         _ZN7rocprim17ROCPRIM_400000_NS6detail17trampoline_kernelINS0_14default_configENS1_22reduce_config_selectorIlEEZNS1_11reduce_implILb1ES3_PlS7_lN6hipcub16HIPCUB_304000_NS6detail34convert_binary_result_type_wrapperINS9_3SumENS9_22TransformInputIteratorIb7NonZeroIaEPalEElEEEE10hipError_tPvRmT1_T2_T3_mT4_P12ihipStream_tbEUlT_E0_NS1_11comp_targetILNS1_3genE8ELNS1_11target_archE1030ELNS1_3gpuE2ELNS1_3repE0EEENS1_30default_config_static_selectorELNS0_4arch9wavefront6targetE1EEEvSM_.kd
    .uniform_work_group_size: 1
    .uses_dynamic_stack: false
    .vgpr_count:     0
    .vgpr_spill_count: 0
    .wavefront_size: 64
  - .agpr_count:     0
    .args:
      - .offset:         0
        .size:           48
        .value_kind:     by_value
    .group_segment_fixed_size: 192
    .kernarg_segment_align: 8
    .kernarg_segment_size: 48
    .language:       OpenCL C
    .language_version:
      - 2
      - 0
    .max_flat_workgroup_size: 256
    .name:           _ZN7rocprim17ROCPRIM_400000_NS6detail17trampoline_kernelINS0_14default_configENS1_22reduce_config_selectorIlEEZNS1_11reduce_implILb1ES3_PlS7_lN6hipcub16HIPCUB_304000_NS6detail34convert_binary_result_type_wrapperINS9_3SumENS9_22TransformInputIteratorIb7NonZeroIaEPalEElEEEE10hipError_tPvRmT1_T2_T3_mT4_P12ihipStream_tbEUlT_E1_NS1_11comp_targetILNS1_3genE0ELNS1_11target_archE4294967295ELNS1_3gpuE0ELNS1_3repE0EEENS1_30default_config_static_selectorELNS0_4arch9wavefront6targetE1EEEvSM_
    .private_segment_fixed_size: 0
    .sgpr_count:     53
    .sgpr_spill_count: 0
    .symbol:         _ZN7rocprim17ROCPRIM_400000_NS6detail17trampoline_kernelINS0_14default_configENS1_22reduce_config_selectorIlEEZNS1_11reduce_implILb1ES3_PlS7_lN6hipcub16HIPCUB_304000_NS6detail34convert_binary_result_type_wrapperINS9_3SumENS9_22TransformInputIteratorIb7NonZeroIaEPalEElEEEE10hipError_tPvRmT1_T2_T3_mT4_P12ihipStream_tbEUlT_E1_NS1_11comp_targetILNS1_3genE0ELNS1_11target_archE4294967295ELNS1_3gpuE0ELNS1_3repE0EEENS1_30default_config_static_selectorELNS0_4arch9wavefront6targetE1EEEvSM_.kd
    .uniform_work_group_size: 1
    .uses_dynamic_stack: false
    .vgpr_count:     48
    .vgpr_spill_count: 0
    .wavefront_size: 64
  - .agpr_count:     0
    .args:
      - .offset:         0
        .size:           48
        .value_kind:     by_value
    .group_segment_fixed_size: 0
    .kernarg_segment_align: 8
    .kernarg_segment_size: 48
    .language:       OpenCL C
    .language_version:
      - 2
      - 0
    .max_flat_workgroup_size: 256
    .name:           _ZN7rocprim17ROCPRIM_400000_NS6detail17trampoline_kernelINS0_14default_configENS1_22reduce_config_selectorIlEEZNS1_11reduce_implILb1ES3_PlS7_lN6hipcub16HIPCUB_304000_NS6detail34convert_binary_result_type_wrapperINS9_3SumENS9_22TransformInputIteratorIb7NonZeroIaEPalEElEEEE10hipError_tPvRmT1_T2_T3_mT4_P12ihipStream_tbEUlT_E1_NS1_11comp_targetILNS1_3genE5ELNS1_11target_archE942ELNS1_3gpuE9ELNS1_3repE0EEENS1_30default_config_static_selectorELNS0_4arch9wavefront6targetE1EEEvSM_
    .private_segment_fixed_size: 0
    .sgpr_count:     6
    .sgpr_spill_count: 0
    .symbol:         _ZN7rocprim17ROCPRIM_400000_NS6detail17trampoline_kernelINS0_14default_configENS1_22reduce_config_selectorIlEEZNS1_11reduce_implILb1ES3_PlS7_lN6hipcub16HIPCUB_304000_NS6detail34convert_binary_result_type_wrapperINS9_3SumENS9_22TransformInputIteratorIb7NonZeroIaEPalEElEEEE10hipError_tPvRmT1_T2_T3_mT4_P12ihipStream_tbEUlT_E1_NS1_11comp_targetILNS1_3genE5ELNS1_11target_archE942ELNS1_3gpuE9ELNS1_3repE0EEENS1_30default_config_static_selectorELNS0_4arch9wavefront6targetE1EEEvSM_.kd
    .uniform_work_group_size: 1
    .uses_dynamic_stack: false
    .vgpr_count:     0
    .vgpr_spill_count: 0
    .wavefront_size: 64
  - .agpr_count:     0
    .args:
      - .offset:         0
        .size:           48
        .value_kind:     by_value
    .group_segment_fixed_size: 0
    .kernarg_segment_align: 8
    .kernarg_segment_size: 48
    .language:       OpenCL C
    .language_version:
      - 2
      - 0
    .max_flat_workgroup_size: 256
    .name:           _ZN7rocprim17ROCPRIM_400000_NS6detail17trampoline_kernelINS0_14default_configENS1_22reduce_config_selectorIlEEZNS1_11reduce_implILb1ES3_PlS7_lN6hipcub16HIPCUB_304000_NS6detail34convert_binary_result_type_wrapperINS9_3SumENS9_22TransformInputIteratorIb7NonZeroIaEPalEElEEEE10hipError_tPvRmT1_T2_T3_mT4_P12ihipStream_tbEUlT_E1_NS1_11comp_targetILNS1_3genE4ELNS1_11target_archE910ELNS1_3gpuE8ELNS1_3repE0EEENS1_30default_config_static_selectorELNS0_4arch9wavefront6targetE1EEEvSM_
    .private_segment_fixed_size: 0
    .sgpr_count:     6
    .sgpr_spill_count: 0
    .symbol:         _ZN7rocprim17ROCPRIM_400000_NS6detail17trampoline_kernelINS0_14default_configENS1_22reduce_config_selectorIlEEZNS1_11reduce_implILb1ES3_PlS7_lN6hipcub16HIPCUB_304000_NS6detail34convert_binary_result_type_wrapperINS9_3SumENS9_22TransformInputIteratorIb7NonZeroIaEPalEElEEEE10hipError_tPvRmT1_T2_T3_mT4_P12ihipStream_tbEUlT_E1_NS1_11comp_targetILNS1_3genE4ELNS1_11target_archE910ELNS1_3gpuE8ELNS1_3repE0EEENS1_30default_config_static_selectorELNS0_4arch9wavefront6targetE1EEEvSM_.kd
    .uniform_work_group_size: 1
    .uses_dynamic_stack: false
    .vgpr_count:     0
    .vgpr_spill_count: 0
    .wavefront_size: 64
  - .agpr_count:     0
    .args:
      - .offset:         0
        .size:           48
        .value_kind:     by_value
    .group_segment_fixed_size: 0
    .kernarg_segment_align: 8
    .kernarg_segment_size: 48
    .language:       OpenCL C
    .language_version:
      - 2
      - 0
    .max_flat_workgroup_size: 256
    .name:           _ZN7rocprim17ROCPRIM_400000_NS6detail17trampoline_kernelINS0_14default_configENS1_22reduce_config_selectorIlEEZNS1_11reduce_implILb1ES3_PlS7_lN6hipcub16HIPCUB_304000_NS6detail34convert_binary_result_type_wrapperINS9_3SumENS9_22TransformInputIteratorIb7NonZeroIaEPalEElEEEE10hipError_tPvRmT1_T2_T3_mT4_P12ihipStream_tbEUlT_E1_NS1_11comp_targetILNS1_3genE3ELNS1_11target_archE908ELNS1_3gpuE7ELNS1_3repE0EEENS1_30default_config_static_selectorELNS0_4arch9wavefront6targetE1EEEvSM_
    .private_segment_fixed_size: 0
    .sgpr_count:     6
    .sgpr_spill_count: 0
    .symbol:         _ZN7rocprim17ROCPRIM_400000_NS6detail17trampoline_kernelINS0_14default_configENS1_22reduce_config_selectorIlEEZNS1_11reduce_implILb1ES3_PlS7_lN6hipcub16HIPCUB_304000_NS6detail34convert_binary_result_type_wrapperINS9_3SumENS9_22TransformInputIteratorIb7NonZeroIaEPalEElEEEE10hipError_tPvRmT1_T2_T3_mT4_P12ihipStream_tbEUlT_E1_NS1_11comp_targetILNS1_3genE3ELNS1_11target_archE908ELNS1_3gpuE7ELNS1_3repE0EEENS1_30default_config_static_selectorELNS0_4arch9wavefront6targetE1EEEvSM_.kd
    .uniform_work_group_size: 1
    .uses_dynamic_stack: false
    .vgpr_count:     0
    .vgpr_spill_count: 0
    .wavefront_size: 64
  - .agpr_count:     0
    .args:
      - .offset:         0
        .size:           48
        .value_kind:     by_value
    .group_segment_fixed_size: 0
    .kernarg_segment_align: 8
    .kernarg_segment_size: 48
    .language:       OpenCL C
    .language_version:
      - 2
      - 0
    .max_flat_workgroup_size: 256
    .name:           _ZN7rocprim17ROCPRIM_400000_NS6detail17trampoline_kernelINS0_14default_configENS1_22reduce_config_selectorIlEEZNS1_11reduce_implILb1ES3_PlS7_lN6hipcub16HIPCUB_304000_NS6detail34convert_binary_result_type_wrapperINS9_3SumENS9_22TransformInputIteratorIb7NonZeroIaEPalEElEEEE10hipError_tPvRmT1_T2_T3_mT4_P12ihipStream_tbEUlT_E1_NS1_11comp_targetILNS1_3genE2ELNS1_11target_archE906ELNS1_3gpuE6ELNS1_3repE0EEENS1_30default_config_static_selectorELNS0_4arch9wavefront6targetE1EEEvSM_
    .private_segment_fixed_size: 0
    .sgpr_count:     6
    .sgpr_spill_count: 0
    .symbol:         _ZN7rocprim17ROCPRIM_400000_NS6detail17trampoline_kernelINS0_14default_configENS1_22reduce_config_selectorIlEEZNS1_11reduce_implILb1ES3_PlS7_lN6hipcub16HIPCUB_304000_NS6detail34convert_binary_result_type_wrapperINS9_3SumENS9_22TransformInputIteratorIb7NonZeroIaEPalEElEEEE10hipError_tPvRmT1_T2_T3_mT4_P12ihipStream_tbEUlT_E1_NS1_11comp_targetILNS1_3genE2ELNS1_11target_archE906ELNS1_3gpuE6ELNS1_3repE0EEENS1_30default_config_static_selectorELNS0_4arch9wavefront6targetE1EEEvSM_.kd
    .uniform_work_group_size: 1
    .uses_dynamic_stack: false
    .vgpr_count:     0
    .vgpr_spill_count: 0
    .wavefront_size: 64
  - .agpr_count:     0
    .args:
      - .offset:         0
        .size:           48
        .value_kind:     by_value
    .group_segment_fixed_size: 0
    .kernarg_segment_align: 8
    .kernarg_segment_size: 48
    .language:       OpenCL C
    .language_version:
      - 2
      - 0
    .max_flat_workgroup_size: 256
    .name:           _ZN7rocprim17ROCPRIM_400000_NS6detail17trampoline_kernelINS0_14default_configENS1_22reduce_config_selectorIlEEZNS1_11reduce_implILb1ES3_PlS7_lN6hipcub16HIPCUB_304000_NS6detail34convert_binary_result_type_wrapperINS9_3SumENS9_22TransformInputIteratorIb7NonZeroIaEPalEElEEEE10hipError_tPvRmT1_T2_T3_mT4_P12ihipStream_tbEUlT_E1_NS1_11comp_targetILNS1_3genE10ELNS1_11target_archE1201ELNS1_3gpuE5ELNS1_3repE0EEENS1_30default_config_static_selectorELNS0_4arch9wavefront6targetE1EEEvSM_
    .private_segment_fixed_size: 0
    .sgpr_count:     6
    .sgpr_spill_count: 0
    .symbol:         _ZN7rocprim17ROCPRIM_400000_NS6detail17trampoline_kernelINS0_14default_configENS1_22reduce_config_selectorIlEEZNS1_11reduce_implILb1ES3_PlS7_lN6hipcub16HIPCUB_304000_NS6detail34convert_binary_result_type_wrapperINS9_3SumENS9_22TransformInputIteratorIb7NonZeroIaEPalEElEEEE10hipError_tPvRmT1_T2_T3_mT4_P12ihipStream_tbEUlT_E1_NS1_11comp_targetILNS1_3genE10ELNS1_11target_archE1201ELNS1_3gpuE5ELNS1_3repE0EEENS1_30default_config_static_selectorELNS0_4arch9wavefront6targetE1EEEvSM_.kd
    .uniform_work_group_size: 1
    .uses_dynamic_stack: false
    .vgpr_count:     0
    .vgpr_spill_count: 0
    .wavefront_size: 64
  - .agpr_count:     0
    .args:
      - .offset:         0
        .size:           48
        .value_kind:     by_value
    .group_segment_fixed_size: 0
    .kernarg_segment_align: 8
    .kernarg_segment_size: 48
    .language:       OpenCL C
    .language_version:
      - 2
      - 0
    .max_flat_workgroup_size: 256
    .name:           _ZN7rocprim17ROCPRIM_400000_NS6detail17trampoline_kernelINS0_14default_configENS1_22reduce_config_selectorIlEEZNS1_11reduce_implILb1ES3_PlS7_lN6hipcub16HIPCUB_304000_NS6detail34convert_binary_result_type_wrapperINS9_3SumENS9_22TransformInputIteratorIb7NonZeroIaEPalEElEEEE10hipError_tPvRmT1_T2_T3_mT4_P12ihipStream_tbEUlT_E1_NS1_11comp_targetILNS1_3genE10ELNS1_11target_archE1200ELNS1_3gpuE4ELNS1_3repE0EEENS1_30default_config_static_selectorELNS0_4arch9wavefront6targetE1EEEvSM_
    .private_segment_fixed_size: 0
    .sgpr_count:     6
    .sgpr_spill_count: 0
    .symbol:         _ZN7rocprim17ROCPRIM_400000_NS6detail17trampoline_kernelINS0_14default_configENS1_22reduce_config_selectorIlEEZNS1_11reduce_implILb1ES3_PlS7_lN6hipcub16HIPCUB_304000_NS6detail34convert_binary_result_type_wrapperINS9_3SumENS9_22TransformInputIteratorIb7NonZeroIaEPalEElEEEE10hipError_tPvRmT1_T2_T3_mT4_P12ihipStream_tbEUlT_E1_NS1_11comp_targetILNS1_3genE10ELNS1_11target_archE1200ELNS1_3gpuE4ELNS1_3repE0EEENS1_30default_config_static_selectorELNS0_4arch9wavefront6targetE1EEEvSM_.kd
    .uniform_work_group_size: 1
    .uses_dynamic_stack: false
    .vgpr_count:     0
    .vgpr_spill_count: 0
    .wavefront_size: 64
  - .agpr_count:     0
    .args:
      - .offset:         0
        .size:           48
        .value_kind:     by_value
    .group_segment_fixed_size: 0
    .kernarg_segment_align: 8
    .kernarg_segment_size: 48
    .language:       OpenCL C
    .language_version:
      - 2
      - 0
    .max_flat_workgroup_size: 256
    .name:           _ZN7rocprim17ROCPRIM_400000_NS6detail17trampoline_kernelINS0_14default_configENS1_22reduce_config_selectorIlEEZNS1_11reduce_implILb1ES3_PlS7_lN6hipcub16HIPCUB_304000_NS6detail34convert_binary_result_type_wrapperINS9_3SumENS9_22TransformInputIteratorIb7NonZeroIaEPalEElEEEE10hipError_tPvRmT1_T2_T3_mT4_P12ihipStream_tbEUlT_E1_NS1_11comp_targetILNS1_3genE9ELNS1_11target_archE1100ELNS1_3gpuE3ELNS1_3repE0EEENS1_30default_config_static_selectorELNS0_4arch9wavefront6targetE1EEEvSM_
    .private_segment_fixed_size: 0
    .sgpr_count:     6
    .sgpr_spill_count: 0
    .symbol:         _ZN7rocprim17ROCPRIM_400000_NS6detail17trampoline_kernelINS0_14default_configENS1_22reduce_config_selectorIlEEZNS1_11reduce_implILb1ES3_PlS7_lN6hipcub16HIPCUB_304000_NS6detail34convert_binary_result_type_wrapperINS9_3SumENS9_22TransformInputIteratorIb7NonZeroIaEPalEElEEEE10hipError_tPvRmT1_T2_T3_mT4_P12ihipStream_tbEUlT_E1_NS1_11comp_targetILNS1_3genE9ELNS1_11target_archE1100ELNS1_3gpuE3ELNS1_3repE0EEENS1_30default_config_static_selectorELNS0_4arch9wavefront6targetE1EEEvSM_.kd
    .uniform_work_group_size: 1
    .uses_dynamic_stack: false
    .vgpr_count:     0
    .vgpr_spill_count: 0
    .wavefront_size: 64
  - .agpr_count:     0
    .args:
      - .offset:         0
        .size:           48
        .value_kind:     by_value
    .group_segment_fixed_size: 0
    .kernarg_segment_align: 8
    .kernarg_segment_size: 48
    .language:       OpenCL C
    .language_version:
      - 2
      - 0
    .max_flat_workgroup_size: 256
    .name:           _ZN7rocprim17ROCPRIM_400000_NS6detail17trampoline_kernelINS0_14default_configENS1_22reduce_config_selectorIlEEZNS1_11reduce_implILb1ES3_PlS7_lN6hipcub16HIPCUB_304000_NS6detail34convert_binary_result_type_wrapperINS9_3SumENS9_22TransformInputIteratorIb7NonZeroIaEPalEElEEEE10hipError_tPvRmT1_T2_T3_mT4_P12ihipStream_tbEUlT_E1_NS1_11comp_targetILNS1_3genE8ELNS1_11target_archE1030ELNS1_3gpuE2ELNS1_3repE0EEENS1_30default_config_static_selectorELNS0_4arch9wavefront6targetE1EEEvSM_
    .private_segment_fixed_size: 0
    .sgpr_count:     6
    .sgpr_spill_count: 0
    .symbol:         _ZN7rocprim17ROCPRIM_400000_NS6detail17trampoline_kernelINS0_14default_configENS1_22reduce_config_selectorIlEEZNS1_11reduce_implILb1ES3_PlS7_lN6hipcub16HIPCUB_304000_NS6detail34convert_binary_result_type_wrapperINS9_3SumENS9_22TransformInputIteratorIb7NonZeroIaEPalEElEEEE10hipError_tPvRmT1_T2_T3_mT4_P12ihipStream_tbEUlT_E1_NS1_11comp_targetILNS1_3genE8ELNS1_11target_archE1030ELNS1_3gpuE2ELNS1_3repE0EEENS1_30default_config_static_selectorELNS0_4arch9wavefront6targetE1EEEvSM_.kd
    .uniform_work_group_size: 1
    .uses_dynamic_stack: false
    .vgpr_count:     0
    .vgpr_spill_count: 0
    .wavefront_size: 64
  - .agpr_count:     0
    .args:
      - .offset:         0
        .size:           72
        .value_kind:     by_value
    .group_segment_fixed_size: 64
    .kernarg_segment_align: 8
    .kernarg_segment_size: 72
    .language:       OpenCL C
    .language_version:
      - 2
      - 0
    .max_flat_workgroup_size: 256
    .name:           _ZN7rocprim17ROCPRIM_400000_NS6detail17trampoline_kernelINS0_14default_configENS1_22reduce_config_selectorIbEEZNS1_11reduce_implILb1ES3_N6hipcub16HIPCUB_304000_NS22TransformInputIteratorIb7NonZeroIaEPalEEPllNS8_6detail34convert_binary_result_type_wrapperINS8_3SumESD_lEEEE10hipError_tPvRmT1_T2_T3_mT4_P12ihipStream_tbEUlT_E0_NS1_11comp_targetILNS1_3genE0ELNS1_11target_archE4294967295ELNS1_3gpuE0ELNS1_3repE0EEENS1_30default_config_static_selectorELNS0_4arch9wavefront6targetE1EEEvSM_
    .private_segment_fixed_size: 0
    .sgpr_count:     54
    .sgpr_spill_count: 0
    .symbol:         _ZN7rocprim17ROCPRIM_400000_NS6detail17trampoline_kernelINS0_14default_configENS1_22reduce_config_selectorIbEEZNS1_11reduce_implILb1ES3_N6hipcub16HIPCUB_304000_NS22TransformInputIteratorIb7NonZeroIaEPalEEPllNS8_6detail34convert_binary_result_type_wrapperINS8_3SumESD_lEEEE10hipError_tPvRmT1_T2_T3_mT4_P12ihipStream_tbEUlT_E0_NS1_11comp_targetILNS1_3genE0ELNS1_11target_archE4294967295ELNS1_3gpuE0ELNS1_3repE0EEENS1_30default_config_static_selectorELNS0_4arch9wavefront6targetE1EEEvSM_.kd
    .uniform_work_group_size: 1
    .uses_dynamic_stack: false
    .vgpr_count:     43
    .vgpr_spill_count: 0
    .wavefront_size: 64
  - .agpr_count:     0
    .args:
      - .offset:         0
        .size:           72
        .value_kind:     by_value
    .group_segment_fixed_size: 0
    .kernarg_segment_align: 8
    .kernarg_segment_size: 72
    .language:       OpenCL C
    .language_version:
      - 2
      - 0
    .max_flat_workgroup_size: 256
    .name:           _ZN7rocprim17ROCPRIM_400000_NS6detail17trampoline_kernelINS0_14default_configENS1_22reduce_config_selectorIbEEZNS1_11reduce_implILb1ES3_N6hipcub16HIPCUB_304000_NS22TransformInputIteratorIb7NonZeroIaEPalEEPllNS8_6detail34convert_binary_result_type_wrapperINS8_3SumESD_lEEEE10hipError_tPvRmT1_T2_T3_mT4_P12ihipStream_tbEUlT_E0_NS1_11comp_targetILNS1_3genE5ELNS1_11target_archE942ELNS1_3gpuE9ELNS1_3repE0EEENS1_30default_config_static_selectorELNS0_4arch9wavefront6targetE1EEEvSM_
    .private_segment_fixed_size: 0
    .sgpr_count:     6
    .sgpr_spill_count: 0
    .symbol:         _ZN7rocprim17ROCPRIM_400000_NS6detail17trampoline_kernelINS0_14default_configENS1_22reduce_config_selectorIbEEZNS1_11reduce_implILb1ES3_N6hipcub16HIPCUB_304000_NS22TransformInputIteratorIb7NonZeroIaEPalEEPllNS8_6detail34convert_binary_result_type_wrapperINS8_3SumESD_lEEEE10hipError_tPvRmT1_T2_T3_mT4_P12ihipStream_tbEUlT_E0_NS1_11comp_targetILNS1_3genE5ELNS1_11target_archE942ELNS1_3gpuE9ELNS1_3repE0EEENS1_30default_config_static_selectorELNS0_4arch9wavefront6targetE1EEEvSM_.kd
    .uniform_work_group_size: 1
    .uses_dynamic_stack: false
    .vgpr_count:     0
    .vgpr_spill_count: 0
    .wavefront_size: 64
  - .agpr_count:     0
    .args:
      - .offset:         0
        .size:           72
        .value_kind:     by_value
    .group_segment_fixed_size: 0
    .kernarg_segment_align: 8
    .kernarg_segment_size: 72
    .language:       OpenCL C
    .language_version:
      - 2
      - 0
    .max_flat_workgroup_size: 128
    .name:           _ZN7rocprim17ROCPRIM_400000_NS6detail17trampoline_kernelINS0_14default_configENS1_22reduce_config_selectorIbEEZNS1_11reduce_implILb1ES3_N6hipcub16HIPCUB_304000_NS22TransformInputIteratorIb7NonZeroIaEPalEEPllNS8_6detail34convert_binary_result_type_wrapperINS8_3SumESD_lEEEE10hipError_tPvRmT1_T2_T3_mT4_P12ihipStream_tbEUlT_E0_NS1_11comp_targetILNS1_3genE4ELNS1_11target_archE910ELNS1_3gpuE8ELNS1_3repE0EEENS1_30default_config_static_selectorELNS0_4arch9wavefront6targetE1EEEvSM_
    .private_segment_fixed_size: 0
    .sgpr_count:     6
    .sgpr_spill_count: 0
    .symbol:         _ZN7rocprim17ROCPRIM_400000_NS6detail17trampoline_kernelINS0_14default_configENS1_22reduce_config_selectorIbEEZNS1_11reduce_implILb1ES3_N6hipcub16HIPCUB_304000_NS22TransformInputIteratorIb7NonZeroIaEPalEEPllNS8_6detail34convert_binary_result_type_wrapperINS8_3SumESD_lEEEE10hipError_tPvRmT1_T2_T3_mT4_P12ihipStream_tbEUlT_E0_NS1_11comp_targetILNS1_3genE4ELNS1_11target_archE910ELNS1_3gpuE8ELNS1_3repE0EEENS1_30default_config_static_selectorELNS0_4arch9wavefront6targetE1EEEvSM_.kd
    .uniform_work_group_size: 1
    .uses_dynamic_stack: false
    .vgpr_count:     0
    .vgpr_spill_count: 0
    .wavefront_size: 64
  - .agpr_count:     0
    .args:
      - .offset:         0
        .size:           72
        .value_kind:     by_value
    .group_segment_fixed_size: 0
    .kernarg_segment_align: 8
    .kernarg_segment_size: 72
    .language:       OpenCL C
    .language_version:
      - 2
      - 0
    .max_flat_workgroup_size: 256
    .name:           _ZN7rocprim17ROCPRIM_400000_NS6detail17trampoline_kernelINS0_14default_configENS1_22reduce_config_selectorIbEEZNS1_11reduce_implILb1ES3_N6hipcub16HIPCUB_304000_NS22TransformInputIteratorIb7NonZeroIaEPalEEPllNS8_6detail34convert_binary_result_type_wrapperINS8_3SumESD_lEEEE10hipError_tPvRmT1_T2_T3_mT4_P12ihipStream_tbEUlT_E0_NS1_11comp_targetILNS1_3genE3ELNS1_11target_archE908ELNS1_3gpuE7ELNS1_3repE0EEENS1_30default_config_static_selectorELNS0_4arch9wavefront6targetE1EEEvSM_
    .private_segment_fixed_size: 0
    .sgpr_count:     6
    .sgpr_spill_count: 0
    .symbol:         _ZN7rocprim17ROCPRIM_400000_NS6detail17trampoline_kernelINS0_14default_configENS1_22reduce_config_selectorIbEEZNS1_11reduce_implILb1ES3_N6hipcub16HIPCUB_304000_NS22TransformInputIteratorIb7NonZeroIaEPalEEPllNS8_6detail34convert_binary_result_type_wrapperINS8_3SumESD_lEEEE10hipError_tPvRmT1_T2_T3_mT4_P12ihipStream_tbEUlT_E0_NS1_11comp_targetILNS1_3genE3ELNS1_11target_archE908ELNS1_3gpuE7ELNS1_3repE0EEENS1_30default_config_static_selectorELNS0_4arch9wavefront6targetE1EEEvSM_.kd
    .uniform_work_group_size: 1
    .uses_dynamic_stack: false
    .vgpr_count:     0
    .vgpr_spill_count: 0
    .wavefront_size: 64
  - .agpr_count:     0
    .args:
      - .offset:         0
        .size:           72
        .value_kind:     by_value
    .group_segment_fixed_size: 0
    .kernarg_segment_align: 8
    .kernarg_segment_size: 72
    .language:       OpenCL C
    .language_version:
      - 2
      - 0
    .max_flat_workgroup_size: 128
    .name:           _ZN7rocprim17ROCPRIM_400000_NS6detail17trampoline_kernelINS0_14default_configENS1_22reduce_config_selectorIbEEZNS1_11reduce_implILb1ES3_N6hipcub16HIPCUB_304000_NS22TransformInputIteratorIb7NonZeroIaEPalEEPllNS8_6detail34convert_binary_result_type_wrapperINS8_3SumESD_lEEEE10hipError_tPvRmT1_T2_T3_mT4_P12ihipStream_tbEUlT_E0_NS1_11comp_targetILNS1_3genE2ELNS1_11target_archE906ELNS1_3gpuE6ELNS1_3repE0EEENS1_30default_config_static_selectorELNS0_4arch9wavefront6targetE1EEEvSM_
    .private_segment_fixed_size: 0
    .sgpr_count:     6
    .sgpr_spill_count: 0
    .symbol:         _ZN7rocprim17ROCPRIM_400000_NS6detail17trampoline_kernelINS0_14default_configENS1_22reduce_config_selectorIbEEZNS1_11reduce_implILb1ES3_N6hipcub16HIPCUB_304000_NS22TransformInputIteratorIb7NonZeroIaEPalEEPllNS8_6detail34convert_binary_result_type_wrapperINS8_3SumESD_lEEEE10hipError_tPvRmT1_T2_T3_mT4_P12ihipStream_tbEUlT_E0_NS1_11comp_targetILNS1_3genE2ELNS1_11target_archE906ELNS1_3gpuE6ELNS1_3repE0EEENS1_30default_config_static_selectorELNS0_4arch9wavefront6targetE1EEEvSM_.kd
    .uniform_work_group_size: 1
    .uses_dynamic_stack: false
    .vgpr_count:     0
    .vgpr_spill_count: 0
    .wavefront_size: 64
  - .agpr_count:     0
    .args:
      - .offset:         0
        .size:           72
        .value_kind:     by_value
    .group_segment_fixed_size: 0
    .kernarg_segment_align: 8
    .kernarg_segment_size: 72
    .language:       OpenCL C
    .language_version:
      - 2
      - 0
    .max_flat_workgroup_size: 256
    .name:           _ZN7rocprim17ROCPRIM_400000_NS6detail17trampoline_kernelINS0_14default_configENS1_22reduce_config_selectorIbEEZNS1_11reduce_implILb1ES3_N6hipcub16HIPCUB_304000_NS22TransformInputIteratorIb7NonZeroIaEPalEEPllNS8_6detail34convert_binary_result_type_wrapperINS8_3SumESD_lEEEE10hipError_tPvRmT1_T2_T3_mT4_P12ihipStream_tbEUlT_E0_NS1_11comp_targetILNS1_3genE10ELNS1_11target_archE1201ELNS1_3gpuE5ELNS1_3repE0EEENS1_30default_config_static_selectorELNS0_4arch9wavefront6targetE1EEEvSM_
    .private_segment_fixed_size: 0
    .sgpr_count:     6
    .sgpr_spill_count: 0
    .symbol:         _ZN7rocprim17ROCPRIM_400000_NS6detail17trampoline_kernelINS0_14default_configENS1_22reduce_config_selectorIbEEZNS1_11reduce_implILb1ES3_N6hipcub16HIPCUB_304000_NS22TransformInputIteratorIb7NonZeroIaEPalEEPllNS8_6detail34convert_binary_result_type_wrapperINS8_3SumESD_lEEEE10hipError_tPvRmT1_T2_T3_mT4_P12ihipStream_tbEUlT_E0_NS1_11comp_targetILNS1_3genE10ELNS1_11target_archE1201ELNS1_3gpuE5ELNS1_3repE0EEENS1_30default_config_static_selectorELNS0_4arch9wavefront6targetE1EEEvSM_.kd
    .uniform_work_group_size: 1
    .uses_dynamic_stack: false
    .vgpr_count:     0
    .vgpr_spill_count: 0
    .wavefront_size: 64
  - .agpr_count:     0
    .args:
      - .offset:         0
        .size:           72
        .value_kind:     by_value
    .group_segment_fixed_size: 0
    .kernarg_segment_align: 8
    .kernarg_segment_size: 72
    .language:       OpenCL C
    .language_version:
      - 2
      - 0
    .max_flat_workgroup_size: 256
    .name:           _ZN7rocprim17ROCPRIM_400000_NS6detail17trampoline_kernelINS0_14default_configENS1_22reduce_config_selectorIbEEZNS1_11reduce_implILb1ES3_N6hipcub16HIPCUB_304000_NS22TransformInputIteratorIb7NonZeroIaEPalEEPllNS8_6detail34convert_binary_result_type_wrapperINS8_3SumESD_lEEEE10hipError_tPvRmT1_T2_T3_mT4_P12ihipStream_tbEUlT_E0_NS1_11comp_targetILNS1_3genE10ELNS1_11target_archE1200ELNS1_3gpuE4ELNS1_3repE0EEENS1_30default_config_static_selectorELNS0_4arch9wavefront6targetE1EEEvSM_
    .private_segment_fixed_size: 0
    .sgpr_count:     6
    .sgpr_spill_count: 0
    .symbol:         _ZN7rocprim17ROCPRIM_400000_NS6detail17trampoline_kernelINS0_14default_configENS1_22reduce_config_selectorIbEEZNS1_11reduce_implILb1ES3_N6hipcub16HIPCUB_304000_NS22TransformInputIteratorIb7NonZeroIaEPalEEPllNS8_6detail34convert_binary_result_type_wrapperINS8_3SumESD_lEEEE10hipError_tPvRmT1_T2_T3_mT4_P12ihipStream_tbEUlT_E0_NS1_11comp_targetILNS1_3genE10ELNS1_11target_archE1200ELNS1_3gpuE4ELNS1_3repE0EEENS1_30default_config_static_selectorELNS0_4arch9wavefront6targetE1EEEvSM_.kd
    .uniform_work_group_size: 1
    .uses_dynamic_stack: false
    .vgpr_count:     0
    .vgpr_spill_count: 0
    .wavefront_size: 64
  - .agpr_count:     0
    .args:
      - .offset:         0
        .size:           72
        .value_kind:     by_value
    .group_segment_fixed_size: 0
    .kernarg_segment_align: 8
    .kernarg_segment_size: 72
    .language:       OpenCL C
    .language_version:
      - 2
      - 0
    .max_flat_workgroup_size: 128
    .name:           _ZN7rocprim17ROCPRIM_400000_NS6detail17trampoline_kernelINS0_14default_configENS1_22reduce_config_selectorIbEEZNS1_11reduce_implILb1ES3_N6hipcub16HIPCUB_304000_NS22TransformInputIteratorIb7NonZeroIaEPalEEPllNS8_6detail34convert_binary_result_type_wrapperINS8_3SumESD_lEEEE10hipError_tPvRmT1_T2_T3_mT4_P12ihipStream_tbEUlT_E0_NS1_11comp_targetILNS1_3genE9ELNS1_11target_archE1100ELNS1_3gpuE3ELNS1_3repE0EEENS1_30default_config_static_selectorELNS0_4arch9wavefront6targetE1EEEvSM_
    .private_segment_fixed_size: 0
    .sgpr_count:     6
    .sgpr_spill_count: 0
    .symbol:         _ZN7rocprim17ROCPRIM_400000_NS6detail17trampoline_kernelINS0_14default_configENS1_22reduce_config_selectorIbEEZNS1_11reduce_implILb1ES3_N6hipcub16HIPCUB_304000_NS22TransformInputIteratorIb7NonZeroIaEPalEEPllNS8_6detail34convert_binary_result_type_wrapperINS8_3SumESD_lEEEE10hipError_tPvRmT1_T2_T3_mT4_P12ihipStream_tbEUlT_E0_NS1_11comp_targetILNS1_3genE9ELNS1_11target_archE1100ELNS1_3gpuE3ELNS1_3repE0EEENS1_30default_config_static_selectorELNS0_4arch9wavefront6targetE1EEEvSM_.kd
    .uniform_work_group_size: 1
    .uses_dynamic_stack: false
    .vgpr_count:     0
    .vgpr_spill_count: 0
    .wavefront_size: 64
  - .agpr_count:     0
    .args:
      - .offset:         0
        .size:           72
        .value_kind:     by_value
    .group_segment_fixed_size: 0
    .kernarg_segment_align: 8
    .kernarg_segment_size: 72
    .language:       OpenCL C
    .language_version:
      - 2
      - 0
    .max_flat_workgroup_size: 256
    .name:           _ZN7rocprim17ROCPRIM_400000_NS6detail17trampoline_kernelINS0_14default_configENS1_22reduce_config_selectorIbEEZNS1_11reduce_implILb1ES3_N6hipcub16HIPCUB_304000_NS22TransformInputIteratorIb7NonZeroIaEPalEEPllNS8_6detail34convert_binary_result_type_wrapperINS8_3SumESD_lEEEE10hipError_tPvRmT1_T2_T3_mT4_P12ihipStream_tbEUlT_E0_NS1_11comp_targetILNS1_3genE8ELNS1_11target_archE1030ELNS1_3gpuE2ELNS1_3repE0EEENS1_30default_config_static_selectorELNS0_4arch9wavefront6targetE1EEEvSM_
    .private_segment_fixed_size: 0
    .sgpr_count:     6
    .sgpr_spill_count: 0
    .symbol:         _ZN7rocprim17ROCPRIM_400000_NS6detail17trampoline_kernelINS0_14default_configENS1_22reduce_config_selectorIbEEZNS1_11reduce_implILb1ES3_N6hipcub16HIPCUB_304000_NS22TransformInputIteratorIb7NonZeroIaEPalEEPllNS8_6detail34convert_binary_result_type_wrapperINS8_3SumESD_lEEEE10hipError_tPvRmT1_T2_T3_mT4_P12ihipStream_tbEUlT_E0_NS1_11comp_targetILNS1_3genE8ELNS1_11target_archE1030ELNS1_3gpuE2ELNS1_3repE0EEENS1_30default_config_static_selectorELNS0_4arch9wavefront6targetE1EEEvSM_.kd
    .uniform_work_group_size: 1
    .uses_dynamic_stack: false
    .vgpr_count:     0
    .vgpr_spill_count: 0
    .wavefront_size: 64
  - .agpr_count:     4
    .args:
      - .offset:         0
        .size:           56
        .value_kind:     by_value
    .group_segment_fixed_size: 288
    .kernarg_segment_align: 8
    .kernarg_segment_size: 56
    .language:       OpenCL C
    .language_version:
      - 2
      - 0
    .max_flat_workgroup_size: 256
    .name:           _ZN7rocprim17ROCPRIM_400000_NS6detail17trampoline_kernelINS0_14default_configENS1_22reduce_config_selectorIbEEZNS1_11reduce_implILb1ES3_N6hipcub16HIPCUB_304000_NS22TransformInputIteratorIb7NonZeroIaEPalEEPllNS8_6detail34convert_binary_result_type_wrapperINS8_3SumESD_lEEEE10hipError_tPvRmT1_T2_T3_mT4_P12ihipStream_tbEUlT_E1_NS1_11comp_targetILNS1_3genE0ELNS1_11target_archE4294967295ELNS1_3gpuE0ELNS1_3repE0EEENS1_30default_config_static_selectorELNS0_4arch9wavefront6targetE1EEEvSM_
    .private_segment_fixed_size: 0
    .sgpr_count:     52
    .sgpr_spill_count: 0
    .symbol:         _ZN7rocprim17ROCPRIM_400000_NS6detail17trampoline_kernelINS0_14default_configENS1_22reduce_config_selectorIbEEZNS1_11reduce_implILb1ES3_N6hipcub16HIPCUB_304000_NS22TransformInputIteratorIb7NonZeroIaEPalEEPllNS8_6detail34convert_binary_result_type_wrapperINS8_3SumESD_lEEEE10hipError_tPvRmT1_T2_T3_mT4_P12ihipStream_tbEUlT_E1_NS1_11comp_targetILNS1_3genE0ELNS1_11target_archE4294967295ELNS1_3gpuE0ELNS1_3repE0EEENS1_30default_config_static_selectorELNS0_4arch9wavefront6targetE1EEEvSM_.kd
    .uniform_work_group_size: 1
    .uses_dynamic_stack: false
    .vgpr_count:     260
    .vgpr_spill_count: 0
    .wavefront_size: 64
  - .agpr_count:     0
    .args:
      - .offset:         0
        .size:           56
        .value_kind:     by_value
    .group_segment_fixed_size: 0
    .kernarg_segment_align: 8
    .kernarg_segment_size: 56
    .language:       OpenCL C
    .language_version:
      - 2
      - 0
    .max_flat_workgroup_size: 256
    .name:           _ZN7rocprim17ROCPRIM_400000_NS6detail17trampoline_kernelINS0_14default_configENS1_22reduce_config_selectorIbEEZNS1_11reduce_implILb1ES3_N6hipcub16HIPCUB_304000_NS22TransformInputIteratorIb7NonZeroIaEPalEEPllNS8_6detail34convert_binary_result_type_wrapperINS8_3SumESD_lEEEE10hipError_tPvRmT1_T2_T3_mT4_P12ihipStream_tbEUlT_E1_NS1_11comp_targetILNS1_3genE5ELNS1_11target_archE942ELNS1_3gpuE9ELNS1_3repE0EEENS1_30default_config_static_selectorELNS0_4arch9wavefront6targetE1EEEvSM_
    .private_segment_fixed_size: 0
    .sgpr_count:     6
    .sgpr_spill_count: 0
    .symbol:         _ZN7rocprim17ROCPRIM_400000_NS6detail17trampoline_kernelINS0_14default_configENS1_22reduce_config_selectorIbEEZNS1_11reduce_implILb1ES3_N6hipcub16HIPCUB_304000_NS22TransformInputIteratorIb7NonZeroIaEPalEEPllNS8_6detail34convert_binary_result_type_wrapperINS8_3SumESD_lEEEE10hipError_tPvRmT1_T2_T3_mT4_P12ihipStream_tbEUlT_E1_NS1_11comp_targetILNS1_3genE5ELNS1_11target_archE942ELNS1_3gpuE9ELNS1_3repE0EEENS1_30default_config_static_selectorELNS0_4arch9wavefront6targetE1EEEvSM_.kd
    .uniform_work_group_size: 1
    .uses_dynamic_stack: false
    .vgpr_count:     0
    .vgpr_spill_count: 0
    .wavefront_size: 64
  - .agpr_count:     0
    .args:
      - .offset:         0
        .size:           56
        .value_kind:     by_value
    .group_segment_fixed_size: 0
    .kernarg_segment_align: 8
    .kernarg_segment_size: 56
    .language:       OpenCL C
    .language_version:
      - 2
      - 0
    .max_flat_workgroup_size: 128
    .name:           _ZN7rocprim17ROCPRIM_400000_NS6detail17trampoline_kernelINS0_14default_configENS1_22reduce_config_selectorIbEEZNS1_11reduce_implILb1ES3_N6hipcub16HIPCUB_304000_NS22TransformInputIteratorIb7NonZeroIaEPalEEPllNS8_6detail34convert_binary_result_type_wrapperINS8_3SumESD_lEEEE10hipError_tPvRmT1_T2_T3_mT4_P12ihipStream_tbEUlT_E1_NS1_11comp_targetILNS1_3genE4ELNS1_11target_archE910ELNS1_3gpuE8ELNS1_3repE0EEENS1_30default_config_static_selectorELNS0_4arch9wavefront6targetE1EEEvSM_
    .private_segment_fixed_size: 0
    .sgpr_count:     6
    .sgpr_spill_count: 0
    .symbol:         _ZN7rocprim17ROCPRIM_400000_NS6detail17trampoline_kernelINS0_14default_configENS1_22reduce_config_selectorIbEEZNS1_11reduce_implILb1ES3_N6hipcub16HIPCUB_304000_NS22TransformInputIteratorIb7NonZeroIaEPalEEPllNS8_6detail34convert_binary_result_type_wrapperINS8_3SumESD_lEEEE10hipError_tPvRmT1_T2_T3_mT4_P12ihipStream_tbEUlT_E1_NS1_11comp_targetILNS1_3genE4ELNS1_11target_archE910ELNS1_3gpuE8ELNS1_3repE0EEENS1_30default_config_static_selectorELNS0_4arch9wavefront6targetE1EEEvSM_.kd
    .uniform_work_group_size: 1
    .uses_dynamic_stack: false
    .vgpr_count:     0
    .vgpr_spill_count: 0
    .wavefront_size: 64
  - .agpr_count:     0
    .args:
      - .offset:         0
        .size:           56
        .value_kind:     by_value
    .group_segment_fixed_size: 0
    .kernarg_segment_align: 8
    .kernarg_segment_size: 56
    .language:       OpenCL C
    .language_version:
      - 2
      - 0
    .max_flat_workgroup_size: 256
    .name:           _ZN7rocprim17ROCPRIM_400000_NS6detail17trampoline_kernelINS0_14default_configENS1_22reduce_config_selectorIbEEZNS1_11reduce_implILb1ES3_N6hipcub16HIPCUB_304000_NS22TransformInputIteratorIb7NonZeroIaEPalEEPllNS8_6detail34convert_binary_result_type_wrapperINS8_3SumESD_lEEEE10hipError_tPvRmT1_T2_T3_mT4_P12ihipStream_tbEUlT_E1_NS1_11comp_targetILNS1_3genE3ELNS1_11target_archE908ELNS1_3gpuE7ELNS1_3repE0EEENS1_30default_config_static_selectorELNS0_4arch9wavefront6targetE1EEEvSM_
    .private_segment_fixed_size: 0
    .sgpr_count:     6
    .sgpr_spill_count: 0
    .symbol:         _ZN7rocprim17ROCPRIM_400000_NS6detail17trampoline_kernelINS0_14default_configENS1_22reduce_config_selectorIbEEZNS1_11reduce_implILb1ES3_N6hipcub16HIPCUB_304000_NS22TransformInputIteratorIb7NonZeroIaEPalEEPllNS8_6detail34convert_binary_result_type_wrapperINS8_3SumESD_lEEEE10hipError_tPvRmT1_T2_T3_mT4_P12ihipStream_tbEUlT_E1_NS1_11comp_targetILNS1_3genE3ELNS1_11target_archE908ELNS1_3gpuE7ELNS1_3repE0EEENS1_30default_config_static_selectorELNS0_4arch9wavefront6targetE1EEEvSM_.kd
    .uniform_work_group_size: 1
    .uses_dynamic_stack: false
    .vgpr_count:     0
    .vgpr_spill_count: 0
    .wavefront_size: 64
  - .agpr_count:     0
    .args:
      - .offset:         0
        .size:           56
        .value_kind:     by_value
    .group_segment_fixed_size: 0
    .kernarg_segment_align: 8
    .kernarg_segment_size: 56
    .language:       OpenCL C
    .language_version:
      - 2
      - 0
    .max_flat_workgroup_size: 128
    .name:           _ZN7rocprim17ROCPRIM_400000_NS6detail17trampoline_kernelINS0_14default_configENS1_22reduce_config_selectorIbEEZNS1_11reduce_implILb1ES3_N6hipcub16HIPCUB_304000_NS22TransformInputIteratorIb7NonZeroIaEPalEEPllNS8_6detail34convert_binary_result_type_wrapperINS8_3SumESD_lEEEE10hipError_tPvRmT1_T2_T3_mT4_P12ihipStream_tbEUlT_E1_NS1_11comp_targetILNS1_3genE2ELNS1_11target_archE906ELNS1_3gpuE6ELNS1_3repE0EEENS1_30default_config_static_selectorELNS0_4arch9wavefront6targetE1EEEvSM_
    .private_segment_fixed_size: 0
    .sgpr_count:     6
    .sgpr_spill_count: 0
    .symbol:         _ZN7rocprim17ROCPRIM_400000_NS6detail17trampoline_kernelINS0_14default_configENS1_22reduce_config_selectorIbEEZNS1_11reduce_implILb1ES3_N6hipcub16HIPCUB_304000_NS22TransformInputIteratorIb7NonZeroIaEPalEEPllNS8_6detail34convert_binary_result_type_wrapperINS8_3SumESD_lEEEE10hipError_tPvRmT1_T2_T3_mT4_P12ihipStream_tbEUlT_E1_NS1_11comp_targetILNS1_3genE2ELNS1_11target_archE906ELNS1_3gpuE6ELNS1_3repE0EEENS1_30default_config_static_selectorELNS0_4arch9wavefront6targetE1EEEvSM_.kd
    .uniform_work_group_size: 1
    .uses_dynamic_stack: false
    .vgpr_count:     0
    .vgpr_spill_count: 0
    .wavefront_size: 64
  - .agpr_count:     0
    .args:
      - .offset:         0
        .size:           56
        .value_kind:     by_value
    .group_segment_fixed_size: 0
    .kernarg_segment_align: 8
    .kernarg_segment_size: 56
    .language:       OpenCL C
    .language_version:
      - 2
      - 0
    .max_flat_workgroup_size: 256
    .name:           _ZN7rocprim17ROCPRIM_400000_NS6detail17trampoline_kernelINS0_14default_configENS1_22reduce_config_selectorIbEEZNS1_11reduce_implILb1ES3_N6hipcub16HIPCUB_304000_NS22TransformInputIteratorIb7NonZeroIaEPalEEPllNS8_6detail34convert_binary_result_type_wrapperINS8_3SumESD_lEEEE10hipError_tPvRmT1_T2_T3_mT4_P12ihipStream_tbEUlT_E1_NS1_11comp_targetILNS1_3genE10ELNS1_11target_archE1201ELNS1_3gpuE5ELNS1_3repE0EEENS1_30default_config_static_selectorELNS0_4arch9wavefront6targetE1EEEvSM_
    .private_segment_fixed_size: 0
    .sgpr_count:     6
    .sgpr_spill_count: 0
    .symbol:         _ZN7rocprim17ROCPRIM_400000_NS6detail17trampoline_kernelINS0_14default_configENS1_22reduce_config_selectorIbEEZNS1_11reduce_implILb1ES3_N6hipcub16HIPCUB_304000_NS22TransformInputIteratorIb7NonZeroIaEPalEEPllNS8_6detail34convert_binary_result_type_wrapperINS8_3SumESD_lEEEE10hipError_tPvRmT1_T2_T3_mT4_P12ihipStream_tbEUlT_E1_NS1_11comp_targetILNS1_3genE10ELNS1_11target_archE1201ELNS1_3gpuE5ELNS1_3repE0EEENS1_30default_config_static_selectorELNS0_4arch9wavefront6targetE1EEEvSM_.kd
    .uniform_work_group_size: 1
    .uses_dynamic_stack: false
    .vgpr_count:     0
    .vgpr_spill_count: 0
    .wavefront_size: 64
  - .agpr_count:     0
    .args:
      - .offset:         0
        .size:           56
        .value_kind:     by_value
    .group_segment_fixed_size: 0
    .kernarg_segment_align: 8
    .kernarg_segment_size: 56
    .language:       OpenCL C
    .language_version:
      - 2
      - 0
    .max_flat_workgroup_size: 256
    .name:           _ZN7rocprim17ROCPRIM_400000_NS6detail17trampoline_kernelINS0_14default_configENS1_22reduce_config_selectorIbEEZNS1_11reduce_implILb1ES3_N6hipcub16HIPCUB_304000_NS22TransformInputIteratorIb7NonZeroIaEPalEEPllNS8_6detail34convert_binary_result_type_wrapperINS8_3SumESD_lEEEE10hipError_tPvRmT1_T2_T3_mT4_P12ihipStream_tbEUlT_E1_NS1_11comp_targetILNS1_3genE10ELNS1_11target_archE1200ELNS1_3gpuE4ELNS1_3repE0EEENS1_30default_config_static_selectorELNS0_4arch9wavefront6targetE1EEEvSM_
    .private_segment_fixed_size: 0
    .sgpr_count:     6
    .sgpr_spill_count: 0
    .symbol:         _ZN7rocprim17ROCPRIM_400000_NS6detail17trampoline_kernelINS0_14default_configENS1_22reduce_config_selectorIbEEZNS1_11reduce_implILb1ES3_N6hipcub16HIPCUB_304000_NS22TransformInputIteratorIb7NonZeroIaEPalEEPllNS8_6detail34convert_binary_result_type_wrapperINS8_3SumESD_lEEEE10hipError_tPvRmT1_T2_T3_mT4_P12ihipStream_tbEUlT_E1_NS1_11comp_targetILNS1_3genE10ELNS1_11target_archE1200ELNS1_3gpuE4ELNS1_3repE0EEENS1_30default_config_static_selectorELNS0_4arch9wavefront6targetE1EEEvSM_.kd
    .uniform_work_group_size: 1
    .uses_dynamic_stack: false
    .vgpr_count:     0
    .vgpr_spill_count: 0
    .wavefront_size: 64
  - .agpr_count:     0
    .args:
      - .offset:         0
        .size:           56
        .value_kind:     by_value
    .group_segment_fixed_size: 0
    .kernarg_segment_align: 8
    .kernarg_segment_size: 56
    .language:       OpenCL C
    .language_version:
      - 2
      - 0
    .max_flat_workgroup_size: 128
    .name:           _ZN7rocprim17ROCPRIM_400000_NS6detail17trampoline_kernelINS0_14default_configENS1_22reduce_config_selectorIbEEZNS1_11reduce_implILb1ES3_N6hipcub16HIPCUB_304000_NS22TransformInputIteratorIb7NonZeroIaEPalEEPllNS8_6detail34convert_binary_result_type_wrapperINS8_3SumESD_lEEEE10hipError_tPvRmT1_T2_T3_mT4_P12ihipStream_tbEUlT_E1_NS1_11comp_targetILNS1_3genE9ELNS1_11target_archE1100ELNS1_3gpuE3ELNS1_3repE0EEENS1_30default_config_static_selectorELNS0_4arch9wavefront6targetE1EEEvSM_
    .private_segment_fixed_size: 0
    .sgpr_count:     6
    .sgpr_spill_count: 0
    .symbol:         _ZN7rocprim17ROCPRIM_400000_NS6detail17trampoline_kernelINS0_14default_configENS1_22reduce_config_selectorIbEEZNS1_11reduce_implILb1ES3_N6hipcub16HIPCUB_304000_NS22TransformInputIteratorIb7NonZeroIaEPalEEPllNS8_6detail34convert_binary_result_type_wrapperINS8_3SumESD_lEEEE10hipError_tPvRmT1_T2_T3_mT4_P12ihipStream_tbEUlT_E1_NS1_11comp_targetILNS1_3genE9ELNS1_11target_archE1100ELNS1_3gpuE3ELNS1_3repE0EEENS1_30default_config_static_selectorELNS0_4arch9wavefront6targetE1EEEvSM_.kd
    .uniform_work_group_size: 1
    .uses_dynamic_stack: false
    .vgpr_count:     0
    .vgpr_spill_count: 0
    .wavefront_size: 64
  - .agpr_count:     0
    .args:
      - .offset:         0
        .size:           56
        .value_kind:     by_value
    .group_segment_fixed_size: 0
    .kernarg_segment_align: 8
    .kernarg_segment_size: 56
    .language:       OpenCL C
    .language_version:
      - 2
      - 0
    .max_flat_workgroup_size: 256
    .name:           _ZN7rocprim17ROCPRIM_400000_NS6detail17trampoline_kernelINS0_14default_configENS1_22reduce_config_selectorIbEEZNS1_11reduce_implILb1ES3_N6hipcub16HIPCUB_304000_NS22TransformInputIteratorIb7NonZeroIaEPalEEPllNS8_6detail34convert_binary_result_type_wrapperINS8_3SumESD_lEEEE10hipError_tPvRmT1_T2_T3_mT4_P12ihipStream_tbEUlT_E1_NS1_11comp_targetILNS1_3genE8ELNS1_11target_archE1030ELNS1_3gpuE2ELNS1_3repE0EEENS1_30default_config_static_selectorELNS0_4arch9wavefront6targetE1EEEvSM_
    .private_segment_fixed_size: 0
    .sgpr_count:     6
    .sgpr_spill_count: 0
    .symbol:         _ZN7rocprim17ROCPRIM_400000_NS6detail17trampoline_kernelINS0_14default_configENS1_22reduce_config_selectorIbEEZNS1_11reduce_implILb1ES3_N6hipcub16HIPCUB_304000_NS22TransformInputIteratorIb7NonZeroIaEPalEEPllNS8_6detail34convert_binary_result_type_wrapperINS8_3SumESD_lEEEE10hipError_tPvRmT1_T2_T3_mT4_P12ihipStream_tbEUlT_E1_NS1_11comp_targetILNS1_3genE8ELNS1_11target_archE1030ELNS1_3gpuE2ELNS1_3repE0EEENS1_30default_config_static_selectorELNS0_4arch9wavefront6targetE1EEEvSM_.kd
    .uniform_work_group_size: 1
    .uses_dynamic_stack: false
    .vgpr_count:     0
    .vgpr_spill_count: 0
    .wavefront_size: 64
  - .agpr_count:     0
    .args:
      - .address_space:  global
        .offset:         0
        .size:           8
        .value_kind:     global_buffer
      - .offset:         8
        .size:           4
        .value_kind:     by_value
      - .offset:         12
        .size:           1
        .value_kind:     by_value
      - .offset:         16
        .size:           4
        .value_kind:     by_value
      - .address_space:  global
        .offset:         24
        .size:           8
        .value_kind:     global_buffer
      - .offset:         32
        .size:           4
        .value_kind:     hidden_block_count_x
      - .offset:         36
        .size:           4
        .value_kind:     hidden_block_count_y
      - .offset:         40
        .size:           4
        .value_kind:     hidden_block_count_z
      - .offset:         44
        .size:           2
        .value_kind:     hidden_group_size_x
      - .offset:         46
        .size:           2
        .value_kind:     hidden_group_size_y
      - .offset:         48
        .size:           2
        .value_kind:     hidden_group_size_z
      - .offset:         50
        .size:           2
        .value_kind:     hidden_remainder_x
      - .offset:         52
        .size:           2
        .value_kind:     hidden_remainder_y
      - .offset:         54
        .size:           2
        .value_kind:     hidden_remainder_z
      - .offset:         72
        .size:           8
        .value_kind:     hidden_global_offset_x
      - .offset:         80
        .size:           8
        .value_kind:     hidden_global_offset_y
      - .offset:         88
        .size:           8
        .value_kind:     hidden_global_offset_z
      - .offset:         96
        .size:           2
        .value_kind:     hidden_grid_dims
    .group_segment_fixed_size: 0
    .kernarg_segment_align: 8
    .kernarg_segment_size: 288
    .language:       OpenCL C
    .language_version:
      - 2
      - 0
    .max_flat_workgroup_size: 256
    .name:           _ZN7rocprim17ROCPRIM_400000_NS6detail31init_lookback_scan_state_kernelINS1_19lookback_scan_stateImLb0ELb1EEENS1_16block_id_wrapperIjLb0EEEEEvT_jT0_jPNS7_10value_typeE
    .private_segment_fixed_size: 0
    .sgpr_count:     19
    .sgpr_spill_count: 0
    .symbol:         _ZN7rocprim17ROCPRIM_400000_NS6detail31init_lookback_scan_state_kernelINS1_19lookback_scan_stateImLb0ELb1EEENS1_16block_id_wrapperIjLb0EEEEEvT_jT0_jPNS7_10value_typeE.kd
    .uniform_work_group_size: 1
    .uses_dynamic_stack: false
    .vgpr_count:     10
    .vgpr_spill_count: 0
    .wavefront_size: 64
  - .agpr_count:     0
    .args:
      - .offset:         0
        .size:           120
        .value_kind:     by_value
    .group_segment_fixed_size: 7184
    .kernarg_segment_align: 8
    .kernarg_segment_size: 120
    .language:       OpenCL C
    .language_version:
      - 2
      - 0
    .max_flat_workgroup_size: 128
    .name:           _ZN7rocprim17ROCPRIM_400000_NS6detail17trampoline_kernelINS0_14default_configENS1_25partition_config_selectorILNS1_17partition_subalgoE5ElNS0_10empty_typeEbEEZZNS1_14partition_implILS5_5ELb0ES3_mN6hipcub16HIPCUB_304000_NS21CountingInputIteratorIllEEPS6_NSA_22TransformInputIteratorIb7NonZeroIaEPalEENS0_5tupleIJPlS6_EEENSJ_IJSD_SD_EEES6_SK_JS6_EEE10hipError_tPvRmT3_T4_T5_T6_T7_T9_mT8_P12ihipStream_tbDpT10_ENKUlT_T0_E_clISt17integral_constantIbLb0EES16_EEDaS11_S12_EUlS11_E_NS1_11comp_targetILNS1_3genE0ELNS1_11target_archE4294967295ELNS1_3gpuE0ELNS1_3repE0EEENS1_30default_config_static_selectorELNS0_4arch9wavefront6targetE1EEEvT1_
    .private_segment_fixed_size: 0
    .sgpr_count:     34
    .sgpr_spill_count: 0
    .symbol:         _ZN7rocprim17ROCPRIM_400000_NS6detail17trampoline_kernelINS0_14default_configENS1_25partition_config_selectorILNS1_17partition_subalgoE5ElNS0_10empty_typeEbEEZZNS1_14partition_implILS5_5ELb0ES3_mN6hipcub16HIPCUB_304000_NS21CountingInputIteratorIllEEPS6_NSA_22TransformInputIteratorIb7NonZeroIaEPalEENS0_5tupleIJPlS6_EEENSJ_IJSD_SD_EEES6_SK_JS6_EEE10hipError_tPvRmT3_T4_T5_T6_T7_T9_mT8_P12ihipStream_tbDpT10_ENKUlT_T0_E_clISt17integral_constantIbLb0EES16_EEDaS11_S12_EUlS11_E_NS1_11comp_targetILNS1_3genE0ELNS1_11target_archE4294967295ELNS1_3gpuE0ELNS1_3repE0EEENS1_30default_config_static_selectorELNS0_4arch9wavefront6targetE1EEEvT1_.kd
    .uniform_work_group_size: 1
    .uses_dynamic_stack: false
    .vgpr_count:     70
    .vgpr_spill_count: 0
    .wavefront_size: 64
  - .agpr_count:     0
    .args:
      - .offset:         0
        .size:           120
        .value_kind:     by_value
    .group_segment_fixed_size: 0
    .kernarg_segment_align: 8
    .kernarg_segment_size: 120
    .language:       OpenCL C
    .language_version:
      - 2
      - 0
    .max_flat_workgroup_size: 512
    .name:           _ZN7rocprim17ROCPRIM_400000_NS6detail17trampoline_kernelINS0_14default_configENS1_25partition_config_selectorILNS1_17partition_subalgoE5ElNS0_10empty_typeEbEEZZNS1_14partition_implILS5_5ELb0ES3_mN6hipcub16HIPCUB_304000_NS21CountingInputIteratorIllEEPS6_NSA_22TransformInputIteratorIb7NonZeroIaEPalEENS0_5tupleIJPlS6_EEENSJ_IJSD_SD_EEES6_SK_JS6_EEE10hipError_tPvRmT3_T4_T5_T6_T7_T9_mT8_P12ihipStream_tbDpT10_ENKUlT_T0_E_clISt17integral_constantIbLb0EES16_EEDaS11_S12_EUlS11_E_NS1_11comp_targetILNS1_3genE5ELNS1_11target_archE942ELNS1_3gpuE9ELNS1_3repE0EEENS1_30default_config_static_selectorELNS0_4arch9wavefront6targetE1EEEvT1_
    .private_segment_fixed_size: 0
    .sgpr_count:     6
    .sgpr_spill_count: 0
    .symbol:         _ZN7rocprim17ROCPRIM_400000_NS6detail17trampoline_kernelINS0_14default_configENS1_25partition_config_selectorILNS1_17partition_subalgoE5ElNS0_10empty_typeEbEEZZNS1_14partition_implILS5_5ELb0ES3_mN6hipcub16HIPCUB_304000_NS21CountingInputIteratorIllEEPS6_NSA_22TransformInputIteratorIb7NonZeroIaEPalEENS0_5tupleIJPlS6_EEENSJ_IJSD_SD_EEES6_SK_JS6_EEE10hipError_tPvRmT3_T4_T5_T6_T7_T9_mT8_P12ihipStream_tbDpT10_ENKUlT_T0_E_clISt17integral_constantIbLb0EES16_EEDaS11_S12_EUlS11_E_NS1_11comp_targetILNS1_3genE5ELNS1_11target_archE942ELNS1_3gpuE9ELNS1_3repE0EEENS1_30default_config_static_selectorELNS0_4arch9wavefront6targetE1EEEvT1_.kd
    .uniform_work_group_size: 1
    .uses_dynamic_stack: false
    .vgpr_count:     0
    .vgpr_spill_count: 0
    .wavefront_size: 64
  - .agpr_count:     0
    .args:
      - .offset:         0
        .size:           120
        .value_kind:     by_value
    .group_segment_fixed_size: 0
    .kernarg_segment_align: 8
    .kernarg_segment_size: 120
    .language:       OpenCL C
    .language_version:
      - 2
      - 0
    .max_flat_workgroup_size: 192
    .name:           _ZN7rocprim17ROCPRIM_400000_NS6detail17trampoline_kernelINS0_14default_configENS1_25partition_config_selectorILNS1_17partition_subalgoE5ElNS0_10empty_typeEbEEZZNS1_14partition_implILS5_5ELb0ES3_mN6hipcub16HIPCUB_304000_NS21CountingInputIteratorIllEEPS6_NSA_22TransformInputIteratorIb7NonZeroIaEPalEENS0_5tupleIJPlS6_EEENSJ_IJSD_SD_EEES6_SK_JS6_EEE10hipError_tPvRmT3_T4_T5_T6_T7_T9_mT8_P12ihipStream_tbDpT10_ENKUlT_T0_E_clISt17integral_constantIbLb0EES16_EEDaS11_S12_EUlS11_E_NS1_11comp_targetILNS1_3genE4ELNS1_11target_archE910ELNS1_3gpuE8ELNS1_3repE0EEENS1_30default_config_static_selectorELNS0_4arch9wavefront6targetE1EEEvT1_
    .private_segment_fixed_size: 0
    .sgpr_count:     6
    .sgpr_spill_count: 0
    .symbol:         _ZN7rocprim17ROCPRIM_400000_NS6detail17trampoline_kernelINS0_14default_configENS1_25partition_config_selectorILNS1_17partition_subalgoE5ElNS0_10empty_typeEbEEZZNS1_14partition_implILS5_5ELb0ES3_mN6hipcub16HIPCUB_304000_NS21CountingInputIteratorIllEEPS6_NSA_22TransformInputIteratorIb7NonZeroIaEPalEENS0_5tupleIJPlS6_EEENSJ_IJSD_SD_EEES6_SK_JS6_EEE10hipError_tPvRmT3_T4_T5_T6_T7_T9_mT8_P12ihipStream_tbDpT10_ENKUlT_T0_E_clISt17integral_constantIbLb0EES16_EEDaS11_S12_EUlS11_E_NS1_11comp_targetILNS1_3genE4ELNS1_11target_archE910ELNS1_3gpuE8ELNS1_3repE0EEENS1_30default_config_static_selectorELNS0_4arch9wavefront6targetE1EEEvT1_.kd
    .uniform_work_group_size: 1
    .uses_dynamic_stack: false
    .vgpr_count:     0
    .vgpr_spill_count: 0
    .wavefront_size: 64
  - .agpr_count:     0
    .args:
      - .offset:         0
        .size:           120
        .value_kind:     by_value
    .group_segment_fixed_size: 0
    .kernarg_segment_align: 8
    .kernarg_segment_size: 120
    .language:       OpenCL C
    .language_version:
      - 2
      - 0
    .max_flat_workgroup_size: 128
    .name:           _ZN7rocprim17ROCPRIM_400000_NS6detail17trampoline_kernelINS0_14default_configENS1_25partition_config_selectorILNS1_17partition_subalgoE5ElNS0_10empty_typeEbEEZZNS1_14partition_implILS5_5ELb0ES3_mN6hipcub16HIPCUB_304000_NS21CountingInputIteratorIllEEPS6_NSA_22TransformInputIteratorIb7NonZeroIaEPalEENS0_5tupleIJPlS6_EEENSJ_IJSD_SD_EEES6_SK_JS6_EEE10hipError_tPvRmT3_T4_T5_T6_T7_T9_mT8_P12ihipStream_tbDpT10_ENKUlT_T0_E_clISt17integral_constantIbLb0EES16_EEDaS11_S12_EUlS11_E_NS1_11comp_targetILNS1_3genE3ELNS1_11target_archE908ELNS1_3gpuE7ELNS1_3repE0EEENS1_30default_config_static_selectorELNS0_4arch9wavefront6targetE1EEEvT1_
    .private_segment_fixed_size: 0
    .sgpr_count:     6
    .sgpr_spill_count: 0
    .symbol:         _ZN7rocprim17ROCPRIM_400000_NS6detail17trampoline_kernelINS0_14default_configENS1_25partition_config_selectorILNS1_17partition_subalgoE5ElNS0_10empty_typeEbEEZZNS1_14partition_implILS5_5ELb0ES3_mN6hipcub16HIPCUB_304000_NS21CountingInputIteratorIllEEPS6_NSA_22TransformInputIteratorIb7NonZeroIaEPalEENS0_5tupleIJPlS6_EEENSJ_IJSD_SD_EEES6_SK_JS6_EEE10hipError_tPvRmT3_T4_T5_T6_T7_T9_mT8_P12ihipStream_tbDpT10_ENKUlT_T0_E_clISt17integral_constantIbLb0EES16_EEDaS11_S12_EUlS11_E_NS1_11comp_targetILNS1_3genE3ELNS1_11target_archE908ELNS1_3gpuE7ELNS1_3repE0EEENS1_30default_config_static_selectorELNS0_4arch9wavefront6targetE1EEEvT1_.kd
    .uniform_work_group_size: 1
    .uses_dynamic_stack: false
    .vgpr_count:     0
    .vgpr_spill_count: 0
    .wavefront_size: 64
  - .agpr_count:     0
    .args:
      - .offset:         0
        .size:           120
        .value_kind:     by_value
    .group_segment_fixed_size: 0
    .kernarg_segment_align: 8
    .kernarg_segment_size: 120
    .language:       OpenCL C
    .language_version:
      - 2
      - 0
    .max_flat_workgroup_size: 256
    .name:           _ZN7rocprim17ROCPRIM_400000_NS6detail17trampoline_kernelINS0_14default_configENS1_25partition_config_selectorILNS1_17partition_subalgoE5ElNS0_10empty_typeEbEEZZNS1_14partition_implILS5_5ELb0ES3_mN6hipcub16HIPCUB_304000_NS21CountingInputIteratorIllEEPS6_NSA_22TransformInputIteratorIb7NonZeroIaEPalEENS0_5tupleIJPlS6_EEENSJ_IJSD_SD_EEES6_SK_JS6_EEE10hipError_tPvRmT3_T4_T5_T6_T7_T9_mT8_P12ihipStream_tbDpT10_ENKUlT_T0_E_clISt17integral_constantIbLb0EES16_EEDaS11_S12_EUlS11_E_NS1_11comp_targetILNS1_3genE2ELNS1_11target_archE906ELNS1_3gpuE6ELNS1_3repE0EEENS1_30default_config_static_selectorELNS0_4arch9wavefront6targetE1EEEvT1_
    .private_segment_fixed_size: 0
    .sgpr_count:     6
    .sgpr_spill_count: 0
    .symbol:         _ZN7rocprim17ROCPRIM_400000_NS6detail17trampoline_kernelINS0_14default_configENS1_25partition_config_selectorILNS1_17partition_subalgoE5ElNS0_10empty_typeEbEEZZNS1_14partition_implILS5_5ELb0ES3_mN6hipcub16HIPCUB_304000_NS21CountingInputIteratorIllEEPS6_NSA_22TransformInputIteratorIb7NonZeroIaEPalEENS0_5tupleIJPlS6_EEENSJ_IJSD_SD_EEES6_SK_JS6_EEE10hipError_tPvRmT3_T4_T5_T6_T7_T9_mT8_P12ihipStream_tbDpT10_ENKUlT_T0_E_clISt17integral_constantIbLb0EES16_EEDaS11_S12_EUlS11_E_NS1_11comp_targetILNS1_3genE2ELNS1_11target_archE906ELNS1_3gpuE6ELNS1_3repE0EEENS1_30default_config_static_selectorELNS0_4arch9wavefront6targetE1EEEvT1_.kd
    .uniform_work_group_size: 1
    .uses_dynamic_stack: false
    .vgpr_count:     0
    .vgpr_spill_count: 0
    .wavefront_size: 64
  - .agpr_count:     0
    .args:
      - .offset:         0
        .size:           120
        .value_kind:     by_value
    .group_segment_fixed_size: 0
    .kernarg_segment_align: 8
    .kernarg_segment_size: 120
    .language:       OpenCL C
    .language_version:
      - 2
      - 0
    .max_flat_workgroup_size: 256
    .name:           _ZN7rocprim17ROCPRIM_400000_NS6detail17trampoline_kernelINS0_14default_configENS1_25partition_config_selectorILNS1_17partition_subalgoE5ElNS0_10empty_typeEbEEZZNS1_14partition_implILS5_5ELb0ES3_mN6hipcub16HIPCUB_304000_NS21CountingInputIteratorIllEEPS6_NSA_22TransformInputIteratorIb7NonZeroIaEPalEENS0_5tupleIJPlS6_EEENSJ_IJSD_SD_EEES6_SK_JS6_EEE10hipError_tPvRmT3_T4_T5_T6_T7_T9_mT8_P12ihipStream_tbDpT10_ENKUlT_T0_E_clISt17integral_constantIbLb0EES16_EEDaS11_S12_EUlS11_E_NS1_11comp_targetILNS1_3genE10ELNS1_11target_archE1200ELNS1_3gpuE4ELNS1_3repE0EEENS1_30default_config_static_selectorELNS0_4arch9wavefront6targetE1EEEvT1_
    .private_segment_fixed_size: 0
    .sgpr_count:     6
    .sgpr_spill_count: 0
    .symbol:         _ZN7rocprim17ROCPRIM_400000_NS6detail17trampoline_kernelINS0_14default_configENS1_25partition_config_selectorILNS1_17partition_subalgoE5ElNS0_10empty_typeEbEEZZNS1_14partition_implILS5_5ELb0ES3_mN6hipcub16HIPCUB_304000_NS21CountingInputIteratorIllEEPS6_NSA_22TransformInputIteratorIb7NonZeroIaEPalEENS0_5tupleIJPlS6_EEENSJ_IJSD_SD_EEES6_SK_JS6_EEE10hipError_tPvRmT3_T4_T5_T6_T7_T9_mT8_P12ihipStream_tbDpT10_ENKUlT_T0_E_clISt17integral_constantIbLb0EES16_EEDaS11_S12_EUlS11_E_NS1_11comp_targetILNS1_3genE10ELNS1_11target_archE1200ELNS1_3gpuE4ELNS1_3repE0EEENS1_30default_config_static_selectorELNS0_4arch9wavefront6targetE1EEEvT1_.kd
    .uniform_work_group_size: 1
    .uses_dynamic_stack: false
    .vgpr_count:     0
    .vgpr_spill_count: 0
    .wavefront_size: 64
  - .agpr_count:     0
    .args:
      - .offset:         0
        .size:           120
        .value_kind:     by_value
    .group_segment_fixed_size: 0
    .kernarg_segment_align: 8
    .kernarg_segment_size: 120
    .language:       OpenCL C
    .language_version:
      - 2
      - 0
    .max_flat_workgroup_size: 128
    .name:           _ZN7rocprim17ROCPRIM_400000_NS6detail17trampoline_kernelINS0_14default_configENS1_25partition_config_selectorILNS1_17partition_subalgoE5ElNS0_10empty_typeEbEEZZNS1_14partition_implILS5_5ELb0ES3_mN6hipcub16HIPCUB_304000_NS21CountingInputIteratorIllEEPS6_NSA_22TransformInputIteratorIb7NonZeroIaEPalEENS0_5tupleIJPlS6_EEENSJ_IJSD_SD_EEES6_SK_JS6_EEE10hipError_tPvRmT3_T4_T5_T6_T7_T9_mT8_P12ihipStream_tbDpT10_ENKUlT_T0_E_clISt17integral_constantIbLb0EES16_EEDaS11_S12_EUlS11_E_NS1_11comp_targetILNS1_3genE9ELNS1_11target_archE1100ELNS1_3gpuE3ELNS1_3repE0EEENS1_30default_config_static_selectorELNS0_4arch9wavefront6targetE1EEEvT1_
    .private_segment_fixed_size: 0
    .sgpr_count:     6
    .sgpr_spill_count: 0
    .symbol:         _ZN7rocprim17ROCPRIM_400000_NS6detail17trampoline_kernelINS0_14default_configENS1_25partition_config_selectorILNS1_17partition_subalgoE5ElNS0_10empty_typeEbEEZZNS1_14partition_implILS5_5ELb0ES3_mN6hipcub16HIPCUB_304000_NS21CountingInputIteratorIllEEPS6_NSA_22TransformInputIteratorIb7NonZeroIaEPalEENS0_5tupleIJPlS6_EEENSJ_IJSD_SD_EEES6_SK_JS6_EEE10hipError_tPvRmT3_T4_T5_T6_T7_T9_mT8_P12ihipStream_tbDpT10_ENKUlT_T0_E_clISt17integral_constantIbLb0EES16_EEDaS11_S12_EUlS11_E_NS1_11comp_targetILNS1_3genE9ELNS1_11target_archE1100ELNS1_3gpuE3ELNS1_3repE0EEENS1_30default_config_static_selectorELNS0_4arch9wavefront6targetE1EEEvT1_.kd
    .uniform_work_group_size: 1
    .uses_dynamic_stack: false
    .vgpr_count:     0
    .vgpr_spill_count: 0
    .wavefront_size: 64
  - .agpr_count:     0
    .args:
      - .offset:         0
        .size:           120
        .value_kind:     by_value
    .group_segment_fixed_size: 0
    .kernarg_segment_align: 8
    .kernarg_segment_size: 120
    .language:       OpenCL C
    .language_version:
      - 2
      - 0
    .max_flat_workgroup_size: 512
    .name:           _ZN7rocprim17ROCPRIM_400000_NS6detail17trampoline_kernelINS0_14default_configENS1_25partition_config_selectorILNS1_17partition_subalgoE5ElNS0_10empty_typeEbEEZZNS1_14partition_implILS5_5ELb0ES3_mN6hipcub16HIPCUB_304000_NS21CountingInputIteratorIllEEPS6_NSA_22TransformInputIteratorIb7NonZeroIaEPalEENS0_5tupleIJPlS6_EEENSJ_IJSD_SD_EEES6_SK_JS6_EEE10hipError_tPvRmT3_T4_T5_T6_T7_T9_mT8_P12ihipStream_tbDpT10_ENKUlT_T0_E_clISt17integral_constantIbLb0EES16_EEDaS11_S12_EUlS11_E_NS1_11comp_targetILNS1_3genE8ELNS1_11target_archE1030ELNS1_3gpuE2ELNS1_3repE0EEENS1_30default_config_static_selectorELNS0_4arch9wavefront6targetE1EEEvT1_
    .private_segment_fixed_size: 0
    .sgpr_count:     6
    .sgpr_spill_count: 0
    .symbol:         _ZN7rocprim17ROCPRIM_400000_NS6detail17trampoline_kernelINS0_14default_configENS1_25partition_config_selectorILNS1_17partition_subalgoE5ElNS0_10empty_typeEbEEZZNS1_14partition_implILS5_5ELb0ES3_mN6hipcub16HIPCUB_304000_NS21CountingInputIteratorIllEEPS6_NSA_22TransformInputIteratorIb7NonZeroIaEPalEENS0_5tupleIJPlS6_EEENSJ_IJSD_SD_EEES6_SK_JS6_EEE10hipError_tPvRmT3_T4_T5_T6_T7_T9_mT8_P12ihipStream_tbDpT10_ENKUlT_T0_E_clISt17integral_constantIbLb0EES16_EEDaS11_S12_EUlS11_E_NS1_11comp_targetILNS1_3genE8ELNS1_11target_archE1030ELNS1_3gpuE2ELNS1_3repE0EEENS1_30default_config_static_selectorELNS0_4arch9wavefront6targetE1EEEvT1_.kd
    .uniform_work_group_size: 1
    .uses_dynamic_stack: false
    .vgpr_count:     0
    .vgpr_spill_count: 0
    .wavefront_size: 64
  - .agpr_count:     0
    .args:
      - .offset:         0
        .size:           40
        .value_kind:     by_value
      - .offset:         40
        .size:           4
        .value_kind:     hidden_block_count_x
      - .offset:         44
        .size:           4
        .value_kind:     hidden_block_count_y
      - .offset:         48
        .size:           4
        .value_kind:     hidden_block_count_z
      - .offset:         52
        .size:           2
        .value_kind:     hidden_group_size_x
      - .offset:         54
        .size:           2
        .value_kind:     hidden_group_size_y
      - .offset:         56
        .size:           2
        .value_kind:     hidden_group_size_z
      - .offset:         58
        .size:           2
        .value_kind:     hidden_remainder_x
      - .offset:         60
        .size:           2
        .value_kind:     hidden_remainder_y
      - .offset:         62
        .size:           2
        .value_kind:     hidden_remainder_z
      - .offset:         80
        .size:           8
        .value_kind:     hidden_global_offset_x
      - .offset:         88
        .size:           8
        .value_kind:     hidden_global_offset_y
      - .offset:         96
        .size:           8
        .value_kind:     hidden_global_offset_z
      - .offset:         104
        .size:           2
        .value_kind:     hidden_grid_dims
    .group_segment_fixed_size: 0
    .kernarg_segment_align: 8
    .kernarg_segment_size: 296
    .language:       OpenCL C
    .language_version:
      - 2
      - 0
    .max_flat_workgroup_size: 128
    .name:           _ZN7rocprim17ROCPRIM_400000_NS6detail17trampoline_kernelINS0_14default_configENS1_25transform_config_selectorImLb1EEEZNS1_14transform_implILb1ES3_S5_PmPlNS0_8identityIvEEEE10hipError_tT2_T3_mT4_P12ihipStream_tbEUlT_E_NS1_11comp_targetILNS1_3genE0ELNS1_11target_archE4294967295ELNS1_3gpuE0ELNS1_3repE0EEENS1_30default_config_static_selectorELNS0_4arch9wavefront6targetE1EEEvT1_
    .private_segment_fixed_size: 0
    .sgpr_count:     18
    .sgpr_spill_count: 0
    .symbol:         _ZN7rocprim17ROCPRIM_400000_NS6detail17trampoline_kernelINS0_14default_configENS1_25transform_config_selectorImLb1EEEZNS1_14transform_implILb1ES3_S5_PmPlNS0_8identityIvEEEE10hipError_tT2_T3_mT4_P12ihipStream_tbEUlT_E_NS1_11comp_targetILNS1_3genE0ELNS1_11target_archE4294967295ELNS1_3gpuE0ELNS1_3repE0EEENS1_30default_config_static_selectorELNS0_4arch9wavefront6targetE1EEEvT1_.kd
    .uniform_work_group_size: 1
    .uses_dynamic_stack: false
    .vgpr_count:     3
    .vgpr_spill_count: 0
    .wavefront_size: 64
  - .agpr_count:     0
    .args:
      - .offset:         0
        .size:           40
        .value_kind:     by_value
    .group_segment_fixed_size: 0
    .kernarg_segment_align: 8
    .kernarg_segment_size: 40
    .language:       OpenCL C
    .language_version:
      - 2
      - 0
    .max_flat_workgroup_size: 1024
    .name:           _ZN7rocprim17ROCPRIM_400000_NS6detail17trampoline_kernelINS0_14default_configENS1_25transform_config_selectorImLb1EEEZNS1_14transform_implILb1ES3_S5_PmPlNS0_8identityIvEEEE10hipError_tT2_T3_mT4_P12ihipStream_tbEUlT_E_NS1_11comp_targetILNS1_3genE10ELNS1_11target_archE1201ELNS1_3gpuE5ELNS1_3repE0EEENS1_30default_config_static_selectorELNS0_4arch9wavefront6targetE1EEEvT1_
    .private_segment_fixed_size: 0
    .sgpr_count:     6
    .sgpr_spill_count: 0
    .symbol:         _ZN7rocprim17ROCPRIM_400000_NS6detail17trampoline_kernelINS0_14default_configENS1_25transform_config_selectorImLb1EEEZNS1_14transform_implILb1ES3_S5_PmPlNS0_8identityIvEEEE10hipError_tT2_T3_mT4_P12ihipStream_tbEUlT_E_NS1_11comp_targetILNS1_3genE10ELNS1_11target_archE1201ELNS1_3gpuE5ELNS1_3repE0EEENS1_30default_config_static_selectorELNS0_4arch9wavefront6targetE1EEEvT1_.kd
    .uniform_work_group_size: 1
    .uses_dynamic_stack: false
    .vgpr_count:     0
    .vgpr_spill_count: 0
    .wavefront_size: 64
  - .agpr_count:     0
    .args:
      - .offset:         0
        .size:           40
        .value_kind:     by_value
    .group_segment_fixed_size: 0
    .kernarg_segment_align: 8
    .kernarg_segment_size: 40
    .language:       OpenCL C
    .language_version:
      - 2
      - 0
    .max_flat_workgroup_size: 512
    .name:           _ZN7rocprim17ROCPRIM_400000_NS6detail17trampoline_kernelINS0_14default_configENS1_25transform_config_selectorImLb1EEEZNS1_14transform_implILb1ES3_S5_PmPlNS0_8identityIvEEEE10hipError_tT2_T3_mT4_P12ihipStream_tbEUlT_E_NS1_11comp_targetILNS1_3genE5ELNS1_11target_archE942ELNS1_3gpuE9ELNS1_3repE0EEENS1_30default_config_static_selectorELNS0_4arch9wavefront6targetE1EEEvT1_
    .private_segment_fixed_size: 0
    .sgpr_count:     6
    .sgpr_spill_count: 0
    .symbol:         _ZN7rocprim17ROCPRIM_400000_NS6detail17trampoline_kernelINS0_14default_configENS1_25transform_config_selectorImLb1EEEZNS1_14transform_implILb1ES3_S5_PmPlNS0_8identityIvEEEE10hipError_tT2_T3_mT4_P12ihipStream_tbEUlT_E_NS1_11comp_targetILNS1_3genE5ELNS1_11target_archE942ELNS1_3gpuE9ELNS1_3repE0EEENS1_30default_config_static_selectorELNS0_4arch9wavefront6targetE1EEEvT1_.kd
    .uniform_work_group_size: 1
    .uses_dynamic_stack: false
    .vgpr_count:     0
    .vgpr_spill_count: 0
    .wavefront_size: 64
  - .agpr_count:     0
    .args:
      - .offset:         0
        .size:           40
        .value_kind:     by_value
    .group_segment_fixed_size: 0
    .kernarg_segment_align: 8
    .kernarg_segment_size: 40
    .language:       OpenCL C
    .language_version:
      - 2
      - 0
    .max_flat_workgroup_size: 1024
    .name:           _ZN7rocprim17ROCPRIM_400000_NS6detail17trampoline_kernelINS0_14default_configENS1_25transform_config_selectorImLb1EEEZNS1_14transform_implILb1ES3_S5_PmPlNS0_8identityIvEEEE10hipError_tT2_T3_mT4_P12ihipStream_tbEUlT_E_NS1_11comp_targetILNS1_3genE4ELNS1_11target_archE910ELNS1_3gpuE8ELNS1_3repE0EEENS1_30default_config_static_selectorELNS0_4arch9wavefront6targetE1EEEvT1_
    .private_segment_fixed_size: 0
    .sgpr_count:     6
    .sgpr_spill_count: 0
    .symbol:         _ZN7rocprim17ROCPRIM_400000_NS6detail17trampoline_kernelINS0_14default_configENS1_25transform_config_selectorImLb1EEEZNS1_14transform_implILb1ES3_S5_PmPlNS0_8identityIvEEEE10hipError_tT2_T3_mT4_P12ihipStream_tbEUlT_E_NS1_11comp_targetILNS1_3genE4ELNS1_11target_archE910ELNS1_3gpuE8ELNS1_3repE0EEENS1_30default_config_static_selectorELNS0_4arch9wavefront6targetE1EEEvT1_.kd
    .uniform_work_group_size: 1
    .uses_dynamic_stack: false
    .vgpr_count:     0
    .vgpr_spill_count: 0
    .wavefront_size: 64
  - .agpr_count:     0
    .args:
      - .offset:         0
        .size:           40
        .value_kind:     by_value
    .group_segment_fixed_size: 0
    .kernarg_segment_align: 8
    .kernarg_segment_size: 40
    .language:       OpenCL C
    .language_version:
      - 2
      - 0
    .max_flat_workgroup_size: 128
    .name:           _ZN7rocprim17ROCPRIM_400000_NS6detail17trampoline_kernelINS0_14default_configENS1_25transform_config_selectorImLb1EEEZNS1_14transform_implILb1ES3_S5_PmPlNS0_8identityIvEEEE10hipError_tT2_T3_mT4_P12ihipStream_tbEUlT_E_NS1_11comp_targetILNS1_3genE3ELNS1_11target_archE908ELNS1_3gpuE7ELNS1_3repE0EEENS1_30default_config_static_selectorELNS0_4arch9wavefront6targetE1EEEvT1_
    .private_segment_fixed_size: 0
    .sgpr_count:     6
    .sgpr_spill_count: 0
    .symbol:         _ZN7rocprim17ROCPRIM_400000_NS6detail17trampoline_kernelINS0_14default_configENS1_25transform_config_selectorImLb1EEEZNS1_14transform_implILb1ES3_S5_PmPlNS0_8identityIvEEEE10hipError_tT2_T3_mT4_P12ihipStream_tbEUlT_E_NS1_11comp_targetILNS1_3genE3ELNS1_11target_archE908ELNS1_3gpuE7ELNS1_3repE0EEENS1_30default_config_static_selectorELNS0_4arch9wavefront6targetE1EEEvT1_.kd
    .uniform_work_group_size: 1
    .uses_dynamic_stack: false
    .vgpr_count:     0
    .vgpr_spill_count: 0
    .wavefront_size: 64
  - .agpr_count:     0
    .args:
      - .offset:         0
        .size:           40
        .value_kind:     by_value
    .group_segment_fixed_size: 0
    .kernarg_segment_align: 8
    .kernarg_segment_size: 40
    .language:       OpenCL C
    .language_version:
      - 2
      - 0
    .max_flat_workgroup_size: 512
    .name:           _ZN7rocprim17ROCPRIM_400000_NS6detail17trampoline_kernelINS0_14default_configENS1_25transform_config_selectorImLb1EEEZNS1_14transform_implILb1ES3_S5_PmPlNS0_8identityIvEEEE10hipError_tT2_T3_mT4_P12ihipStream_tbEUlT_E_NS1_11comp_targetILNS1_3genE2ELNS1_11target_archE906ELNS1_3gpuE6ELNS1_3repE0EEENS1_30default_config_static_selectorELNS0_4arch9wavefront6targetE1EEEvT1_
    .private_segment_fixed_size: 0
    .sgpr_count:     6
    .sgpr_spill_count: 0
    .symbol:         _ZN7rocprim17ROCPRIM_400000_NS6detail17trampoline_kernelINS0_14default_configENS1_25transform_config_selectorImLb1EEEZNS1_14transform_implILb1ES3_S5_PmPlNS0_8identityIvEEEE10hipError_tT2_T3_mT4_P12ihipStream_tbEUlT_E_NS1_11comp_targetILNS1_3genE2ELNS1_11target_archE906ELNS1_3gpuE6ELNS1_3repE0EEENS1_30default_config_static_selectorELNS0_4arch9wavefront6targetE1EEEvT1_.kd
    .uniform_work_group_size: 1
    .uses_dynamic_stack: false
    .vgpr_count:     0
    .vgpr_spill_count: 0
    .wavefront_size: 64
  - .agpr_count:     0
    .args:
      - .offset:         0
        .size:           40
        .value_kind:     by_value
    .group_segment_fixed_size: 0
    .kernarg_segment_align: 8
    .kernarg_segment_size: 40
    .language:       OpenCL C
    .language_version:
      - 2
      - 0
    .max_flat_workgroup_size: 1024
    .name:           _ZN7rocprim17ROCPRIM_400000_NS6detail17trampoline_kernelINS0_14default_configENS1_25transform_config_selectorImLb1EEEZNS1_14transform_implILb1ES3_S5_PmPlNS0_8identityIvEEEE10hipError_tT2_T3_mT4_P12ihipStream_tbEUlT_E_NS1_11comp_targetILNS1_3genE9ELNS1_11target_archE1100ELNS1_3gpuE3ELNS1_3repE0EEENS1_30default_config_static_selectorELNS0_4arch9wavefront6targetE1EEEvT1_
    .private_segment_fixed_size: 0
    .sgpr_count:     6
    .sgpr_spill_count: 0
    .symbol:         _ZN7rocprim17ROCPRIM_400000_NS6detail17trampoline_kernelINS0_14default_configENS1_25transform_config_selectorImLb1EEEZNS1_14transform_implILb1ES3_S5_PmPlNS0_8identityIvEEEE10hipError_tT2_T3_mT4_P12ihipStream_tbEUlT_E_NS1_11comp_targetILNS1_3genE9ELNS1_11target_archE1100ELNS1_3gpuE3ELNS1_3repE0EEENS1_30default_config_static_selectorELNS0_4arch9wavefront6targetE1EEEvT1_.kd
    .uniform_work_group_size: 1
    .uses_dynamic_stack: false
    .vgpr_count:     0
    .vgpr_spill_count: 0
    .wavefront_size: 64
  - .agpr_count:     0
    .args:
      - .offset:         0
        .size:           40
        .value_kind:     by_value
    .group_segment_fixed_size: 0
    .kernarg_segment_align: 8
    .kernarg_segment_size: 40
    .language:       OpenCL C
    .language_version:
      - 2
      - 0
    .max_flat_workgroup_size: 1024
    .name:           _ZN7rocprim17ROCPRIM_400000_NS6detail17trampoline_kernelINS0_14default_configENS1_25transform_config_selectorImLb1EEEZNS1_14transform_implILb1ES3_S5_PmPlNS0_8identityIvEEEE10hipError_tT2_T3_mT4_P12ihipStream_tbEUlT_E_NS1_11comp_targetILNS1_3genE8ELNS1_11target_archE1030ELNS1_3gpuE2ELNS1_3repE0EEENS1_30default_config_static_selectorELNS0_4arch9wavefront6targetE1EEEvT1_
    .private_segment_fixed_size: 0
    .sgpr_count:     6
    .sgpr_spill_count: 0
    .symbol:         _ZN7rocprim17ROCPRIM_400000_NS6detail17trampoline_kernelINS0_14default_configENS1_25transform_config_selectorImLb1EEEZNS1_14transform_implILb1ES3_S5_PmPlNS0_8identityIvEEEE10hipError_tT2_T3_mT4_P12ihipStream_tbEUlT_E_NS1_11comp_targetILNS1_3genE8ELNS1_11target_archE1030ELNS1_3gpuE2ELNS1_3repE0EEENS1_30default_config_static_selectorELNS0_4arch9wavefront6targetE1EEEvT1_.kd
    .uniform_work_group_size: 1
    .uses_dynamic_stack: false
    .vgpr_count:     0
    .vgpr_spill_count: 0
    .wavefront_size: 64
  - .agpr_count:     0
    .args:
      - .address_space:  global
        .offset:         0
        .size:           8
        .value_kind:     global_buffer
      - .offset:         8
        .size:           4
        .value_kind:     by_value
      - .address_space:  global
        .offset:         16
        .size:           8
        .value_kind:     global_buffer
      - .offset:         24
        .size:           4
        .value_kind:     by_value
      - .address_space:  global
        .offset:         32
        .size:           8
        .value_kind:     global_buffer
      - .offset:         40
        .size:           4
        .value_kind:     hidden_block_count_x
      - .offset:         44
        .size:           4
        .value_kind:     hidden_block_count_y
      - .offset:         48
        .size:           4
        .value_kind:     hidden_block_count_z
      - .offset:         52
        .size:           2
        .value_kind:     hidden_group_size_x
      - .offset:         54
        .size:           2
        .value_kind:     hidden_group_size_y
      - .offset:         56
        .size:           2
        .value_kind:     hidden_group_size_z
      - .offset:         58
        .size:           2
        .value_kind:     hidden_remainder_x
      - .offset:         60
        .size:           2
        .value_kind:     hidden_remainder_y
      - .offset:         62
        .size:           2
        .value_kind:     hidden_remainder_z
      - .offset:         80
        .size:           8
        .value_kind:     hidden_global_offset_x
      - .offset:         88
        .size:           8
        .value_kind:     hidden_global_offset_y
      - .offset:         96
        .size:           8
        .value_kind:     hidden_global_offset_z
      - .offset:         104
        .size:           2
        .value_kind:     hidden_grid_dims
    .group_segment_fixed_size: 0
    .kernarg_segment_align: 8
    .kernarg_segment_size: 296
    .language:       OpenCL C
    .language_version:
      - 2
      - 0
    .max_flat_workgroup_size: 256
    .name:           _ZN7rocprim17ROCPRIM_400000_NS6detail31init_lookback_scan_state_kernelINS1_19lookback_scan_stateImLb1ELb1EEENS1_16block_id_wrapperIjLb1EEEEEvT_jT0_jPNS7_10value_typeE
    .private_segment_fixed_size: 0
    .sgpr_count:     22
    .sgpr_spill_count: 0
    .symbol:         _ZN7rocprim17ROCPRIM_400000_NS6detail31init_lookback_scan_state_kernelINS1_19lookback_scan_stateImLb1ELb1EEENS1_16block_id_wrapperIjLb1EEEEEvT_jT0_jPNS7_10value_typeE.kd
    .uniform_work_group_size: 1
    .uses_dynamic_stack: false
    .vgpr_count:     10
    .vgpr_spill_count: 0
    .wavefront_size: 64
  - .agpr_count:     0
    .args:
      - .offset:         0
        .size:           136
        .value_kind:     by_value
    .group_segment_fixed_size: 0
    .kernarg_segment_align: 8
    .kernarg_segment_size: 136
    .language:       OpenCL C
    .language_version:
      - 2
      - 0
    .max_flat_workgroup_size: 128
    .name:           _ZN7rocprim17ROCPRIM_400000_NS6detail17trampoline_kernelINS0_14default_configENS1_25partition_config_selectorILNS1_17partition_subalgoE5ElNS0_10empty_typeEbEEZZNS1_14partition_implILS5_5ELb0ES3_mN6hipcub16HIPCUB_304000_NS21CountingInputIteratorIllEEPS6_NSA_22TransformInputIteratorIb7NonZeroIaEPalEENS0_5tupleIJPlS6_EEENSJ_IJSD_SD_EEES6_SK_JS6_EEE10hipError_tPvRmT3_T4_T5_T6_T7_T9_mT8_P12ihipStream_tbDpT10_ENKUlT_T0_E_clISt17integral_constantIbLb1EES16_EEDaS11_S12_EUlS11_E_NS1_11comp_targetILNS1_3genE0ELNS1_11target_archE4294967295ELNS1_3gpuE0ELNS1_3repE0EEENS1_30default_config_static_selectorELNS0_4arch9wavefront6targetE1EEEvT1_
    .private_segment_fixed_size: 0
    .sgpr_count:     6
    .sgpr_spill_count: 0
    .symbol:         _ZN7rocprim17ROCPRIM_400000_NS6detail17trampoline_kernelINS0_14default_configENS1_25partition_config_selectorILNS1_17partition_subalgoE5ElNS0_10empty_typeEbEEZZNS1_14partition_implILS5_5ELb0ES3_mN6hipcub16HIPCUB_304000_NS21CountingInputIteratorIllEEPS6_NSA_22TransformInputIteratorIb7NonZeroIaEPalEENS0_5tupleIJPlS6_EEENSJ_IJSD_SD_EEES6_SK_JS6_EEE10hipError_tPvRmT3_T4_T5_T6_T7_T9_mT8_P12ihipStream_tbDpT10_ENKUlT_T0_E_clISt17integral_constantIbLb1EES16_EEDaS11_S12_EUlS11_E_NS1_11comp_targetILNS1_3genE0ELNS1_11target_archE4294967295ELNS1_3gpuE0ELNS1_3repE0EEENS1_30default_config_static_selectorELNS0_4arch9wavefront6targetE1EEEvT1_.kd
    .uniform_work_group_size: 1
    .uses_dynamic_stack: false
    .vgpr_count:     0
    .vgpr_spill_count: 0
    .wavefront_size: 64
  - .agpr_count:     0
    .args:
      - .offset:         0
        .size:           136
        .value_kind:     by_value
    .group_segment_fixed_size: 0
    .kernarg_segment_align: 8
    .kernarg_segment_size: 136
    .language:       OpenCL C
    .language_version:
      - 2
      - 0
    .max_flat_workgroup_size: 512
    .name:           _ZN7rocprim17ROCPRIM_400000_NS6detail17trampoline_kernelINS0_14default_configENS1_25partition_config_selectorILNS1_17partition_subalgoE5ElNS0_10empty_typeEbEEZZNS1_14partition_implILS5_5ELb0ES3_mN6hipcub16HIPCUB_304000_NS21CountingInputIteratorIllEEPS6_NSA_22TransformInputIteratorIb7NonZeroIaEPalEENS0_5tupleIJPlS6_EEENSJ_IJSD_SD_EEES6_SK_JS6_EEE10hipError_tPvRmT3_T4_T5_T6_T7_T9_mT8_P12ihipStream_tbDpT10_ENKUlT_T0_E_clISt17integral_constantIbLb1EES16_EEDaS11_S12_EUlS11_E_NS1_11comp_targetILNS1_3genE5ELNS1_11target_archE942ELNS1_3gpuE9ELNS1_3repE0EEENS1_30default_config_static_selectorELNS0_4arch9wavefront6targetE1EEEvT1_
    .private_segment_fixed_size: 0
    .sgpr_count:     6
    .sgpr_spill_count: 0
    .symbol:         _ZN7rocprim17ROCPRIM_400000_NS6detail17trampoline_kernelINS0_14default_configENS1_25partition_config_selectorILNS1_17partition_subalgoE5ElNS0_10empty_typeEbEEZZNS1_14partition_implILS5_5ELb0ES3_mN6hipcub16HIPCUB_304000_NS21CountingInputIteratorIllEEPS6_NSA_22TransformInputIteratorIb7NonZeroIaEPalEENS0_5tupleIJPlS6_EEENSJ_IJSD_SD_EEES6_SK_JS6_EEE10hipError_tPvRmT3_T4_T5_T6_T7_T9_mT8_P12ihipStream_tbDpT10_ENKUlT_T0_E_clISt17integral_constantIbLb1EES16_EEDaS11_S12_EUlS11_E_NS1_11comp_targetILNS1_3genE5ELNS1_11target_archE942ELNS1_3gpuE9ELNS1_3repE0EEENS1_30default_config_static_selectorELNS0_4arch9wavefront6targetE1EEEvT1_.kd
    .uniform_work_group_size: 1
    .uses_dynamic_stack: false
    .vgpr_count:     0
    .vgpr_spill_count: 0
    .wavefront_size: 64
  - .agpr_count:     0
    .args:
      - .offset:         0
        .size:           136
        .value_kind:     by_value
    .group_segment_fixed_size: 0
    .kernarg_segment_align: 8
    .kernarg_segment_size: 136
    .language:       OpenCL C
    .language_version:
      - 2
      - 0
    .max_flat_workgroup_size: 192
    .name:           _ZN7rocprim17ROCPRIM_400000_NS6detail17trampoline_kernelINS0_14default_configENS1_25partition_config_selectorILNS1_17partition_subalgoE5ElNS0_10empty_typeEbEEZZNS1_14partition_implILS5_5ELb0ES3_mN6hipcub16HIPCUB_304000_NS21CountingInputIteratorIllEEPS6_NSA_22TransformInputIteratorIb7NonZeroIaEPalEENS0_5tupleIJPlS6_EEENSJ_IJSD_SD_EEES6_SK_JS6_EEE10hipError_tPvRmT3_T4_T5_T6_T7_T9_mT8_P12ihipStream_tbDpT10_ENKUlT_T0_E_clISt17integral_constantIbLb1EES16_EEDaS11_S12_EUlS11_E_NS1_11comp_targetILNS1_3genE4ELNS1_11target_archE910ELNS1_3gpuE8ELNS1_3repE0EEENS1_30default_config_static_selectorELNS0_4arch9wavefront6targetE1EEEvT1_
    .private_segment_fixed_size: 0
    .sgpr_count:     6
    .sgpr_spill_count: 0
    .symbol:         _ZN7rocprim17ROCPRIM_400000_NS6detail17trampoline_kernelINS0_14default_configENS1_25partition_config_selectorILNS1_17partition_subalgoE5ElNS0_10empty_typeEbEEZZNS1_14partition_implILS5_5ELb0ES3_mN6hipcub16HIPCUB_304000_NS21CountingInputIteratorIllEEPS6_NSA_22TransformInputIteratorIb7NonZeroIaEPalEENS0_5tupleIJPlS6_EEENSJ_IJSD_SD_EEES6_SK_JS6_EEE10hipError_tPvRmT3_T4_T5_T6_T7_T9_mT8_P12ihipStream_tbDpT10_ENKUlT_T0_E_clISt17integral_constantIbLb1EES16_EEDaS11_S12_EUlS11_E_NS1_11comp_targetILNS1_3genE4ELNS1_11target_archE910ELNS1_3gpuE8ELNS1_3repE0EEENS1_30default_config_static_selectorELNS0_4arch9wavefront6targetE1EEEvT1_.kd
    .uniform_work_group_size: 1
    .uses_dynamic_stack: false
    .vgpr_count:     0
    .vgpr_spill_count: 0
    .wavefront_size: 64
  - .agpr_count:     0
    .args:
      - .offset:         0
        .size:           136
        .value_kind:     by_value
    .group_segment_fixed_size: 0
    .kernarg_segment_align: 8
    .kernarg_segment_size: 136
    .language:       OpenCL C
    .language_version:
      - 2
      - 0
    .max_flat_workgroup_size: 128
    .name:           _ZN7rocprim17ROCPRIM_400000_NS6detail17trampoline_kernelINS0_14default_configENS1_25partition_config_selectorILNS1_17partition_subalgoE5ElNS0_10empty_typeEbEEZZNS1_14partition_implILS5_5ELb0ES3_mN6hipcub16HIPCUB_304000_NS21CountingInputIteratorIllEEPS6_NSA_22TransformInputIteratorIb7NonZeroIaEPalEENS0_5tupleIJPlS6_EEENSJ_IJSD_SD_EEES6_SK_JS6_EEE10hipError_tPvRmT3_T4_T5_T6_T7_T9_mT8_P12ihipStream_tbDpT10_ENKUlT_T0_E_clISt17integral_constantIbLb1EES16_EEDaS11_S12_EUlS11_E_NS1_11comp_targetILNS1_3genE3ELNS1_11target_archE908ELNS1_3gpuE7ELNS1_3repE0EEENS1_30default_config_static_selectorELNS0_4arch9wavefront6targetE1EEEvT1_
    .private_segment_fixed_size: 0
    .sgpr_count:     6
    .sgpr_spill_count: 0
    .symbol:         _ZN7rocprim17ROCPRIM_400000_NS6detail17trampoline_kernelINS0_14default_configENS1_25partition_config_selectorILNS1_17partition_subalgoE5ElNS0_10empty_typeEbEEZZNS1_14partition_implILS5_5ELb0ES3_mN6hipcub16HIPCUB_304000_NS21CountingInputIteratorIllEEPS6_NSA_22TransformInputIteratorIb7NonZeroIaEPalEENS0_5tupleIJPlS6_EEENSJ_IJSD_SD_EEES6_SK_JS6_EEE10hipError_tPvRmT3_T4_T5_T6_T7_T9_mT8_P12ihipStream_tbDpT10_ENKUlT_T0_E_clISt17integral_constantIbLb1EES16_EEDaS11_S12_EUlS11_E_NS1_11comp_targetILNS1_3genE3ELNS1_11target_archE908ELNS1_3gpuE7ELNS1_3repE0EEENS1_30default_config_static_selectorELNS0_4arch9wavefront6targetE1EEEvT1_.kd
    .uniform_work_group_size: 1
    .uses_dynamic_stack: false
    .vgpr_count:     0
    .vgpr_spill_count: 0
    .wavefront_size: 64
  - .agpr_count:     0
    .args:
      - .offset:         0
        .size:           136
        .value_kind:     by_value
    .group_segment_fixed_size: 0
    .kernarg_segment_align: 8
    .kernarg_segment_size: 136
    .language:       OpenCL C
    .language_version:
      - 2
      - 0
    .max_flat_workgroup_size: 256
    .name:           _ZN7rocprim17ROCPRIM_400000_NS6detail17trampoline_kernelINS0_14default_configENS1_25partition_config_selectorILNS1_17partition_subalgoE5ElNS0_10empty_typeEbEEZZNS1_14partition_implILS5_5ELb0ES3_mN6hipcub16HIPCUB_304000_NS21CountingInputIteratorIllEEPS6_NSA_22TransformInputIteratorIb7NonZeroIaEPalEENS0_5tupleIJPlS6_EEENSJ_IJSD_SD_EEES6_SK_JS6_EEE10hipError_tPvRmT3_T4_T5_T6_T7_T9_mT8_P12ihipStream_tbDpT10_ENKUlT_T0_E_clISt17integral_constantIbLb1EES16_EEDaS11_S12_EUlS11_E_NS1_11comp_targetILNS1_3genE2ELNS1_11target_archE906ELNS1_3gpuE6ELNS1_3repE0EEENS1_30default_config_static_selectorELNS0_4arch9wavefront6targetE1EEEvT1_
    .private_segment_fixed_size: 0
    .sgpr_count:     6
    .sgpr_spill_count: 0
    .symbol:         _ZN7rocprim17ROCPRIM_400000_NS6detail17trampoline_kernelINS0_14default_configENS1_25partition_config_selectorILNS1_17partition_subalgoE5ElNS0_10empty_typeEbEEZZNS1_14partition_implILS5_5ELb0ES3_mN6hipcub16HIPCUB_304000_NS21CountingInputIteratorIllEEPS6_NSA_22TransformInputIteratorIb7NonZeroIaEPalEENS0_5tupleIJPlS6_EEENSJ_IJSD_SD_EEES6_SK_JS6_EEE10hipError_tPvRmT3_T4_T5_T6_T7_T9_mT8_P12ihipStream_tbDpT10_ENKUlT_T0_E_clISt17integral_constantIbLb1EES16_EEDaS11_S12_EUlS11_E_NS1_11comp_targetILNS1_3genE2ELNS1_11target_archE906ELNS1_3gpuE6ELNS1_3repE0EEENS1_30default_config_static_selectorELNS0_4arch9wavefront6targetE1EEEvT1_.kd
    .uniform_work_group_size: 1
    .uses_dynamic_stack: false
    .vgpr_count:     0
    .vgpr_spill_count: 0
    .wavefront_size: 64
  - .agpr_count:     0
    .args:
      - .offset:         0
        .size:           136
        .value_kind:     by_value
    .group_segment_fixed_size: 0
    .kernarg_segment_align: 8
    .kernarg_segment_size: 136
    .language:       OpenCL C
    .language_version:
      - 2
      - 0
    .max_flat_workgroup_size: 256
    .name:           _ZN7rocprim17ROCPRIM_400000_NS6detail17trampoline_kernelINS0_14default_configENS1_25partition_config_selectorILNS1_17partition_subalgoE5ElNS0_10empty_typeEbEEZZNS1_14partition_implILS5_5ELb0ES3_mN6hipcub16HIPCUB_304000_NS21CountingInputIteratorIllEEPS6_NSA_22TransformInputIteratorIb7NonZeroIaEPalEENS0_5tupleIJPlS6_EEENSJ_IJSD_SD_EEES6_SK_JS6_EEE10hipError_tPvRmT3_T4_T5_T6_T7_T9_mT8_P12ihipStream_tbDpT10_ENKUlT_T0_E_clISt17integral_constantIbLb1EES16_EEDaS11_S12_EUlS11_E_NS1_11comp_targetILNS1_3genE10ELNS1_11target_archE1200ELNS1_3gpuE4ELNS1_3repE0EEENS1_30default_config_static_selectorELNS0_4arch9wavefront6targetE1EEEvT1_
    .private_segment_fixed_size: 0
    .sgpr_count:     6
    .sgpr_spill_count: 0
    .symbol:         _ZN7rocprim17ROCPRIM_400000_NS6detail17trampoline_kernelINS0_14default_configENS1_25partition_config_selectorILNS1_17partition_subalgoE5ElNS0_10empty_typeEbEEZZNS1_14partition_implILS5_5ELb0ES3_mN6hipcub16HIPCUB_304000_NS21CountingInputIteratorIllEEPS6_NSA_22TransformInputIteratorIb7NonZeroIaEPalEENS0_5tupleIJPlS6_EEENSJ_IJSD_SD_EEES6_SK_JS6_EEE10hipError_tPvRmT3_T4_T5_T6_T7_T9_mT8_P12ihipStream_tbDpT10_ENKUlT_T0_E_clISt17integral_constantIbLb1EES16_EEDaS11_S12_EUlS11_E_NS1_11comp_targetILNS1_3genE10ELNS1_11target_archE1200ELNS1_3gpuE4ELNS1_3repE0EEENS1_30default_config_static_selectorELNS0_4arch9wavefront6targetE1EEEvT1_.kd
    .uniform_work_group_size: 1
    .uses_dynamic_stack: false
    .vgpr_count:     0
    .vgpr_spill_count: 0
    .wavefront_size: 64
  - .agpr_count:     0
    .args:
      - .offset:         0
        .size:           136
        .value_kind:     by_value
    .group_segment_fixed_size: 0
    .kernarg_segment_align: 8
    .kernarg_segment_size: 136
    .language:       OpenCL C
    .language_version:
      - 2
      - 0
    .max_flat_workgroup_size: 128
    .name:           _ZN7rocprim17ROCPRIM_400000_NS6detail17trampoline_kernelINS0_14default_configENS1_25partition_config_selectorILNS1_17partition_subalgoE5ElNS0_10empty_typeEbEEZZNS1_14partition_implILS5_5ELb0ES3_mN6hipcub16HIPCUB_304000_NS21CountingInputIteratorIllEEPS6_NSA_22TransformInputIteratorIb7NonZeroIaEPalEENS0_5tupleIJPlS6_EEENSJ_IJSD_SD_EEES6_SK_JS6_EEE10hipError_tPvRmT3_T4_T5_T6_T7_T9_mT8_P12ihipStream_tbDpT10_ENKUlT_T0_E_clISt17integral_constantIbLb1EES16_EEDaS11_S12_EUlS11_E_NS1_11comp_targetILNS1_3genE9ELNS1_11target_archE1100ELNS1_3gpuE3ELNS1_3repE0EEENS1_30default_config_static_selectorELNS0_4arch9wavefront6targetE1EEEvT1_
    .private_segment_fixed_size: 0
    .sgpr_count:     6
    .sgpr_spill_count: 0
    .symbol:         _ZN7rocprim17ROCPRIM_400000_NS6detail17trampoline_kernelINS0_14default_configENS1_25partition_config_selectorILNS1_17partition_subalgoE5ElNS0_10empty_typeEbEEZZNS1_14partition_implILS5_5ELb0ES3_mN6hipcub16HIPCUB_304000_NS21CountingInputIteratorIllEEPS6_NSA_22TransformInputIteratorIb7NonZeroIaEPalEENS0_5tupleIJPlS6_EEENSJ_IJSD_SD_EEES6_SK_JS6_EEE10hipError_tPvRmT3_T4_T5_T6_T7_T9_mT8_P12ihipStream_tbDpT10_ENKUlT_T0_E_clISt17integral_constantIbLb1EES16_EEDaS11_S12_EUlS11_E_NS1_11comp_targetILNS1_3genE9ELNS1_11target_archE1100ELNS1_3gpuE3ELNS1_3repE0EEENS1_30default_config_static_selectorELNS0_4arch9wavefront6targetE1EEEvT1_.kd
    .uniform_work_group_size: 1
    .uses_dynamic_stack: false
    .vgpr_count:     0
    .vgpr_spill_count: 0
    .wavefront_size: 64
  - .agpr_count:     0
    .args:
      - .offset:         0
        .size:           136
        .value_kind:     by_value
    .group_segment_fixed_size: 0
    .kernarg_segment_align: 8
    .kernarg_segment_size: 136
    .language:       OpenCL C
    .language_version:
      - 2
      - 0
    .max_flat_workgroup_size: 512
    .name:           _ZN7rocprim17ROCPRIM_400000_NS6detail17trampoline_kernelINS0_14default_configENS1_25partition_config_selectorILNS1_17partition_subalgoE5ElNS0_10empty_typeEbEEZZNS1_14partition_implILS5_5ELb0ES3_mN6hipcub16HIPCUB_304000_NS21CountingInputIteratorIllEEPS6_NSA_22TransformInputIteratorIb7NonZeroIaEPalEENS0_5tupleIJPlS6_EEENSJ_IJSD_SD_EEES6_SK_JS6_EEE10hipError_tPvRmT3_T4_T5_T6_T7_T9_mT8_P12ihipStream_tbDpT10_ENKUlT_T0_E_clISt17integral_constantIbLb1EES16_EEDaS11_S12_EUlS11_E_NS1_11comp_targetILNS1_3genE8ELNS1_11target_archE1030ELNS1_3gpuE2ELNS1_3repE0EEENS1_30default_config_static_selectorELNS0_4arch9wavefront6targetE1EEEvT1_
    .private_segment_fixed_size: 0
    .sgpr_count:     6
    .sgpr_spill_count: 0
    .symbol:         _ZN7rocprim17ROCPRIM_400000_NS6detail17trampoline_kernelINS0_14default_configENS1_25partition_config_selectorILNS1_17partition_subalgoE5ElNS0_10empty_typeEbEEZZNS1_14partition_implILS5_5ELb0ES3_mN6hipcub16HIPCUB_304000_NS21CountingInputIteratorIllEEPS6_NSA_22TransformInputIteratorIb7NonZeroIaEPalEENS0_5tupleIJPlS6_EEENSJ_IJSD_SD_EEES6_SK_JS6_EEE10hipError_tPvRmT3_T4_T5_T6_T7_T9_mT8_P12ihipStream_tbDpT10_ENKUlT_T0_E_clISt17integral_constantIbLb1EES16_EEDaS11_S12_EUlS11_E_NS1_11comp_targetILNS1_3genE8ELNS1_11target_archE1030ELNS1_3gpuE2ELNS1_3repE0EEENS1_30default_config_static_selectorELNS0_4arch9wavefront6targetE1EEEvT1_.kd
    .uniform_work_group_size: 1
    .uses_dynamic_stack: false
    .vgpr_count:     0
    .vgpr_spill_count: 0
    .wavefront_size: 64
  - .agpr_count:     0
    .args:
      - .address_space:  global
        .offset:         0
        .size:           8
        .value_kind:     global_buffer
      - .offset:         8
        .size:           4
        .value_kind:     by_value
      - .offset:         12
        .size:           1
        .value_kind:     by_value
      - .offset:         16
        .size:           4
        .value_kind:     by_value
      - .address_space:  global
        .offset:         24
        .size:           8
        .value_kind:     global_buffer
      - .offset:         32
        .size:           4
        .value_kind:     hidden_block_count_x
      - .offset:         36
        .size:           4
        .value_kind:     hidden_block_count_y
      - .offset:         40
        .size:           4
        .value_kind:     hidden_block_count_z
      - .offset:         44
        .size:           2
        .value_kind:     hidden_group_size_x
      - .offset:         46
        .size:           2
        .value_kind:     hidden_group_size_y
      - .offset:         48
        .size:           2
        .value_kind:     hidden_group_size_z
      - .offset:         50
        .size:           2
        .value_kind:     hidden_remainder_x
      - .offset:         52
        .size:           2
        .value_kind:     hidden_remainder_y
      - .offset:         54
        .size:           2
        .value_kind:     hidden_remainder_z
      - .offset:         72
        .size:           8
        .value_kind:     hidden_global_offset_x
      - .offset:         80
        .size:           8
        .value_kind:     hidden_global_offset_y
      - .offset:         88
        .size:           8
        .value_kind:     hidden_global_offset_z
      - .offset:         96
        .size:           2
        .value_kind:     hidden_grid_dims
    .group_segment_fixed_size: 0
    .kernarg_segment_align: 8
    .kernarg_segment_size: 288
    .language:       OpenCL C
    .language_version:
      - 2
      - 0
    .max_flat_workgroup_size: 256
    .name:           _ZN7rocprim17ROCPRIM_400000_NS6detail31init_lookback_scan_state_kernelINS1_19lookback_scan_stateImLb1ELb1EEENS1_16block_id_wrapperIjLb0EEEEEvT_jT0_jPNS7_10value_typeE
    .private_segment_fixed_size: 0
    .sgpr_count:     20
    .sgpr_spill_count: 0
    .symbol:         _ZN7rocprim17ROCPRIM_400000_NS6detail31init_lookback_scan_state_kernelINS1_19lookback_scan_stateImLb1ELb1EEENS1_16block_id_wrapperIjLb0EEEEEvT_jT0_jPNS7_10value_typeE.kd
    .uniform_work_group_size: 1
    .uses_dynamic_stack: false
    .vgpr_count:     10
    .vgpr_spill_count: 0
    .wavefront_size: 64
  - .agpr_count:     0
    .args:
      - .offset:         0
        .size:           120
        .value_kind:     by_value
    .group_segment_fixed_size: 0
    .kernarg_segment_align: 8
    .kernarg_segment_size: 120
    .language:       OpenCL C
    .language_version:
      - 2
      - 0
    .max_flat_workgroup_size: 128
    .name:           _ZN7rocprim17ROCPRIM_400000_NS6detail17trampoline_kernelINS0_14default_configENS1_25partition_config_selectorILNS1_17partition_subalgoE5ElNS0_10empty_typeEbEEZZNS1_14partition_implILS5_5ELb0ES3_mN6hipcub16HIPCUB_304000_NS21CountingInputIteratorIllEEPS6_NSA_22TransformInputIteratorIb7NonZeroIaEPalEENS0_5tupleIJPlS6_EEENSJ_IJSD_SD_EEES6_SK_JS6_EEE10hipError_tPvRmT3_T4_T5_T6_T7_T9_mT8_P12ihipStream_tbDpT10_ENKUlT_T0_E_clISt17integral_constantIbLb1EES15_IbLb0EEEEDaS11_S12_EUlS11_E_NS1_11comp_targetILNS1_3genE0ELNS1_11target_archE4294967295ELNS1_3gpuE0ELNS1_3repE0EEENS1_30default_config_static_selectorELNS0_4arch9wavefront6targetE1EEEvT1_
    .private_segment_fixed_size: 0
    .sgpr_count:     6
    .sgpr_spill_count: 0
    .symbol:         _ZN7rocprim17ROCPRIM_400000_NS6detail17trampoline_kernelINS0_14default_configENS1_25partition_config_selectorILNS1_17partition_subalgoE5ElNS0_10empty_typeEbEEZZNS1_14partition_implILS5_5ELb0ES3_mN6hipcub16HIPCUB_304000_NS21CountingInputIteratorIllEEPS6_NSA_22TransformInputIteratorIb7NonZeroIaEPalEENS0_5tupleIJPlS6_EEENSJ_IJSD_SD_EEES6_SK_JS6_EEE10hipError_tPvRmT3_T4_T5_T6_T7_T9_mT8_P12ihipStream_tbDpT10_ENKUlT_T0_E_clISt17integral_constantIbLb1EES15_IbLb0EEEEDaS11_S12_EUlS11_E_NS1_11comp_targetILNS1_3genE0ELNS1_11target_archE4294967295ELNS1_3gpuE0ELNS1_3repE0EEENS1_30default_config_static_selectorELNS0_4arch9wavefront6targetE1EEEvT1_.kd
    .uniform_work_group_size: 1
    .uses_dynamic_stack: false
    .vgpr_count:     0
    .vgpr_spill_count: 0
    .wavefront_size: 64
  - .agpr_count:     0
    .args:
      - .offset:         0
        .size:           120
        .value_kind:     by_value
    .group_segment_fixed_size: 0
    .kernarg_segment_align: 8
    .kernarg_segment_size: 120
    .language:       OpenCL C
    .language_version:
      - 2
      - 0
    .max_flat_workgroup_size: 512
    .name:           _ZN7rocprim17ROCPRIM_400000_NS6detail17trampoline_kernelINS0_14default_configENS1_25partition_config_selectorILNS1_17partition_subalgoE5ElNS0_10empty_typeEbEEZZNS1_14partition_implILS5_5ELb0ES3_mN6hipcub16HIPCUB_304000_NS21CountingInputIteratorIllEEPS6_NSA_22TransformInputIteratorIb7NonZeroIaEPalEENS0_5tupleIJPlS6_EEENSJ_IJSD_SD_EEES6_SK_JS6_EEE10hipError_tPvRmT3_T4_T5_T6_T7_T9_mT8_P12ihipStream_tbDpT10_ENKUlT_T0_E_clISt17integral_constantIbLb1EES15_IbLb0EEEEDaS11_S12_EUlS11_E_NS1_11comp_targetILNS1_3genE5ELNS1_11target_archE942ELNS1_3gpuE9ELNS1_3repE0EEENS1_30default_config_static_selectorELNS0_4arch9wavefront6targetE1EEEvT1_
    .private_segment_fixed_size: 0
    .sgpr_count:     6
    .sgpr_spill_count: 0
    .symbol:         _ZN7rocprim17ROCPRIM_400000_NS6detail17trampoline_kernelINS0_14default_configENS1_25partition_config_selectorILNS1_17partition_subalgoE5ElNS0_10empty_typeEbEEZZNS1_14partition_implILS5_5ELb0ES3_mN6hipcub16HIPCUB_304000_NS21CountingInputIteratorIllEEPS6_NSA_22TransformInputIteratorIb7NonZeroIaEPalEENS0_5tupleIJPlS6_EEENSJ_IJSD_SD_EEES6_SK_JS6_EEE10hipError_tPvRmT3_T4_T5_T6_T7_T9_mT8_P12ihipStream_tbDpT10_ENKUlT_T0_E_clISt17integral_constantIbLb1EES15_IbLb0EEEEDaS11_S12_EUlS11_E_NS1_11comp_targetILNS1_3genE5ELNS1_11target_archE942ELNS1_3gpuE9ELNS1_3repE0EEENS1_30default_config_static_selectorELNS0_4arch9wavefront6targetE1EEEvT1_.kd
    .uniform_work_group_size: 1
    .uses_dynamic_stack: false
    .vgpr_count:     0
    .vgpr_spill_count: 0
    .wavefront_size: 64
  - .agpr_count:     0
    .args:
      - .offset:         0
        .size:           120
        .value_kind:     by_value
    .group_segment_fixed_size: 0
    .kernarg_segment_align: 8
    .kernarg_segment_size: 120
    .language:       OpenCL C
    .language_version:
      - 2
      - 0
    .max_flat_workgroup_size: 192
    .name:           _ZN7rocprim17ROCPRIM_400000_NS6detail17trampoline_kernelINS0_14default_configENS1_25partition_config_selectorILNS1_17partition_subalgoE5ElNS0_10empty_typeEbEEZZNS1_14partition_implILS5_5ELb0ES3_mN6hipcub16HIPCUB_304000_NS21CountingInputIteratorIllEEPS6_NSA_22TransformInputIteratorIb7NonZeroIaEPalEENS0_5tupleIJPlS6_EEENSJ_IJSD_SD_EEES6_SK_JS6_EEE10hipError_tPvRmT3_T4_T5_T6_T7_T9_mT8_P12ihipStream_tbDpT10_ENKUlT_T0_E_clISt17integral_constantIbLb1EES15_IbLb0EEEEDaS11_S12_EUlS11_E_NS1_11comp_targetILNS1_3genE4ELNS1_11target_archE910ELNS1_3gpuE8ELNS1_3repE0EEENS1_30default_config_static_selectorELNS0_4arch9wavefront6targetE1EEEvT1_
    .private_segment_fixed_size: 0
    .sgpr_count:     6
    .sgpr_spill_count: 0
    .symbol:         _ZN7rocprim17ROCPRIM_400000_NS6detail17trampoline_kernelINS0_14default_configENS1_25partition_config_selectorILNS1_17partition_subalgoE5ElNS0_10empty_typeEbEEZZNS1_14partition_implILS5_5ELb0ES3_mN6hipcub16HIPCUB_304000_NS21CountingInputIteratorIllEEPS6_NSA_22TransformInputIteratorIb7NonZeroIaEPalEENS0_5tupleIJPlS6_EEENSJ_IJSD_SD_EEES6_SK_JS6_EEE10hipError_tPvRmT3_T4_T5_T6_T7_T9_mT8_P12ihipStream_tbDpT10_ENKUlT_T0_E_clISt17integral_constantIbLb1EES15_IbLb0EEEEDaS11_S12_EUlS11_E_NS1_11comp_targetILNS1_3genE4ELNS1_11target_archE910ELNS1_3gpuE8ELNS1_3repE0EEENS1_30default_config_static_selectorELNS0_4arch9wavefront6targetE1EEEvT1_.kd
    .uniform_work_group_size: 1
    .uses_dynamic_stack: false
    .vgpr_count:     0
    .vgpr_spill_count: 0
    .wavefront_size: 64
  - .agpr_count:     0
    .args:
      - .offset:         0
        .size:           120
        .value_kind:     by_value
    .group_segment_fixed_size: 0
    .kernarg_segment_align: 8
    .kernarg_segment_size: 120
    .language:       OpenCL C
    .language_version:
      - 2
      - 0
    .max_flat_workgroup_size: 128
    .name:           _ZN7rocprim17ROCPRIM_400000_NS6detail17trampoline_kernelINS0_14default_configENS1_25partition_config_selectorILNS1_17partition_subalgoE5ElNS0_10empty_typeEbEEZZNS1_14partition_implILS5_5ELb0ES3_mN6hipcub16HIPCUB_304000_NS21CountingInputIteratorIllEEPS6_NSA_22TransformInputIteratorIb7NonZeroIaEPalEENS0_5tupleIJPlS6_EEENSJ_IJSD_SD_EEES6_SK_JS6_EEE10hipError_tPvRmT3_T4_T5_T6_T7_T9_mT8_P12ihipStream_tbDpT10_ENKUlT_T0_E_clISt17integral_constantIbLb1EES15_IbLb0EEEEDaS11_S12_EUlS11_E_NS1_11comp_targetILNS1_3genE3ELNS1_11target_archE908ELNS1_3gpuE7ELNS1_3repE0EEENS1_30default_config_static_selectorELNS0_4arch9wavefront6targetE1EEEvT1_
    .private_segment_fixed_size: 0
    .sgpr_count:     6
    .sgpr_spill_count: 0
    .symbol:         _ZN7rocprim17ROCPRIM_400000_NS6detail17trampoline_kernelINS0_14default_configENS1_25partition_config_selectorILNS1_17partition_subalgoE5ElNS0_10empty_typeEbEEZZNS1_14partition_implILS5_5ELb0ES3_mN6hipcub16HIPCUB_304000_NS21CountingInputIteratorIllEEPS6_NSA_22TransformInputIteratorIb7NonZeroIaEPalEENS0_5tupleIJPlS6_EEENSJ_IJSD_SD_EEES6_SK_JS6_EEE10hipError_tPvRmT3_T4_T5_T6_T7_T9_mT8_P12ihipStream_tbDpT10_ENKUlT_T0_E_clISt17integral_constantIbLb1EES15_IbLb0EEEEDaS11_S12_EUlS11_E_NS1_11comp_targetILNS1_3genE3ELNS1_11target_archE908ELNS1_3gpuE7ELNS1_3repE0EEENS1_30default_config_static_selectorELNS0_4arch9wavefront6targetE1EEEvT1_.kd
    .uniform_work_group_size: 1
    .uses_dynamic_stack: false
    .vgpr_count:     0
    .vgpr_spill_count: 0
    .wavefront_size: 64
  - .agpr_count:     0
    .args:
      - .offset:         0
        .size:           120
        .value_kind:     by_value
    .group_segment_fixed_size: 0
    .kernarg_segment_align: 8
    .kernarg_segment_size: 120
    .language:       OpenCL C
    .language_version:
      - 2
      - 0
    .max_flat_workgroup_size: 256
    .name:           _ZN7rocprim17ROCPRIM_400000_NS6detail17trampoline_kernelINS0_14default_configENS1_25partition_config_selectorILNS1_17partition_subalgoE5ElNS0_10empty_typeEbEEZZNS1_14partition_implILS5_5ELb0ES3_mN6hipcub16HIPCUB_304000_NS21CountingInputIteratorIllEEPS6_NSA_22TransformInputIteratorIb7NonZeroIaEPalEENS0_5tupleIJPlS6_EEENSJ_IJSD_SD_EEES6_SK_JS6_EEE10hipError_tPvRmT3_T4_T5_T6_T7_T9_mT8_P12ihipStream_tbDpT10_ENKUlT_T0_E_clISt17integral_constantIbLb1EES15_IbLb0EEEEDaS11_S12_EUlS11_E_NS1_11comp_targetILNS1_3genE2ELNS1_11target_archE906ELNS1_3gpuE6ELNS1_3repE0EEENS1_30default_config_static_selectorELNS0_4arch9wavefront6targetE1EEEvT1_
    .private_segment_fixed_size: 0
    .sgpr_count:     6
    .sgpr_spill_count: 0
    .symbol:         _ZN7rocprim17ROCPRIM_400000_NS6detail17trampoline_kernelINS0_14default_configENS1_25partition_config_selectorILNS1_17partition_subalgoE5ElNS0_10empty_typeEbEEZZNS1_14partition_implILS5_5ELb0ES3_mN6hipcub16HIPCUB_304000_NS21CountingInputIteratorIllEEPS6_NSA_22TransformInputIteratorIb7NonZeroIaEPalEENS0_5tupleIJPlS6_EEENSJ_IJSD_SD_EEES6_SK_JS6_EEE10hipError_tPvRmT3_T4_T5_T6_T7_T9_mT8_P12ihipStream_tbDpT10_ENKUlT_T0_E_clISt17integral_constantIbLb1EES15_IbLb0EEEEDaS11_S12_EUlS11_E_NS1_11comp_targetILNS1_3genE2ELNS1_11target_archE906ELNS1_3gpuE6ELNS1_3repE0EEENS1_30default_config_static_selectorELNS0_4arch9wavefront6targetE1EEEvT1_.kd
    .uniform_work_group_size: 1
    .uses_dynamic_stack: false
    .vgpr_count:     0
    .vgpr_spill_count: 0
    .wavefront_size: 64
  - .agpr_count:     0
    .args:
      - .offset:         0
        .size:           120
        .value_kind:     by_value
    .group_segment_fixed_size: 0
    .kernarg_segment_align: 8
    .kernarg_segment_size: 120
    .language:       OpenCL C
    .language_version:
      - 2
      - 0
    .max_flat_workgroup_size: 256
    .name:           _ZN7rocprim17ROCPRIM_400000_NS6detail17trampoline_kernelINS0_14default_configENS1_25partition_config_selectorILNS1_17partition_subalgoE5ElNS0_10empty_typeEbEEZZNS1_14partition_implILS5_5ELb0ES3_mN6hipcub16HIPCUB_304000_NS21CountingInputIteratorIllEEPS6_NSA_22TransformInputIteratorIb7NonZeroIaEPalEENS0_5tupleIJPlS6_EEENSJ_IJSD_SD_EEES6_SK_JS6_EEE10hipError_tPvRmT3_T4_T5_T6_T7_T9_mT8_P12ihipStream_tbDpT10_ENKUlT_T0_E_clISt17integral_constantIbLb1EES15_IbLb0EEEEDaS11_S12_EUlS11_E_NS1_11comp_targetILNS1_3genE10ELNS1_11target_archE1200ELNS1_3gpuE4ELNS1_3repE0EEENS1_30default_config_static_selectorELNS0_4arch9wavefront6targetE1EEEvT1_
    .private_segment_fixed_size: 0
    .sgpr_count:     6
    .sgpr_spill_count: 0
    .symbol:         _ZN7rocprim17ROCPRIM_400000_NS6detail17trampoline_kernelINS0_14default_configENS1_25partition_config_selectorILNS1_17partition_subalgoE5ElNS0_10empty_typeEbEEZZNS1_14partition_implILS5_5ELb0ES3_mN6hipcub16HIPCUB_304000_NS21CountingInputIteratorIllEEPS6_NSA_22TransformInputIteratorIb7NonZeroIaEPalEENS0_5tupleIJPlS6_EEENSJ_IJSD_SD_EEES6_SK_JS6_EEE10hipError_tPvRmT3_T4_T5_T6_T7_T9_mT8_P12ihipStream_tbDpT10_ENKUlT_T0_E_clISt17integral_constantIbLb1EES15_IbLb0EEEEDaS11_S12_EUlS11_E_NS1_11comp_targetILNS1_3genE10ELNS1_11target_archE1200ELNS1_3gpuE4ELNS1_3repE0EEENS1_30default_config_static_selectorELNS0_4arch9wavefront6targetE1EEEvT1_.kd
    .uniform_work_group_size: 1
    .uses_dynamic_stack: false
    .vgpr_count:     0
    .vgpr_spill_count: 0
    .wavefront_size: 64
  - .agpr_count:     0
    .args:
      - .offset:         0
        .size:           120
        .value_kind:     by_value
    .group_segment_fixed_size: 0
    .kernarg_segment_align: 8
    .kernarg_segment_size: 120
    .language:       OpenCL C
    .language_version:
      - 2
      - 0
    .max_flat_workgroup_size: 128
    .name:           _ZN7rocprim17ROCPRIM_400000_NS6detail17trampoline_kernelINS0_14default_configENS1_25partition_config_selectorILNS1_17partition_subalgoE5ElNS0_10empty_typeEbEEZZNS1_14partition_implILS5_5ELb0ES3_mN6hipcub16HIPCUB_304000_NS21CountingInputIteratorIllEEPS6_NSA_22TransformInputIteratorIb7NonZeroIaEPalEENS0_5tupleIJPlS6_EEENSJ_IJSD_SD_EEES6_SK_JS6_EEE10hipError_tPvRmT3_T4_T5_T6_T7_T9_mT8_P12ihipStream_tbDpT10_ENKUlT_T0_E_clISt17integral_constantIbLb1EES15_IbLb0EEEEDaS11_S12_EUlS11_E_NS1_11comp_targetILNS1_3genE9ELNS1_11target_archE1100ELNS1_3gpuE3ELNS1_3repE0EEENS1_30default_config_static_selectorELNS0_4arch9wavefront6targetE1EEEvT1_
    .private_segment_fixed_size: 0
    .sgpr_count:     6
    .sgpr_spill_count: 0
    .symbol:         _ZN7rocprim17ROCPRIM_400000_NS6detail17trampoline_kernelINS0_14default_configENS1_25partition_config_selectorILNS1_17partition_subalgoE5ElNS0_10empty_typeEbEEZZNS1_14partition_implILS5_5ELb0ES3_mN6hipcub16HIPCUB_304000_NS21CountingInputIteratorIllEEPS6_NSA_22TransformInputIteratorIb7NonZeroIaEPalEENS0_5tupleIJPlS6_EEENSJ_IJSD_SD_EEES6_SK_JS6_EEE10hipError_tPvRmT3_T4_T5_T6_T7_T9_mT8_P12ihipStream_tbDpT10_ENKUlT_T0_E_clISt17integral_constantIbLb1EES15_IbLb0EEEEDaS11_S12_EUlS11_E_NS1_11comp_targetILNS1_3genE9ELNS1_11target_archE1100ELNS1_3gpuE3ELNS1_3repE0EEENS1_30default_config_static_selectorELNS0_4arch9wavefront6targetE1EEEvT1_.kd
    .uniform_work_group_size: 1
    .uses_dynamic_stack: false
    .vgpr_count:     0
    .vgpr_spill_count: 0
    .wavefront_size: 64
  - .agpr_count:     0
    .args:
      - .offset:         0
        .size:           120
        .value_kind:     by_value
    .group_segment_fixed_size: 0
    .kernarg_segment_align: 8
    .kernarg_segment_size: 120
    .language:       OpenCL C
    .language_version:
      - 2
      - 0
    .max_flat_workgroup_size: 512
    .name:           _ZN7rocprim17ROCPRIM_400000_NS6detail17trampoline_kernelINS0_14default_configENS1_25partition_config_selectorILNS1_17partition_subalgoE5ElNS0_10empty_typeEbEEZZNS1_14partition_implILS5_5ELb0ES3_mN6hipcub16HIPCUB_304000_NS21CountingInputIteratorIllEEPS6_NSA_22TransformInputIteratorIb7NonZeroIaEPalEENS0_5tupleIJPlS6_EEENSJ_IJSD_SD_EEES6_SK_JS6_EEE10hipError_tPvRmT3_T4_T5_T6_T7_T9_mT8_P12ihipStream_tbDpT10_ENKUlT_T0_E_clISt17integral_constantIbLb1EES15_IbLb0EEEEDaS11_S12_EUlS11_E_NS1_11comp_targetILNS1_3genE8ELNS1_11target_archE1030ELNS1_3gpuE2ELNS1_3repE0EEENS1_30default_config_static_selectorELNS0_4arch9wavefront6targetE1EEEvT1_
    .private_segment_fixed_size: 0
    .sgpr_count:     6
    .sgpr_spill_count: 0
    .symbol:         _ZN7rocprim17ROCPRIM_400000_NS6detail17trampoline_kernelINS0_14default_configENS1_25partition_config_selectorILNS1_17partition_subalgoE5ElNS0_10empty_typeEbEEZZNS1_14partition_implILS5_5ELb0ES3_mN6hipcub16HIPCUB_304000_NS21CountingInputIteratorIllEEPS6_NSA_22TransformInputIteratorIb7NonZeroIaEPalEENS0_5tupleIJPlS6_EEENSJ_IJSD_SD_EEES6_SK_JS6_EEE10hipError_tPvRmT3_T4_T5_T6_T7_T9_mT8_P12ihipStream_tbDpT10_ENKUlT_T0_E_clISt17integral_constantIbLb1EES15_IbLb0EEEEDaS11_S12_EUlS11_E_NS1_11comp_targetILNS1_3genE8ELNS1_11target_archE1030ELNS1_3gpuE2ELNS1_3repE0EEENS1_30default_config_static_selectorELNS0_4arch9wavefront6targetE1EEEvT1_.kd
    .uniform_work_group_size: 1
    .uses_dynamic_stack: false
    .vgpr_count:     0
    .vgpr_spill_count: 0
    .wavefront_size: 64
  - .agpr_count:     0
    .args:
      - .address_space:  global
        .offset:         0
        .size:           8
        .value_kind:     global_buffer
      - .offset:         8
        .size:           4
        .value_kind:     by_value
      - .address_space:  global
        .offset:         16
        .size:           8
        .value_kind:     global_buffer
      - .offset:         24
        .size:           4
        .value_kind:     by_value
      - .address_space:  global
        .offset:         32
        .size:           8
        .value_kind:     global_buffer
      - .offset:         40
        .size:           4
        .value_kind:     hidden_block_count_x
      - .offset:         44
        .size:           4
        .value_kind:     hidden_block_count_y
      - .offset:         48
        .size:           4
        .value_kind:     hidden_block_count_z
      - .offset:         52
        .size:           2
        .value_kind:     hidden_group_size_x
      - .offset:         54
        .size:           2
        .value_kind:     hidden_group_size_y
      - .offset:         56
        .size:           2
        .value_kind:     hidden_group_size_z
      - .offset:         58
        .size:           2
        .value_kind:     hidden_remainder_x
      - .offset:         60
        .size:           2
        .value_kind:     hidden_remainder_y
      - .offset:         62
        .size:           2
        .value_kind:     hidden_remainder_z
      - .offset:         80
        .size:           8
        .value_kind:     hidden_global_offset_x
      - .offset:         88
        .size:           8
        .value_kind:     hidden_global_offset_y
      - .offset:         96
        .size:           8
        .value_kind:     hidden_global_offset_z
      - .offset:         104
        .size:           2
        .value_kind:     hidden_grid_dims
    .group_segment_fixed_size: 0
    .kernarg_segment_align: 8
    .kernarg_segment_size: 296
    .language:       OpenCL C
    .language_version:
      - 2
      - 0
    .max_flat_workgroup_size: 256
    .name:           _ZN7rocprim17ROCPRIM_400000_NS6detail31init_lookback_scan_state_kernelINS1_19lookback_scan_stateImLb0ELb1EEENS1_16block_id_wrapperIjLb1EEEEEvT_jT0_jPNS7_10value_typeE
    .private_segment_fixed_size: 0
    .sgpr_count:     21
    .sgpr_spill_count: 0
    .symbol:         _ZN7rocprim17ROCPRIM_400000_NS6detail31init_lookback_scan_state_kernelINS1_19lookback_scan_stateImLb0ELb1EEENS1_16block_id_wrapperIjLb1EEEEEvT_jT0_jPNS7_10value_typeE.kd
    .uniform_work_group_size: 1
    .uses_dynamic_stack: false
    .vgpr_count:     10
    .vgpr_spill_count: 0
    .wavefront_size: 64
  - .agpr_count:     0
    .args:
      - .offset:         0
        .size:           136
        .value_kind:     by_value
    .group_segment_fixed_size: 7184
    .kernarg_segment_align: 8
    .kernarg_segment_size: 136
    .language:       OpenCL C
    .language_version:
      - 2
      - 0
    .max_flat_workgroup_size: 128
    .name:           _ZN7rocprim17ROCPRIM_400000_NS6detail17trampoline_kernelINS0_14default_configENS1_25partition_config_selectorILNS1_17partition_subalgoE5ElNS0_10empty_typeEbEEZZNS1_14partition_implILS5_5ELb0ES3_mN6hipcub16HIPCUB_304000_NS21CountingInputIteratorIllEEPS6_NSA_22TransformInputIteratorIb7NonZeroIaEPalEENS0_5tupleIJPlS6_EEENSJ_IJSD_SD_EEES6_SK_JS6_EEE10hipError_tPvRmT3_T4_T5_T6_T7_T9_mT8_P12ihipStream_tbDpT10_ENKUlT_T0_E_clISt17integral_constantIbLb0EES15_IbLb1EEEEDaS11_S12_EUlS11_E_NS1_11comp_targetILNS1_3genE0ELNS1_11target_archE4294967295ELNS1_3gpuE0ELNS1_3repE0EEENS1_30default_config_static_selectorELNS0_4arch9wavefront6targetE1EEEvT1_
    .private_segment_fixed_size: 0
    .sgpr_count:     34
    .sgpr_spill_count: 0
    .symbol:         _ZN7rocprim17ROCPRIM_400000_NS6detail17trampoline_kernelINS0_14default_configENS1_25partition_config_selectorILNS1_17partition_subalgoE5ElNS0_10empty_typeEbEEZZNS1_14partition_implILS5_5ELb0ES3_mN6hipcub16HIPCUB_304000_NS21CountingInputIteratorIllEEPS6_NSA_22TransformInputIteratorIb7NonZeroIaEPalEENS0_5tupleIJPlS6_EEENSJ_IJSD_SD_EEES6_SK_JS6_EEE10hipError_tPvRmT3_T4_T5_T6_T7_T9_mT8_P12ihipStream_tbDpT10_ENKUlT_T0_E_clISt17integral_constantIbLb0EES15_IbLb1EEEEDaS11_S12_EUlS11_E_NS1_11comp_targetILNS1_3genE0ELNS1_11target_archE4294967295ELNS1_3gpuE0ELNS1_3repE0EEENS1_30default_config_static_selectorELNS0_4arch9wavefront6targetE1EEEvT1_.kd
    .uniform_work_group_size: 1
    .uses_dynamic_stack: false
    .vgpr_count:     72
    .vgpr_spill_count: 0
    .wavefront_size: 64
  - .agpr_count:     0
    .args:
      - .offset:         0
        .size:           136
        .value_kind:     by_value
    .group_segment_fixed_size: 0
    .kernarg_segment_align: 8
    .kernarg_segment_size: 136
    .language:       OpenCL C
    .language_version:
      - 2
      - 0
    .max_flat_workgroup_size: 512
    .name:           _ZN7rocprim17ROCPRIM_400000_NS6detail17trampoline_kernelINS0_14default_configENS1_25partition_config_selectorILNS1_17partition_subalgoE5ElNS0_10empty_typeEbEEZZNS1_14partition_implILS5_5ELb0ES3_mN6hipcub16HIPCUB_304000_NS21CountingInputIteratorIllEEPS6_NSA_22TransformInputIteratorIb7NonZeroIaEPalEENS0_5tupleIJPlS6_EEENSJ_IJSD_SD_EEES6_SK_JS6_EEE10hipError_tPvRmT3_T4_T5_T6_T7_T9_mT8_P12ihipStream_tbDpT10_ENKUlT_T0_E_clISt17integral_constantIbLb0EES15_IbLb1EEEEDaS11_S12_EUlS11_E_NS1_11comp_targetILNS1_3genE5ELNS1_11target_archE942ELNS1_3gpuE9ELNS1_3repE0EEENS1_30default_config_static_selectorELNS0_4arch9wavefront6targetE1EEEvT1_
    .private_segment_fixed_size: 0
    .sgpr_count:     6
    .sgpr_spill_count: 0
    .symbol:         _ZN7rocprim17ROCPRIM_400000_NS6detail17trampoline_kernelINS0_14default_configENS1_25partition_config_selectorILNS1_17partition_subalgoE5ElNS0_10empty_typeEbEEZZNS1_14partition_implILS5_5ELb0ES3_mN6hipcub16HIPCUB_304000_NS21CountingInputIteratorIllEEPS6_NSA_22TransformInputIteratorIb7NonZeroIaEPalEENS0_5tupleIJPlS6_EEENSJ_IJSD_SD_EEES6_SK_JS6_EEE10hipError_tPvRmT3_T4_T5_T6_T7_T9_mT8_P12ihipStream_tbDpT10_ENKUlT_T0_E_clISt17integral_constantIbLb0EES15_IbLb1EEEEDaS11_S12_EUlS11_E_NS1_11comp_targetILNS1_3genE5ELNS1_11target_archE942ELNS1_3gpuE9ELNS1_3repE0EEENS1_30default_config_static_selectorELNS0_4arch9wavefront6targetE1EEEvT1_.kd
    .uniform_work_group_size: 1
    .uses_dynamic_stack: false
    .vgpr_count:     0
    .vgpr_spill_count: 0
    .wavefront_size: 64
  - .agpr_count:     0
    .args:
      - .offset:         0
        .size:           136
        .value_kind:     by_value
    .group_segment_fixed_size: 0
    .kernarg_segment_align: 8
    .kernarg_segment_size: 136
    .language:       OpenCL C
    .language_version:
      - 2
      - 0
    .max_flat_workgroup_size: 192
    .name:           _ZN7rocprim17ROCPRIM_400000_NS6detail17trampoline_kernelINS0_14default_configENS1_25partition_config_selectorILNS1_17partition_subalgoE5ElNS0_10empty_typeEbEEZZNS1_14partition_implILS5_5ELb0ES3_mN6hipcub16HIPCUB_304000_NS21CountingInputIteratorIllEEPS6_NSA_22TransformInputIteratorIb7NonZeroIaEPalEENS0_5tupleIJPlS6_EEENSJ_IJSD_SD_EEES6_SK_JS6_EEE10hipError_tPvRmT3_T4_T5_T6_T7_T9_mT8_P12ihipStream_tbDpT10_ENKUlT_T0_E_clISt17integral_constantIbLb0EES15_IbLb1EEEEDaS11_S12_EUlS11_E_NS1_11comp_targetILNS1_3genE4ELNS1_11target_archE910ELNS1_3gpuE8ELNS1_3repE0EEENS1_30default_config_static_selectorELNS0_4arch9wavefront6targetE1EEEvT1_
    .private_segment_fixed_size: 0
    .sgpr_count:     6
    .sgpr_spill_count: 0
    .symbol:         _ZN7rocprim17ROCPRIM_400000_NS6detail17trampoline_kernelINS0_14default_configENS1_25partition_config_selectorILNS1_17partition_subalgoE5ElNS0_10empty_typeEbEEZZNS1_14partition_implILS5_5ELb0ES3_mN6hipcub16HIPCUB_304000_NS21CountingInputIteratorIllEEPS6_NSA_22TransformInputIteratorIb7NonZeroIaEPalEENS0_5tupleIJPlS6_EEENSJ_IJSD_SD_EEES6_SK_JS6_EEE10hipError_tPvRmT3_T4_T5_T6_T7_T9_mT8_P12ihipStream_tbDpT10_ENKUlT_T0_E_clISt17integral_constantIbLb0EES15_IbLb1EEEEDaS11_S12_EUlS11_E_NS1_11comp_targetILNS1_3genE4ELNS1_11target_archE910ELNS1_3gpuE8ELNS1_3repE0EEENS1_30default_config_static_selectorELNS0_4arch9wavefront6targetE1EEEvT1_.kd
    .uniform_work_group_size: 1
    .uses_dynamic_stack: false
    .vgpr_count:     0
    .vgpr_spill_count: 0
    .wavefront_size: 64
  - .agpr_count:     0
    .args:
      - .offset:         0
        .size:           136
        .value_kind:     by_value
    .group_segment_fixed_size: 0
    .kernarg_segment_align: 8
    .kernarg_segment_size: 136
    .language:       OpenCL C
    .language_version:
      - 2
      - 0
    .max_flat_workgroup_size: 128
    .name:           _ZN7rocprim17ROCPRIM_400000_NS6detail17trampoline_kernelINS0_14default_configENS1_25partition_config_selectorILNS1_17partition_subalgoE5ElNS0_10empty_typeEbEEZZNS1_14partition_implILS5_5ELb0ES3_mN6hipcub16HIPCUB_304000_NS21CountingInputIteratorIllEEPS6_NSA_22TransformInputIteratorIb7NonZeroIaEPalEENS0_5tupleIJPlS6_EEENSJ_IJSD_SD_EEES6_SK_JS6_EEE10hipError_tPvRmT3_T4_T5_T6_T7_T9_mT8_P12ihipStream_tbDpT10_ENKUlT_T0_E_clISt17integral_constantIbLb0EES15_IbLb1EEEEDaS11_S12_EUlS11_E_NS1_11comp_targetILNS1_3genE3ELNS1_11target_archE908ELNS1_3gpuE7ELNS1_3repE0EEENS1_30default_config_static_selectorELNS0_4arch9wavefront6targetE1EEEvT1_
    .private_segment_fixed_size: 0
    .sgpr_count:     6
    .sgpr_spill_count: 0
    .symbol:         _ZN7rocprim17ROCPRIM_400000_NS6detail17trampoline_kernelINS0_14default_configENS1_25partition_config_selectorILNS1_17partition_subalgoE5ElNS0_10empty_typeEbEEZZNS1_14partition_implILS5_5ELb0ES3_mN6hipcub16HIPCUB_304000_NS21CountingInputIteratorIllEEPS6_NSA_22TransformInputIteratorIb7NonZeroIaEPalEENS0_5tupleIJPlS6_EEENSJ_IJSD_SD_EEES6_SK_JS6_EEE10hipError_tPvRmT3_T4_T5_T6_T7_T9_mT8_P12ihipStream_tbDpT10_ENKUlT_T0_E_clISt17integral_constantIbLb0EES15_IbLb1EEEEDaS11_S12_EUlS11_E_NS1_11comp_targetILNS1_3genE3ELNS1_11target_archE908ELNS1_3gpuE7ELNS1_3repE0EEENS1_30default_config_static_selectorELNS0_4arch9wavefront6targetE1EEEvT1_.kd
    .uniform_work_group_size: 1
    .uses_dynamic_stack: false
    .vgpr_count:     0
    .vgpr_spill_count: 0
    .wavefront_size: 64
  - .agpr_count:     0
    .args:
      - .offset:         0
        .size:           136
        .value_kind:     by_value
    .group_segment_fixed_size: 0
    .kernarg_segment_align: 8
    .kernarg_segment_size: 136
    .language:       OpenCL C
    .language_version:
      - 2
      - 0
    .max_flat_workgroup_size: 256
    .name:           _ZN7rocprim17ROCPRIM_400000_NS6detail17trampoline_kernelINS0_14default_configENS1_25partition_config_selectorILNS1_17partition_subalgoE5ElNS0_10empty_typeEbEEZZNS1_14partition_implILS5_5ELb0ES3_mN6hipcub16HIPCUB_304000_NS21CountingInputIteratorIllEEPS6_NSA_22TransformInputIteratorIb7NonZeroIaEPalEENS0_5tupleIJPlS6_EEENSJ_IJSD_SD_EEES6_SK_JS6_EEE10hipError_tPvRmT3_T4_T5_T6_T7_T9_mT8_P12ihipStream_tbDpT10_ENKUlT_T0_E_clISt17integral_constantIbLb0EES15_IbLb1EEEEDaS11_S12_EUlS11_E_NS1_11comp_targetILNS1_3genE2ELNS1_11target_archE906ELNS1_3gpuE6ELNS1_3repE0EEENS1_30default_config_static_selectorELNS0_4arch9wavefront6targetE1EEEvT1_
    .private_segment_fixed_size: 0
    .sgpr_count:     6
    .sgpr_spill_count: 0
    .symbol:         _ZN7rocprim17ROCPRIM_400000_NS6detail17trampoline_kernelINS0_14default_configENS1_25partition_config_selectorILNS1_17partition_subalgoE5ElNS0_10empty_typeEbEEZZNS1_14partition_implILS5_5ELb0ES3_mN6hipcub16HIPCUB_304000_NS21CountingInputIteratorIllEEPS6_NSA_22TransformInputIteratorIb7NonZeroIaEPalEENS0_5tupleIJPlS6_EEENSJ_IJSD_SD_EEES6_SK_JS6_EEE10hipError_tPvRmT3_T4_T5_T6_T7_T9_mT8_P12ihipStream_tbDpT10_ENKUlT_T0_E_clISt17integral_constantIbLb0EES15_IbLb1EEEEDaS11_S12_EUlS11_E_NS1_11comp_targetILNS1_3genE2ELNS1_11target_archE906ELNS1_3gpuE6ELNS1_3repE0EEENS1_30default_config_static_selectorELNS0_4arch9wavefront6targetE1EEEvT1_.kd
    .uniform_work_group_size: 1
    .uses_dynamic_stack: false
    .vgpr_count:     0
    .vgpr_spill_count: 0
    .wavefront_size: 64
  - .agpr_count:     0
    .args:
      - .offset:         0
        .size:           136
        .value_kind:     by_value
    .group_segment_fixed_size: 0
    .kernarg_segment_align: 8
    .kernarg_segment_size: 136
    .language:       OpenCL C
    .language_version:
      - 2
      - 0
    .max_flat_workgroup_size: 256
    .name:           _ZN7rocprim17ROCPRIM_400000_NS6detail17trampoline_kernelINS0_14default_configENS1_25partition_config_selectorILNS1_17partition_subalgoE5ElNS0_10empty_typeEbEEZZNS1_14partition_implILS5_5ELb0ES3_mN6hipcub16HIPCUB_304000_NS21CountingInputIteratorIllEEPS6_NSA_22TransformInputIteratorIb7NonZeroIaEPalEENS0_5tupleIJPlS6_EEENSJ_IJSD_SD_EEES6_SK_JS6_EEE10hipError_tPvRmT3_T4_T5_T6_T7_T9_mT8_P12ihipStream_tbDpT10_ENKUlT_T0_E_clISt17integral_constantIbLb0EES15_IbLb1EEEEDaS11_S12_EUlS11_E_NS1_11comp_targetILNS1_3genE10ELNS1_11target_archE1200ELNS1_3gpuE4ELNS1_3repE0EEENS1_30default_config_static_selectorELNS0_4arch9wavefront6targetE1EEEvT1_
    .private_segment_fixed_size: 0
    .sgpr_count:     6
    .sgpr_spill_count: 0
    .symbol:         _ZN7rocprim17ROCPRIM_400000_NS6detail17trampoline_kernelINS0_14default_configENS1_25partition_config_selectorILNS1_17partition_subalgoE5ElNS0_10empty_typeEbEEZZNS1_14partition_implILS5_5ELb0ES3_mN6hipcub16HIPCUB_304000_NS21CountingInputIteratorIllEEPS6_NSA_22TransformInputIteratorIb7NonZeroIaEPalEENS0_5tupleIJPlS6_EEENSJ_IJSD_SD_EEES6_SK_JS6_EEE10hipError_tPvRmT3_T4_T5_T6_T7_T9_mT8_P12ihipStream_tbDpT10_ENKUlT_T0_E_clISt17integral_constantIbLb0EES15_IbLb1EEEEDaS11_S12_EUlS11_E_NS1_11comp_targetILNS1_3genE10ELNS1_11target_archE1200ELNS1_3gpuE4ELNS1_3repE0EEENS1_30default_config_static_selectorELNS0_4arch9wavefront6targetE1EEEvT1_.kd
    .uniform_work_group_size: 1
    .uses_dynamic_stack: false
    .vgpr_count:     0
    .vgpr_spill_count: 0
    .wavefront_size: 64
  - .agpr_count:     0
    .args:
      - .offset:         0
        .size:           136
        .value_kind:     by_value
    .group_segment_fixed_size: 0
    .kernarg_segment_align: 8
    .kernarg_segment_size: 136
    .language:       OpenCL C
    .language_version:
      - 2
      - 0
    .max_flat_workgroup_size: 128
    .name:           _ZN7rocprim17ROCPRIM_400000_NS6detail17trampoline_kernelINS0_14default_configENS1_25partition_config_selectorILNS1_17partition_subalgoE5ElNS0_10empty_typeEbEEZZNS1_14partition_implILS5_5ELb0ES3_mN6hipcub16HIPCUB_304000_NS21CountingInputIteratorIllEEPS6_NSA_22TransformInputIteratorIb7NonZeroIaEPalEENS0_5tupleIJPlS6_EEENSJ_IJSD_SD_EEES6_SK_JS6_EEE10hipError_tPvRmT3_T4_T5_T6_T7_T9_mT8_P12ihipStream_tbDpT10_ENKUlT_T0_E_clISt17integral_constantIbLb0EES15_IbLb1EEEEDaS11_S12_EUlS11_E_NS1_11comp_targetILNS1_3genE9ELNS1_11target_archE1100ELNS1_3gpuE3ELNS1_3repE0EEENS1_30default_config_static_selectorELNS0_4arch9wavefront6targetE1EEEvT1_
    .private_segment_fixed_size: 0
    .sgpr_count:     6
    .sgpr_spill_count: 0
    .symbol:         _ZN7rocprim17ROCPRIM_400000_NS6detail17trampoline_kernelINS0_14default_configENS1_25partition_config_selectorILNS1_17partition_subalgoE5ElNS0_10empty_typeEbEEZZNS1_14partition_implILS5_5ELb0ES3_mN6hipcub16HIPCUB_304000_NS21CountingInputIteratorIllEEPS6_NSA_22TransformInputIteratorIb7NonZeroIaEPalEENS0_5tupleIJPlS6_EEENSJ_IJSD_SD_EEES6_SK_JS6_EEE10hipError_tPvRmT3_T4_T5_T6_T7_T9_mT8_P12ihipStream_tbDpT10_ENKUlT_T0_E_clISt17integral_constantIbLb0EES15_IbLb1EEEEDaS11_S12_EUlS11_E_NS1_11comp_targetILNS1_3genE9ELNS1_11target_archE1100ELNS1_3gpuE3ELNS1_3repE0EEENS1_30default_config_static_selectorELNS0_4arch9wavefront6targetE1EEEvT1_.kd
    .uniform_work_group_size: 1
    .uses_dynamic_stack: false
    .vgpr_count:     0
    .vgpr_spill_count: 0
    .wavefront_size: 64
  - .agpr_count:     0
    .args:
      - .offset:         0
        .size:           136
        .value_kind:     by_value
    .group_segment_fixed_size: 0
    .kernarg_segment_align: 8
    .kernarg_segment_size: 136
    .language:       OpenCL C
    .language_version:
      - 2
      - 0
    .max_flat_workgroup_size: 512
    .name:           _ZN7rocprim17ROCPRIM_400000_NS6detail17trampoline_kernelINS0_14default_configENS1_25partition_config_selectorILNS1_17partition_subalgoE5ElNS0_10empty_typeEbEEZZNS1_14partition_implILS5_5ELb0ES3_mN6hipcub16HIPCUB_304000_NS21CountingInputIteratorIllEEPS6_NSA_22TransformInputIteratorIb7NonZeroIaEPalEENS0_5tupleIJPlS6_EEENSJ_IJSD_SD_EEES6_SK_JS6_EEE10hipError_tPvRmT3_T4_T5_T6_T7_T9_mT8_P12ihipStream_tbDpT10_ENKUlT_T0_E_clISt17integral_constantIbLb0EES15_IbLb1EEEEDaS11_S12_EUlS11_E_NS1_11comp_targetILNS1_3genE8ELNS1_11target_archE1030ELNS1_3gpuE2ELNS1_3repE0EEENS1_30default_config_static_selectorELNS0_4arch9wavefront6targetE1EEEvT1_
    .private_segment_fixed_size: 0
    .sgpr_count:     6
    .sgpr_spill_count: 0
    .symbol:         _ZN7rocprim17ROCPRIM_400000_NS6detail17trampoline_kernelINS0_14default_configENS1_25partition_config_selectorILNS1_17partition_subalgoE5ElNS0_10empty_typeEbEEZZNS1_14partition_implILS5_5ELb0ES3_mN6hipcub16HIPCUB_304000_NS21CountingInputIteratorIllEEPS6_NSA_22TransformInputIteratorIb7NonZeroIaEPalEENS0_5tupleIJPlS6_EEENSJ_IJSD_SD_EEES6_SK_JS6_EEE10hipError_tPvRmT3_T4_T5_T6_T7_T9_mT8_P12ihipStream_tbDpT10_ENKUlT_T0_E_clISt17integral_constantIbLb0EES15_IbLb1EEEEDaS11_S12_EUlS11_E_NS1_11comp_targetILNS1_3genE8ELNS1_11target_archE1030ELNS1_3gpuE2ELNS1_3repE0EEENS1_30default_config_static_selectorELNS0_4arch9wavefront6targetE1EEEvT1_.kd
    .uniform_work_group_size: 1
    .uses_dynamic_stack: false
    .vgpr_count:     0
    .vgpr_spill_count: 0
    .wavefront_size: 64
  - .agpr_count:     0
    .args:
      - .address_space:  global
        .offset:         0
        .size:           8
        .value_kind:     global_buffer
      - .offset:         8
        .size:           16
        .value_kind:     by_value
      - .offset:         24
        .size:           4
        .value_kind:     by_value
      - .offset:         32
        .size:           8
        .value_kind:     by_value
      - .offset:         40
        .size:           4
        .value_kind:     hidden_block_count_x
      - .offset:         44
        .size:           4
        .value_kind:     hidden_block_count_y
      - .offset:         48
        .size:           4
        .value_kind:     hidden_block_count_z
      - .offset:         52
        .size:           2
        .value_kind:     hidden_group_size_x
      - .offset:         54
        .size:           2
        .value_kind:     hidden_group_size_y
      - .offset:         56
        .size:           2
        .value_kind:     hidden_group_size_z
      - .offset:         58
        .size:           2
        .value_kind:     hidden_remainder_x
      - .offset:         60
        .size:           2
        .value_kind:     hidden_remainder_y
      - .offset:         62
        .size:           2
        .value_kind:     hidden_remainder_z
      - .offset:         80
        .size:           8
        .value_kind:     hidden_global_offset_x
      - .offset:         88
        .size:           8
        .value_kind:     hidden_global_offset_y
      - .offset:         96
        .size:           8
        .value_kind:     hidden_global_offset_z
      - .offset:         104
        .size:           2
        .value_kind:     hidden_grid_dims
    .group_segment_fixed_size: 0
    .kernarg_segment_align: 8
    .kernarg_segment_size: 296
    .language:       OpenCL C
    .language_version:
      - 2
      - 0
    .max_flat_workgroup_size: 1024
    .name:           _Z13write_indicesIlEvPl10TensorDimsIT_EiS2_
    .private_segment_fixed_size: 0
    .sgpr_count:     30
    .sgpr_spill_count: 0
    .symbol:         _Z13write_indicesIlEvPl10TensorDimsIT_EiS2_.kd
    .uniform_work_group_size: 1
    .uses_dynamic_stack: false
    .vgpr_count:     15
    .vgpr_spill_count: 0
    .wavefront_size: 64
  - .agpr_count:     0
    .args:
      - .offset:         0
        .size:           64
        .value_kind:     by_value
    .group_segment_fixed_size: 64
    .kernarg_segment_align: 8
    .kernarg_segment_size: 64
    .language:       OpenCL C
    .language_version:
      - 2
      - 0
    .max_flat_workgroup_size: 256
    .name:           _ZN7rocprim17ROCPRIM_400000_NS6detail17trampoline_kernelINS0_14default_configENS1_22reduce_config_selectorIlEEZNS1_11reduce_implILb1ES3_PlS7_lN6hipcub16HIPCUB_304000_NS6detail34convert_binary_result_type_wrapperINS9_3SumENS9_22TransformInputIteratorIb7NonZeroIsEPslEElEEEE10hipError_tPvRmT1_T2_T3_mT4_P12ihipStream_tbEUlT_E0_NS1_11comp_targetILNS1_3genE0ELNS1_11target_archE4294967295ELNS1_3gpuE0ELNS1_3repE0EEENS1_30default_config_static_selectorELNS0_4arch9wavefront6targetE1EEEvSM_
    .private_segment_fixed_size: 0
    .sgpr_count:     54
    .sgpr_spill_count: 0
    .symbol:         _ZN7rocprim17ROCPRIM_400000_NS6detail17trampoline_kernelINS0_14default_configENS1_22reduce_config_selectorIlEEZNS1_11reduce_implILb1ES3_PlS7_lN6hipcub16HIPCUB_304000_NS6detail34convert_binary_result_type_wrapperINS9_3SumENS9_22TransformInputIteratorIb7NonZeroIsEPslEElEEEE10hipError_tPvRmT1_T2_T3_mT4_P12ihipStream_tbEUlT_E0_NS1_11comp_targetILNS1_3genE0ELNS1_11target_archE4294967295ELNS1_3gpuE0ELNS1_3repE0EEENS1_30default_config_static_selectorELNS0_4arch9wavefront6targetE1EEEvSM_.kd
    .uniform_work_group_size: 1
    .uses_dynamic_stack: false
    .vgpr_count:     68
    .vgpr_spill_count: 0
    .wavefront_size: 64
  - .agpr_count:     0
    .args:
      - .offset:         0
        .size:           64
        .value_kind:     by_value
    .group_segment_fixed_size: 0
    .kernarg_segment_align: 8
    .kernarg_segment_size: 64
    .language:       OpenCL C
    .language_version:
      - 2
      - 0
    .max_flat_workgroup_size: 256
    .name:           _ZN7rocprim17ROCPRIM_400000_NS6detail17trampoline_kernelINS0_14default_configENS1_22reduce_config_selectorIlEEZNS1_11reduce_implILb1ES3_PlS7_lN6hipcub16HIPCUB_304000_NS6detail34convert_binary_result_type_wrapperINS9_3SumENS9_22TransformInputIteratorIb7NonZeroIsEPslEElEEEE10hipError_tPvRmT1_T2_T3_mT4_P12ihipStream_tbEUlT_E0_NS1_11comp_targetILNS1_3genE5ELNS1_11target_archE942ELNS1_3gpuE9ELNS1_3repE0EEENS1_30default_config_static_selectorELNS0_4arch9wavefront6targetE1EEEvSM_
    .private_segment_fixed_size: 0
    .sgpr_count:     6
    .sgpr_spill_count: 0
    .symbol:         _ZN7rocprim17ROCPRIM_400000_NS6detail17trampoline_kernelINS0_14default_configENS1_22reduce_config_selectorIlEEZNS1_11reduce_implILb1ES3_PlS7_lN6hipcub16HIPCUB_304000_NS6detail34convert_binary_result_type_wrapperINS9_3SumENS9_22TransformInputIteratorIb7NonZeroIsEPslEElEEEE10hipError_tPvRmT1_T2_T3_mT4_P12ihipStream_tbEUlT_E0_NS1_11comp_targetILNS1_3genE5ELNS1_11target_archE942ELNS1_3gpuE9ELNS1_3repE0EEENS1_30default_config_static_selectorELNS0_4arch9wavefront6targetE1EEEvSM_.kd
    .uniform_work_group_size: 1
    .uses_dynamic_stack: false
    .vgpr_count:     0
    .vgpr_spill_count: 0
    .wavefront_size: 64
  - .agpr_count:     0
    .args:
      - .offset:         0
        .size:           64
        .value_kind:     by_value
    .group_segment_fixed_size: 0
    .kernarg_segment_align: 8
    .kernarg_segment_size: 64
    .language:       OpenCL C
    .language_version:
      - 2
      - 0
    .max_flat_workgroup_size: 256
    .name:           _ZN7rocprim17ROCPRIM_400000_NS6detail17trampoline_kernelINS0_14default_configENS1_22reduce_config_selectorIlEEZNS1_11reduce_implILb1ES3_PlS7_lN6hipcub16HIPCUB_304000_NS6detail34convert_binary_result_type_wrapperINS9_3SumENS9_22TransformInputIteratorIb7NonZeroIsEPslEElEEEE10hipError_tPvRmT1_T2_T3_mT4_P12ihipStream_tbEUlT_E0_NS1_11comp_targetILNS1_3genE4ELNS1_11target_archE910ELNS1_3gpuE8ELNS1_3repE0EEENS1_30default_config_static_selectorELNS0_4arch9wavefront6targetE1EEEvSM_
    .private_segment_fixed_size: 0
    .sgpr_count:     6
    .sgpr_spill_count: 0
    .symbol:         _ZN7rocprim17ROCPRIM_400000_NS6detail17trampoline_kernelINS0_14default_configENS1_22reduce_config_selectorIlEEZNS1_11reduce_implILb1ES3_PlS7_lN6hipcub16HIPCUB_304000_NS6detail34convert_binary_result_type_wrapperINS9_3SumENS9_22TransformInputIteratorIb7NonZeroIsEPslEElEEEE10hipError_tPvRmT1_T2_T3_mT4_P12ihipStream_tbEUlT_E0_NS1_11comp_targetILNS1_3genE4ELNS1_11target_archE910ELNS1_3gpuE8ELNS1_3repE0EEENS1_30default_config_static_selectorELNS0_4arch9wavefront6targetE1EEEvSM_.kd
    .uniform_work_group_size: 1
    .uses_dynamic_stack: false
    .vgpr_count:     0
    .vgpr_spill_count: 0
    .wavefront_size: 64
  - .agpr_count:     0
    .args:
      - .offset:         0
        .size:           64
        .value_kind:     by_value
    .group_segment_fixed_size: 0
    .kernarg_segment_align: 8
    .kernarg_segment_size: 64
    .language:       OpenCL C
    .language_version:
      - 2
      - 0
    .max_flat_workgroup_size: 256
    .name:           _ZN7rocprim17ROCPRIM_400000_NS6detail17trampoline_kernelINS0_14default_configENS1_22reduce_config_selectorIlEEZNS1_11reduce_implILb1ES3_PlS7_lN6hipcub16HIPCUB_304000_NS6detail34convert_binary_result_type_wrapperINS9_3SumENS9_22TransformInputIteratorIb7NonZeroIsEPslEElEEEE10hipError_tPvRmT1_T2_T3_mT4_P12ihipStream_tbEUlT_E0_NS1_11comp_targetILNS1_3genE3ELNS1_11target_archE908ELNS1_3gpuE7ELNS1_3repE0EEENS1_30default_config_static_selectorELNS0_4arch9wavefront6targetE1EEEvSM_
    .private_segment_fixed_size: 0
    .sgpr_count:     6
    .sgpr_spill_count: 0
    .symbol:         _ZN7rocprim17ROCPRIM_400000_NS6detail17trampoline_kernelINS0_14default_configENS1_22reduce_config_selectorIlEEZNS1_11reduce_implILb1ES3_PlS7_lN6hipcub16HIPCUB_304000_NS6detail34convert_binary_result_type_wrapperINS9_3SumENS9_22TransformInputIteratorIb7NonZeroIsEPslEElEEEE10hipError_tPvRmT1_T2_T3_mT4_P12ihipStream_tbEUlT_E0_NS1_11comp_targetILNS1_3genE3ELNS1_11target_archE908ELNS1_3gpuE7ELNS1_3repE0EEENS1_30default_config_static_selectorELNS0_4arch9wavefront6targetE1EEEvSM_.kd
    .uniform_work_group_size: 1
    .uses_dynamic_stack: false
    .vgpr_count:     0
    .vgpr_spill_count: 0
    .wavefront_size: 64
  - .agpr_count:     0
    .args:
      - .offset:         0
        .size:           64
        .value_kind:     by_value
    .group_segment_fixed_size: 0
    .kernarg_segment_align: 8
    .kernarg_segment_size: 64
    .language:       OpenCL C
    .language_version:
      - 2
      - 0
    .max_flat_workgroup_size: 256
    .name:           _ZN7rocprim17ROCPRIM_400000_NS6detail17trampoline_kernelINS0_14default_configENS1_22reduce_config_selectorIlEEZNS1_11reduce_implILb1ES3_PlS7_lN6hipcub16HIPCUB_304000_NS6detail34convert_binary_result_type_wrapperINS9_3SumENS9_22TransformInputIteratorIb7NonZeroIsEPslEElEEEE10hipError_tPvRmT1_T2_T3_mT4_P12ihipStream_tbEUlT_E0_NS1_11comp_targetILNS1_3genE2ELNS1_11target_archE906ELNS1_3gpuE6ELNS1_3repE0EEENS1_30default_config_static_selectorELNS0_4arch9wavefront6targetE1EEEvSM_
    .private_segment_fixed_size: 0
    .sgpr_count:     6
    .sgpr_spill_count: 0
    .symbol:         _ZN7rocprim17ROCPRIM_400000_NS6detail17trampoline_kernelINS0_14default_configENS1_22reduce_config_selectorIlEEZNS1_11reduce_implILb1ES3_PlS7_lN6hipcub16HIPCUB_304000_NS6detail34convert_binary_result_type_wrapperINS9_3SumENS9_22TransformInputIteratorIb7NonZeroIsEPslEElEEEE10hipError_tPvRmT1_T2_T3_mT4_P12ihipStream_tbEUlT_E0_NS1_11comp_targetILNS1_3genE2ELNS1_11target_archE906ELNS1_3gpuE6ELNS1_3repE0EEENS1_30default_config_static_selectorELNS0_4arch9wavefront6targetE1EEEvSM_.kd
    .uniform_work_group_size: 1
    .uses_dynamic_stack: false
    .vgpr_count:     0
    .vgpr_spill_count: 0
    .wavefront_size: 64
  - .agpr_count:     0
    .args:
      - .offset:         0
        .size:           64
        .value_kind:     by_value
    .group_segment_fixed_size: 0
    .kernarg_segment_align: 8
    .kernarg_segment_size: 64
    .language:       OpenCL C
    .language_version:
      - 2
      - 0
    .max_flat_workgroup_size: 256
    .name:           _ZN7rocprim17ROCPRIM_400000_NS6detail17trampoline_kernelINS0_14default_configENS1_22reduce_config_selectorIlEEZNS1_11reduce_implILb1ES3_PlS7_lN6hipcub16HIPCUB_304000_NS6detail34convert_binary_result_type_wrapperINS9_3SumENS9_22TransformInputIteratorIb7NonZeroIsEPslEElEEEE10hipError_tPvRmT1_T2_T3_mT4_P12ihipStream_tbEUlT_E0_NS1_11comp_targetILNS1_3genE10ELNS1_11target_archE1201ELNS1_3gpuE5ELNS1_3repE0EEENS1_30default_config_static_selectorELNS0_4arch9wavefront6targetE1EEEvSM_
    .private_segment_fixed_size: 0
    .sgpr_count:     6
    .sgpr_spill_count: 0
    .symbol:         _ZN7rocprim17ROCPRIM_400000_NS6detail17trampoline_kernelINS0_14default_configENS1_22reduce_config_selectorIlEEZNS1_11reduce_implILb1ES3_PlS7_lN6hipcub16HIPCUB_304000_NS6detail34convert_binary_result_type_wrapperINS9_3SumENS9_22TransformInputIteratorIb7NonZeroIsEPslEElEEEE10hipError_tPvRmT1_T2_T3_mT4_P12ihipStream_tbEUlT_E0_NS1_11comp_targetILNS1_3genE10ELNS1_11target_archE1201ELNS1_3gpuE5ELNS1_3repE0EEENS1_30default_config_static_selectorELNS0_4arch9wavefront6targetE1EEEvSM_.kd
    .uniform_work_group_size: 1
    .uses_dynamic_stack: false
    .vgpr_count:     0
    .vgpr_spill_count: 0
    .wavefront_size: 64
  - .agpr_count:     0
    .args:
      - .offset:         0
        .size:           64
        .value_kind:     by_value
    .group_segment_fixed_size: 0
    .kernarg_segment_align: 8
    .kernarg_segment_size: 64
    .language:       OpenCL C
    .language_version:
      - 2
      - 0
    .max_flat_workgroup_size: 256
    .name:           _ZN7rocprim17ROCPRIM_400000_NS6detail17trampoline_kernelINS0_14default_configENS1_22reduce_config_selectorIlEEZNS1_11reduce_implILb1ES3_PlS7_lN6hipcub16HIPCUB_304000_NS6detail34convert_binary_result_type_wrapperINS9_3SumENS9_22TransformInputIteratorIb7NonZeroIsEPslEElEEEE10hipError_tPvRmT1_T2_T3_mT4_P12ihipStream_tbEUlT_E0_NS1_11comp_targetILNS1_3genE10ELNS1_11target_archE1200ELNS1_3gpuE4ELNS1_3repE0EEENS1_30default_config_static_selectorELNS0_4arch9wavefront6targetE1EEEvSM_
    .private_segment_fixed_size: 0
    .sgpr_count:     6
    .sgpr_spill_count: 0
    .symbol:         _ZN7rocprim17ROCPRIM_400000_NS6detail17trampoline_kernelINS0_14default_configENS1_22reduce_config_selectorIlEEZNS1_11reduce_implILb1ES3_PlS7_lN6hipcub16HIPCUB_304000_NS6detail34convert_binary_result_type_wrapperINS9_3SumENS9_22TransformInputIteratorIb7NonZeroIsEPslEElEEEE10hipError_tPvRmT1_T2_T3_mT4_P12ihipStream_tbEUlT_E0_NS1_11comp_targetILNS1_3genE10ELNS1_11target_archE1200ELNS1_3gpuE4ELNS1_3repE0EEENS1_30default_config_static_selectorELNS0_4arch9wavefront6targetE1EEEvSM_.kd
    .uniform_work_group_size: 1
    .uses_dynamic_stack: false
    .vgpr_count:     0
    .vgpr_spill_count: 0
    .wavefront_size: 64
  - .agpr_count:     0
    .args:
      - .offset:         0
        .size:           64
        .value_kind:     by_value
    .group_segment_fixed_size: 0
    .kernarg_segment_align: 8
    .kernarg_segment_size: 64
    .language:       OpenCL C
    .language_version:
      - 2
      - 0
    .max_flat_workgroup_size: 256
    .name:           _ZN7rocprim17ROCPRIM_400000_NS6detail17trampoline_kernelINS0_14default_configENS1_22reduce_config_selectorIlEEZNS1_11reduce_implILb1ES3_PlS7_lN6hipcub16HIPCUB_304000_NS6detail34convert_binary_result_type_wrapperINS9_3SumENS9_22TransformInputIteratorIb7NonZeroIsEPslEElEEEE10hipError_tPvRmT1_T2_T3_mT4_P12ihipStream_tbEUlT_E0_NS1_11comp_targetILNS1_3genE9ELNS1_11target_archE1100ELNS1_3gpuE3ELNS1_3repE0EEENS1_30default_config_static_selectorELNS0_4arch9wavefront6targetE1EEEvSM_
    .private_segment_fixed_size: 0
    .sgpr_count:     6
    .sgpr_spill_count: 0
    .symbol:         _ZN7rocprim17ROCPRIM_400000_NS6detail17trampoline_kernelINS0_14default_configENS1_22reduce_config_selectorIlEEZNS1_11reduce_implILb1ES3_PlS7_lN6hipcub16HIPCUB_304000_NS6detail34convert_binary_result_type_wrapperINS9_3SumENS9_22TransformInputIteratorIb7NonZeroIsEPslEElEEEE10hipError_tPvRmT1_T2_T3_mT4_P12ihipStream_tbEUlT_E0_NS1_11comp_targetILNS1_3genE9ELNS1_11target_archE1100ELNS1_3gpuE3ELNS1_3repE0EEENS1_30default_config_static_selectorELNS0_4arch9wavefront6targetE1EEEvSM_.kd
    .uniform_work_group_size: 1
    .uses_dynamic_stack: false
    .vgpr_count:     0
    .vgpr_spill_count: 0
    .wavefront_size: 64
  - .agpr_count:     0
    .args:
      - .offset:         0
        .size:           64
        .value_kind:     by_value
    .group_segment_fixed_size: 0
    .kernarg_segment_align: 8
    .kernarg_segment_size: 64
    .language:       OpenCL C
    .language_version:
      - 2
      - 0
    .max_flat_workgroup_size: 256
    .name:           _ZN7rocprim17ROCPRIM_400000_NS6detail17trampoline_kernelINS0_14default_configENS1_22reduce_config_selectorIlEEZNS1_11reduce_implILb1ES3_PlS7_lN6hipcub16HIPCUB_304000_NS6detail34convert_binary_result_type_wrapperINS9_3SumENS9_22TransformInputIteratorIb7NonZeroIsEPslEElEEEE10hipError_tPvRmT1_T2_T3_mT4_P12ihipStream_tbEUlT_E0_NS1_11comp_targetILNS1_3genE8ELNS1_11target_archE1030ELNS1_3gpuE2ELNS1_3repE0EEENS1_30default_config_static_selectorELNS0_4arch9wavefront6targetE1EEEvSM_
    .private_segment_fixed_size: 0
    .sgpr_count:     6
    .sgpr_spill_count: 0
    .symbol:         _ZN7rocprim17ROCPRIM_400000_NS6detail17trampoline_kernelINS0_14default_configENS1_22reduce_config_selectorIlEEZNS1_11reduce_implILb1ES3_PlS7_lN6hipcub16HIPCUB_304000_NS6detail34convert_binary_result_type_wrapperINS9_3SumENS9_22TransformInputIteratorIb7NonZeroIsEPslEElEEEE10hipError_tPvRmT1_T2_T3_mT4_P12ihipStream_tbEUlT_E0_NS1_11comp_targetILNS1_3genE8ELNS1_11target_archE1030ELNS1_3gpuE2ELNS1_3repE0EEENS1_30default_config_static_selectorELNS0_4arch9wavefront6targetE1EEEvSM_.kd
    .uniform_work_group_size: 1
    .uses_dynamic_stack: false
    .vgpr_count:     0
    .vgpr_spill_count: 0
    .wavefront_size: 64
  - .agpr_count:     0
    .args:
      - .offset:         0
        .size:           48
        .value_kind:     by_value
    .group_segment_fixed_size: 192
    .kernarg_segment_align: 8
    .kernarg_segment_size: 48
    .language:       OpenCL C
    .language_version:
      - 2
      - 0
    .max_flat_workgroup_size: 256
    .name:           _ZN7rocprim17ROCPRIM_400000_NS6detail17trampoline_kernelINS0_14default_configENS1_22reduce_config_selectorIlEEZNS1_11reduce_implILb1ES3_PlS7_lN6hipcub16HIPCUB_304000_NS6detail34convert_binary_result_type_wrapperINS9_3SumENS9_22TransformInputIteratorIb7NonZeroIsEPslEElEEEE10hipError_tPvRmT1_T2_T3_mT4_P12ihipStream_tbEUlT_E1_NS1_11comp_targetILNS1_3genE0ELNS1_11target_archE4294967295ELNS1_3gpuE0ELNS1_3repE0EEENS1_30default_config_static_selectorELNS0_4arch9wavefront6targetE1EEEvSM_
    .private_segment_fixed_size: 0
    .sgpr_count:     53
    .sgpr_spill_count: 0
    .symbol:         _ZN7rocprim17ROCPRIM_400000_NS6detail17trampoline_kernelINS0_14default_configENS1_22reduce_config_selectorIlEEZNS1_11reduce_implILb1ES3_PlS7_lN6hipcub16HIPCUB_304000_NS6detail34convert_binary_result_type_wrapperINS9_3SumENS9_22TransformInputIteratorIb7NonZeroIsEPslEElEEEE10hipError_tPvRmT1_T2_T3_mT4_P12ihipStream_tbEUlT_E1_NS1_11comp_targetILNS1_3genE0ELNS1_11target_archE4294967295ELNS1_3gpuE0ELNS1_3repE0EEENS1_30default_config_static_selectorELNS0_4arch9wavefront6targetE1EEEvSM_.kd
    .uniform_work_group_size: 1
    .uses_dynamic_stack: false
    .vgpr_count:     48
    .vgpr_spill_count: 0
    .wavefront_size: 64
  - .agpr_count:     0
    .args:
      - .offset:         0
        .size:           48
        .value_kind:     by_value
    .group_segment_fixed_size: 0
    .kernarg_segment_align: 8
    .kernarg_segment_size: 48
    .language:       OpenCL C
    .language_version:
      - 2
      - 0
    .max_flat_workgroup_size: 256
    .name:           _ZN7rocprim17ROCPRIM_400000_NS6detail17trampoline_kernelINS0_14default_configENS1_22reduce_config_selectorIlEEZNS1_11reduce_implILb1ES3_PlS7_lN6hipcub16HIPCUB_304000_NS6detail34convert_binary_result_type_wrapperINS9_3SumENS9_22TransformInputIteratorIb7NonZeroIsEPslEElEEEE10hipError_tPvRmT1_T2_T3_mT4_P12ihipStream_tbEUlT_E1_NS1_11comp_targetILNS1_3genE5ELNS1_11target_archE942ELNS1_3gpuE9ELNS1_3repE0EEENS1_30default_config_static_selectorELNS0_4arch9wavefront6targetE1EEEvSM_
    .private_segment_fixed_size: 0
    .sgpr_count:     6
    .sgpr_spill_count: 0
    .symbol:         _ZN7rocprim17ROCPRIM_400000_NS6detail17trampoline_kernelINS0_14default_configENS1_22reduce_config_selectorIlEEZNS1_11reduce_implILb1ES3_PlS7_lN6hipcub16HIPCUB_304000_NS6detail34convert_binary_result_type_wrapperINS9_3SumENS9_22TransformInputIteratorIb7NonZeroIsEPslEElEEEE10hipError_tPvRmT1_T2_T3_mT4_P12ihipStream_tbEUlT_E1_NS1_11comp_targetILNS1_3genE5ELNS1_11target_archE942ELNS1_3gpuE9ELNS1_3repE0EEENS1_30default_config_static_selectorELNS0_4arch9wavefront6targetE1EEEvSM_.kd
    .uniform_work_group_size: 1
    .uses_dynamic_stack: false
    .vgpr_count:     0
    .vgpr_spill_count: 0
    .wavefront_size: 64
  - .agpr_count:     0
    .args:
      - .offset:         0
        .size:           48
        .value_kind:     by_value
    .group_segment_fixed_size: 0
    .kernarg_segment_align: 8
    .kernarg_segment_size: 48
    .language:       OpenCL C
    .language_version:
      - 2
      - 0
    .max_flat_workgroup_size: 256
    .name:           _ZN7rocprim17ROCPRIM_400000_NS6detail17trampoline_kernelINS0_14default_configENS1_22reduce_config_selectorIlEEZNS1_11reduce_implILb1ES3_PlS7_lN6hipcub16HIPCUB_304000_NS6detail34convert_binary_result_type_wrapperINS9_3SumENS9_22TransformInputIteratorIb7NonZeroIsEPslEElEEEE10hipError_tPvRmT1_T2_T3_mT4_P12ihipStream_tbEUlT_E1_NS1_11comp_targetILNS1_3genE4ELNS1_11target_archE910ELNS1_3gpuE8ELNS1_3repE0EEENS1_30default_config_static_selectorELNS0_4arch9wavefront6targetE1EEEvSM_
    .private_segment_fixed_size: 0
    .sgpr_count:     6
    .sgpr_spill_count: 0
    .symbol:         _ZN7rocprim17ROCPRIM_400000_NS6detail17trampoline_kernelINS0_14default_configENS1_22reduce_config_selectorIlEEZNS1_11reduce_implILb1ES3_PlS7_lN6hipcub16HIPCUB_304000_NS6detail34convert_binary_result_type_wrapperINS9_3SumENS9_22TransformInputIteratorIb7NonZeroIsEPslEElEEEE10hipError_tPvRmT1_T2_T3_mT4_P12ihipStream_tbEUlT_E1_NS1_11comp_targetILNS1_3genE4ELNS1_11target_archE910ELNS1_3gpuE8ELNS1_3repE0EEENS1_30default_config_static_selectorELNS0_4arch9wavefront6targetE1EEEvSM_.kd
    .uniform_work_group_size: 1
    .uses_dynamic_stack: false
    .vgpr_count:     0
    .vgpr_spill_count: 0
    .wavefront_size: 64
  - .agpr_count:     0
    .args:
      - .offset:         0
        .size:           48
        .value_kind:     by_value
    .group_segment_fixed_size: 0
    .kernarg_segment_align: 8
    .kernarg_segment_size: 48
    .language:       OpenCL C
    .language_version:
      - 2
      - 0
    .max_flat_workgroup_size: 256
    .name:           _ZN7rocprim17ROCPRIM_400000_NS6detail17trampoline_kernelINS0_14default_configENS1_22reduce_config_selectorIlEEZNS1_11reduce_implILb1ES3_PlS7_lN6hipcub16HIPCUB_304000_NS6detail34convert_binary_result_type_wrapperINS9_3SumENS9_22TransformInputIteratorIb7NonZeroIsEPslEElEEEE10hipError_tPvRmT1_T2_T3_mT4_P12ihipStream_tbEUlT_E1_NS1_11comp_targetILNS1_3genE3ELNS1_11target_archE908ELNS1_3gpuE7ELNS1_3repE0EEENS1_30default_config_static_selectorELNS0_4arch9wavefront6targetE1EEEvSM_
    .private_segment_fixed_size: 0
    .sgpr_count:     6
    .sgpr_spill_count: 0
    .symbol:         _ZN7rocprim17ROCPRIM_400000_NS6detail17trampoline_kernelINS0_14default_configENS1_22reduce_config_selectorIlEEZNS1_11reduce_implILb1ES3_PlS7_lN6hipcub16HIPCUB_304000_NS6detail34convert_binary_result_type_wrapperINS9_3SumENS9_22TransformInputIteratorIb7NonZeroIsEPslEElEEEE10hipError_tPvRmT1_T2_T3_mT4_P12ihipStream_tbEUlT_E1_NS1_11comp_targetILNS1_3genE3ELNS1_11target_archE908ELNS1_3gpuE7ELNS1_3repE0EEENS1_30default_config_static_selectorELNS0_4arch9wavefront6targetE1EEEvSM_.kd
    .uniform_work_group_size: 1
    .uses_dynamic_stack: false
    .vgpr_count:     0
    .vgpr_spill_count: 0
    .wavefront_size: 64
  - .agpr_count:     0
    .args:
      - .offset:         0
        .size:           48
        .value_kind:     by_value
    .group_segment_fixed_size: 0
    .kernarg_segment_align: 8
    .kernarg_segment_size: 48
    .language:       OpenCL C
    .language_version:
      - 2
      - 0
    .max_flat_workgroup_size: 256
    .name:           _ZN7rocprim17ROCPRIM_400000_NS6detail17trampoline_kernelINS0_14default_configENS1_22reduce_config_selectorIlEEZNS1_11reduce_implILb1ES3_PlS7_lN6hipcub16HIPCUB_304000_NS6detail34convert_binary_result_type_wrapperINS9_3SumENS9_22TransformInputIteratorIb7NonZeroIsEPslEElEEEE10hipError_tPvRmT1_T2_T3_mT4_P12ihipStream_tbEUlT_E1_NS1_11comp_targetILNS1_3genE2ELNS1_11target_archE906ELNS1_3gpuE6ELNS1_3repE0EEENS1_30default_config_static_selectorELNS0_4arch9wavefront6targetE1EEEvSM_
    .private_segment_fixed_size: 0
    .sgpr_count:     6
    .sgpr_spill_count: 0
    .symbol:         _ZN7rocprim17ROCPRIM_400000_NS6detail17trampoline_kernelINS0_14default_configENS1_22reduce_config_selectorIlEEZNS1_11reduce_implILb1ES3_PlS7_lN6hipcub16HIPCUB_304000_NS6detail34convert_binary_result_type_wrapperINS9_3SumENS9_22TransformInputIteratorIb7NonZeroIsEPslEElEEEE10hipError_tPvRmT1_T2_T3_mT4_P12ihipStream_tbEUlT_E1_NS1_11comp_targetILNS1_3genE2ELNS1_11target_archE906ELNS1_3gpuE6ELNS1_3repE0EEENS1_30default_config_static_selectorELNS0_4arch9wavefront6targetE1EEEvSM_.kd
    .uniform_work_group_size: 1
    .uses_dynamic_stack: false
    .vgpr_count:     0
    .vgpr_spill_count: 0
    .wavefront_size: 64
  - .agpr_count:     0
    .args:
      - .offset:         0
        .size:           48
        .value_kind:     by_value
    .group_segment_fixed_size: 0
    .kernarg_segment_align: 8
    .kernarg_segment_size: 48
    .language:       OpenCL C
    .language_version:
      - 2
      - 0
    .max_flat_workgroup_size: 256
    .name:           _ZN7rocprim17ROCPRIM_400000_NS6detail17trampoline_kernelINS0_14default_configENS1_22reduce_config_selectorIlEEZNS1_11reduce_implILb1ES3_PlS7_lN6hipcub16HIPCUB_304000_NS6detail34convert_binary_result_type_wrapperINS9_3SumENS9_22TransformInputIteratorIb7NonZeroIsEPslEElEEEE10hipError_tPvRmT1_T2_T3_mT4_P12ihipStream_tbEUlT_E1_NS1_11comp_targetILNS1_3genE10ELNS1_11target_archE1201ELNS1_3gpuE5ELNS1_3repE0EEENS1_30default_config_static_selectorELNS0_4arch9wavefront6targetE1EEEvSM_
    .private_segment_fixed_size: 0
    .sgpr_count:     6
    .sgpr_spill_count: 0
    .symbol:         _ZN7rocprim17ROCPRIM_400000_NS6detail17trampoline_kernelINS0_14default_configENS1_22reduce_config_selectorIlEEZNS1_11reduce_implILb1ES3_PlS7_lN6hipcub16HIPCUB_304000_NS6detail34convert_binary_result_type_wrapperINS9_3SumENS9_22TransformInputIteratorIb7NonZeroIsEPslEElEEEE10hipError_tPvRmT1_T2_T3_mT4_P12ihipStream_tbEUlT_E1_NS1_11comp_targetILNS1_3genE10ELNS1_11target_archE1201ELNS1_3gpuE5ELNS1_3repE0EEENS1_30default_config_static_selectorELNS0_4arch9wavefront6targetE1EEEvSM_.kd
    .uniform_work_group_size: 1
    .uses_dynamic_stack: false
    .vgpr_count:     0
    .vgpr_spill_count: 0
    .wavefront_size: 64
  - .agpr_count:     0
    .args:
      - .offset:         0
        .size:           48
        .value_kind:     by_value
    .group_segment_fixed_size: 0
    .kernarg_segment_align: 8
    .kernarg_segment_size: 48
    .language:       OpenCL C
    .language_version:
      - 2
      - 0
    .max_flat_workgroup_size: 256
    .name:           _ZN7rocprim17ROCPRIM_400000_NS6detail17trampoline_kernelINS0_14default_configENS1_22reduce_config_selectorIlEEZNS1_11reduce_implILb1ES3_PlS7_lN6hipcub16HIPCUB_304000_NS6detail34convert_binary_result_type_wrapperINS9_3SumENS9_22TransformInputIteratorIb7NonZeroIsEPslEElEEEE10hipError_tPvRmT1_T2_T3_mT4_P12ihipStream_tbEUlT_E1_NS1_11comp_targetILNS1_3genE10ELNS1_11target_archE1200ELNS1_3gpuE4ELNS1_3repE0EEENS1_30default_config_static_selectorELNS0_4arch9wavefront6targetE1EEEvSM_
    .private_segment_fixed_size: 0
    .sgpr_count:     6
    .sgpr_spill_count: 0
    .symbol:         _ZN7rocprim17ROCPRIM_400000_NS6detail17trampoline_kernelINS0_14default_configENS1_22reduce_config_selectorIlEEZNS1_11reduce_implILb1ES3_PlS7_lN6hipcub16HIPCUB_304000_NS6detail34convert_binary_result_type_wrapperINS9_3SumENS9_22TransformInputIteratorIb7NonZeroIsEPslEElEEEE10hipError_tPvRmT1_T2_T3_mT4_P12ihipStream_tbEUlT_E1_NS1_11comp_targetILNS1_3genE10ELNS1_11target_archE1200ELNS1_3gpuE4ELNS1_3repE0EEENS1_30default_config_static_selectorELNS0_4arch9wavefront6targetE1EEEvSM_.kd
    .uniform_work_group_size: 1
    .uses_dynamic_stack: false
    .vgpr_count:     0
    .vgpr_spill_count: 0
    .wavefront_size: 64
  - .agpr_count:     0
    .args:
      - .offset:         0
        .size:           48
        .value_kind:     by_value
    .group_segment_fixed_size: 0
    .kernarg_segment_align: 8
    .kernarg_segment_size: 48
    .language:       OpenCL C
    .language_version:
      - 2
      - 0
    .max_flat_workgroup_size: 256
    .name:           _ZN7rocprim17ROCPRIM_400000_NS6detail17trampoline_kernelINS0_14default_configENS1_22reduce_config_selectorIlEEZNS1_11reduce_implILb1ES3_PlS7_lN6hipcub16HIPCUB_304000_NS6detail34convert_binary_result_type_wrapperINS9_3SumENS9_22TransformInputIteratorIb7NonZeroIsEPslEElEEEE10hipError_tPvRmT1_T2_T3_mT4_P12ihipStream_tbEUlT_E1_NS1_11comp_targetILNS1_3genE9ELNS1_11target_archE1100ELNS1_3gpuE3ELNS1_3repE0EEENS1_30default_config_static_selectorELNS0_4arch9wavefront6targetE1EEEvSM_
    .private_segment_fixed_size: 0
    .sgpr_count:     6
    .sgpr_spill_count: 0
    .symbol:         _ZN7rocprim17ROCPRIM_400000_NS6detail17trampoline_kernelINS0_14default_configENS1_22reduce_config_selectorIlEEZNS1_11reduce_implILb1ES3_PlS7_lN6hipcub16HIPCUB_304000_NS6detail34convert_binary_result_type_wrapperINS9_3SumENS9_22TransformInputIteratorIb7NonZeroIsEPslEElEEEE10hipError_tPvRmT1_T2_T3_mT4_P12ihipStream_tbEUlT_E1_NS1_11comp_targetILNS1_3genE9ELNS1_11target_archE1100ELNS1_3gpuE3ELNS1_3repE0EEENS1_30default_config_static_selectorELNS0_4arch9wavefront6targetE1EEEvSM_.kd
    .uniform_work_group_size: 1
    .uses_dynamic_stack: false
    .vgpr_count:     0
    .vgpr_spill_count: 0
    .wavefront_size: 64
  - .agpr_count:     0
    .args:
      - .offset:         0
        .size:           48
        .value_kind:     by_value
    .group_segment_fixed_size: 0
    .kernarg_segment_align: 8
    .kernarg_segment_size: 48
    .language:       OpenCL C
    .language_version:
      - 2
      - 0
    .max_flat_workgroup_size: 256
    .name:           _ZN7rocprim17ROCPRIM_400000_NS6detail17trampoline_kernelINS0_14default_configENS1_22reduce_config_selectorIlEEZNS1_11reduce_implILb1ES3_PlS7_lN6hipcub16HIPCUB_304000_NS6detail34convert_binary_result_type_wrapperINS9_3SumENS9_22TransformInputIteratorIb7NonZeroIsEPslEElEEEE10hipError_tPvRmT1_T2_T3_mT4_P12ihipStream_tbEUlT_E1_NS1_11comp_targetILNS1_3genE8ELNS1_11target_archE1030ELNS1_3gpuE2ELNS1_3repE0EEENS1_30default_config_static_selectorELNS0_4arch9wavefront6targetE1EEEvSM_
    .private_segment_fixed_size: 0
    .sgpr_count:     6
    .sgpr_spill_count: 0
    .symbol:         _ZN7rocprim17ROCPRIM_400000_NS6detail17trampoline_kernelINS0_14default_configENS1_22reduce_config_selectorIlEEZNS1_11reduce_implILb1ES3_PlS7_lN6hipcub16HIPCUB_304000_NS6detail34convert_binary_result_type_wrapperINS9_3SumENS9_22TransformInputIteratorIb7NonZeroIsEPslEElEEEE10hipError_tPvRmT1_T2_T3_mT4_P12ihipStream_tbEUlT_E1_NS1_11comp_targetILNS1_3genE8ELNS1_11target_archE1030ELNS1_3gpuE2ELNS1_3repE0EEENS1_30default_config_static_selectorELNS0_4arch9wavefront6targetE1EEEvSM_.kd
    .uniform_work_group_size: 1
    .uses_dynamic_stack: false
    .vgpr_count:     0
    .vgpr_spill_count: 0
    .wavefront_size: 64
  - .agpr_count:     0
    .args:
      - .offset:         0
        .size:           72
        .value_kind:     by_value
    .group_segment_fixed_size: 64
    .kernarg_segment_align: 8
    .kernarg_segment_size: 72
    .language:       OpenCL C
    .language_version:
      - 2
      - 0
    .max_flat_workgroup_size: 256
    .name:           _ZN7rocprim17ROCPRIM_400000_NS6detail17trampoline_kernelINS0_14default_configENS1_22reduce_config_selectorIbEEZNS1_11reduce_implILb1ES3_N6hipcub16HIPCUB_304000_NS22TransformInputIteratorIb7NonZeroIsEPslEEPllNS8_6detail34convert_binary_result_type_wrapperINS8_3SumESD_lEEEE10hipError_tPvRmT1_T2_T3_mT4_P12ihipStream_tbEUlT_E0_NS1_11comp_targetILNS1_3genE0ELNS1_11target_archE4294967295ELNS1_3gpuE0ELNS1_3repE0EEENS1_30default_config_static_selectorELNS0_4arch9wavefront6targetE1EEEvSM_
    .private_segment_fixed_size: 0
    .sgpr_count:     54
    .sgpr_spill_count: 0
    .symbol:         _ZN7rocprim17ROCPRIM_400000_NS6detail17trampoline_kernelINS0_14default_configENS1_22reduce_config_selectorIbEEZNS1_11reduce_implILb1ES3_N6hipcub16HIPCUB_304000_NS22TransformInputIteratorIb7NonZeroIsEPslEEPllNS8_6detail34convert_binary_result_type_wrapperINS8_3SumESD_lEEEE10hipError_tPvRmT1_T2_T3_mT4_P12ihipStream_tbEUlT_E0_NS1_11comp_targetILNS1_3genE0ELNS1_11target_archE4294967295ELNS1_3gpuE0ELNS1_3repE0EEENS1_30default_config_static_selectorELNS0_4arch9wavefront6targetE1EEEvSM_.kd
    .uniform_work_group_size: 1
    .uses_dynamic_stack: false
    .vgpr_count:     46
    .vgpr_spill_count: 0
    .wavefront_size: 64
  - .agpr_count:     0
    .args:
      - .offset:         0
        .size:           72
        .value_kind:     by_value
    .group_segment_fixed_size: 0
    .kernarg_segment_align: 8
    .kernarg_segment_size: 72
    .language:       OpenCL C
    .language_version:
      - 2
      - 0
    .max_flat_workgroup_size: 256
    .name:           _ZN7rocprim17ROCPRIM_400000_NS6detail17trampoline_kernelINS0_14default_configENS1_22reduce_config_selectorIbEEZNS1_11reduce_implILb1ES3_N6hipcub16HIPCUB_304000_NS22TransformInputIteratorIb7NonZeroIsEPslEEPllNS8_6detail34convert_binary_result_type_wrapperINS8_3SumESD_lEEEE10hipError_tPvRmT1_T2_T3_mT4_P12ihipStream_tbEUlT_E0_NS1_11comp_targetILNS1_3genE5ELNS1_11target_archE942ELNS1_3gpuE9ELNS1_3repE0EEENS1_30default_config_static_selectorELNS0_4arch9wavefront6targetE1EEEvSM_
    .private_segment_fixed_size: 0
    .sgpr_count:     6
    .sgpr_spill_count: 0
    .symbol:         _ZN7rocprim17ROCPRIM_400000_NS6detail17trampoline_kernelINS0_14default_configENS1_22reduce_config_selectorIbEEZNS1_11reduce_implILb1ES3_N6hipcub16HIPCUB_304000_NS22TransformInputIteratorIb7NonZeroIsEPslEEPllNS8_6detail34convert_binary_result_type_wrapperINS8_3SumESD_lEEEE10hipError_tPvRmT1_T2_T3_mT4_P12ihipStream_tbEUlT_E0_NS1_11comp_targetILNS1_3genE5ELNS1_11target_archE942ELNS1_3gpuE9ELNS1_3repE0EEENS1_30default_config_static_selectorELNS0_4arch9wavefront6targetE1EEEvSM_.kd
    .uniform_work_group_size: 1
    .uses_dynamic_stack: false
    .vgpr_count:     0
    .vgpr_spill_count: 0
    .wavefront_size: 64
  - .agpr_count:     0
    .args:
      - .offset:         0
        .size:           72
        .value_kind:     by_value
    .group_segment_fixed_size: 0
    .kernarg_segment_align: 8
    .kernarg_segment_size: 72
    .language:       OpenCL C
    .language_version:
      - 2
      - 0
    .max_flat_workgroup_size: 128
    .name:           _ZN7rocprim17ROCPRIM_400000_NS6detail17trampoline_kernelINS0_14default_configENS1_22reduce_config_selectorIbEEZNS1_11reduce_implILb1ES3_N6hipcub16HIPCUB_304000_NS22TransformInputIteratorIb7NonZeroIsEPslEEPllNS8_6detail34convert_binary_result_type_wrapperINS8_3SumESD_lEEEE10hipError_tPvRmT1_T2_T3_mT4_P12ihipStream_tbEUlT_E0_NS1_11comp_targetILNS1_3genE4ELNS1_11target_archE910ELNS1_3gpuE8ELNS1_3repE0EEENS1_30default_config_static_selectorELNS0_4arch9wavefront6targetE1EEEvSM_
    .private_segment_fixed_size: 0
    .sgpr_count:     6
    .sgpr_spill_count: 0
    .symbol:         _ZN7rocprim17ROCPRIM_400000_NS6detail17trampoline_kernelINS0_14default_configENS1_22reduce_config_selectorIbEEZNS1_11reduce_implILb1ES3_N6hipcub16HIPCUB_304000_NS22TransformInputIteratorIb7NonZeroIsEPslEEPllNS8_6detail34convert_binary_result_type_wrapperINS8_3SumESD_lEEEE10hipError_tPvRmT1_T2_T3_mT4_P12ihipStream_tbEUlT_E0_NS1_11comp_targetILNS1_3genE4ELNS1_11target_archE910ELNS1_3gpuE8ELNS1_3repE0EEENS1_30default_config_static_selectorELNS0_4arch9wavefront6targetE1EEEvSM_.kd
    .uniform_work_group_size: 1
    .uses_dynamic_stack: false
    .vgpr_count:     0
    .vgpr_spill_count: 0
    .wavefront_size: 64
  - .agpr_count:     0
    .args:
      - .offset:         0
        .size:           72
        .value_kind:     by_value
    .group_segment_fixed_size: 0
    .kernarg_segment_align: 8
    .kernarg_segment_size: 72
    .language:       OpenCL C
    .language_version:
      - 2
      - 0
    .max_flat_workgroup_size: 256
    .name:           _ZN7rocprim17ROCPRIM_400000_NS6detail17trampoline_kernelINS0_14default_configENS1_22reduce_config_selectorIbEEZNS1_11reduce_implILb1ES3_N6hipcub16HIPCUB_304000_NS22TransformInputIteratorIb7NonZeroIsEPslEEPllNS8_6detail34convert_binary_result_type_wrapperINS8_3SumESD_lEEEE10hipError_tPvRmT1_T2_T3_mT4_P12ihipStream_tbEUlT_E0_NS1_11comp_targetILNS1_3genE3ELNS1_11target_archE908ELNS1_3gpuE7ELNS1_3repE0EEENS1_30default_config_static_selectorELNS0_4arch9wavefront6targetE1EEEvSM_
    .private_segment_fixed_size: 0
    .sgpr_count:     6
    .sgpr_spill_count: 0
    .symbol:         _ZN7rocprim17ROCPRIM_400000_NS6detail17trampoline_kernelINS0_14default_configENS1_22reduce_config_selectorIbEEZNS1_11reduce_implILb1ES3_N6hipcub16HIPCUB_304000_NS22TransformInputIteratorIb7NonZeroIsEPslEEPllNS8_6detail34convert_binary_result_type_wrapperINS8_3SumESD_lEEEE10hipError_tPvRmT1_T2_T3_mT4_P12ihipStream_tbEUlT_E0_NS1_11comp_targetILNS1_3genE3ELNS1_11target_archE908ELNS1_3gpuE7ELNS1_3repE0EEENS1_30default_config_static_selectorELNS0_4arch9wavefront6targetE1EEEvSM_.kd
    .uniform_work_group_size: 1
    .uses_dynamic_stack: false
    .vgpr_count:     0
    .vgpr_spill_count: 0
    .wavefront_size: 64
  - .agpr_count:     0
    .args:
      - .offset:         0
        .size:           72
        .value_kind:     by_value
    .group_segment_fixed_size: 0
    .kernarg_segment_align: 8
    .kernarg_segment_size: 72
    .language:       OpenCL C
    .language_version:
      - 2
      - 0
    .max_flat_workgroup_size: 128
    .name:           _ZN7rocprim17ROCPRIM_400000_NS6detail17trampoline_kernelINS0_14default_configENS1_22reduce_config_selectorIbEEZNS1_11reduce_implILb1ES3_N6hipcub16HIPCUB_304000_NS22TransformInputIteratorIb7NonZeroIsEPslEEPllNS8_6detail34convert_binary_result_type_wrapperINS8_3SumESD_lEEEE10hipError_tPvRmT1_T2_T3_mT4_P12ihipStream_tbEUlT_E0_NS1_11comp_targetILNS1_3genE2ELNS1_11target_archE906ELNS1_3gpuE6ELNS1_3repE0EEENS1_30default_config_static_selectorELNS0_4arch9wavefront6targetE1EEEvSM_
    .private_segment_fixed_size: 0
    .sgpr_count:     6
    .sgpr_spill_count: 0
    .symbol:         _ZN7rocprim17ROCPRIM_400000_NS6detail17trampoline_kernelINS0_14default_configENS1_22reduce_config_selectorIbEEZNS1_11reduce_implILb1ES3_N6hipcub16HIPCUB_304000_NS22TransformInputIteratorIb7NonZeroIsEPslEEPllNS8_6detail34convert_binary_result_type_wrapperINS8_3SumESD_lEEEE10hipError_tPvRmT1_T2_T3_mT4_P12ihipStream_tbEUlT_E0_NS1_11comp_targetILNS1_3genE2ELNS1_11target_archE906ELNS1_3gpuE6ELNS1_3repE0EEENS1_30default_config_static_selectorELNS0_4arch9wavefront6targetE1EEEvSM_.kd
    .uniform_work_group_size: 1
    .uses_dynamic_stack: false
    .vgpr_count:     0
    .vgpr_spill_count: 0
    .wavefront_size: 64
  - .agpr_count:     0
    .args:
      - .offset:         0
        .size:           72
        .value_kind:     by_value
    .group_segment_fixed_size: 0
    .kernarg_segment_align: 8
    .kernarg_segment_size: 72
    .language:       OpenCL C
    .language_version:
      - 2
      - 0
    .max_flat_workgroup_size: 256
    .name:           _ZN7rocprim17ROCPRIM_400000_NS6detail17trampoline_kernelINS0_14default_configENS1_22reduce_config_selectorIbEEZNS1_11reduce_implILb1ES3_N6hipcub16HIPCUB_304000_NS22TransformInputIteratorIb7NonZeroIsEPslEEPllNS8_6detail34convert_binary_result_type_wrapperINS8_3SumESD_lEEEE10hipError_tPvRmT1_T2_T3_mT4_P12ihipStream_tbEUlT_E0_NS1_11comp_targetILNS1_3genE10ELNS1_11target_archE1201ELNS1_3gpuE5ELNS1_3repE0EEENS1_30default_config_static_selectorELNS0_4arch9wavefront6targetE1EEEvSM_
    .private_segment_fixed_size: 0
    .sgpr_count:     6
    .sgpr_spill_count: 0
    .symbol:         _ZN7rocprim17ROCPRIM_400000_NS6detail17trampoline_kernelINS0_14default_configENS1_22reduce_config_selectorIbEEZNS1_11reduce_implILb1ES3_N6hipcub16HIPCUB_304000_NS22TransformInputIteratorIb7NonZeroIsEPslEEPllNS8_6detail34convert_binary_result_type_wrapperINS8_3SumESD_lEEEE10hipError_tPvRmT1_T2_T3_mT4_P12ihipStream_tbEUlT_E0_NS1_11comp_targetILNS1_3genE10ELNS1_11target_archE1201ELNS1_3gpuE5ELNS1_3repE0EEENS1_30default_config_static_selectorELNS0_4arch9wavefront6targetE1EEEvSM_.kd
    .uniform_work_group_size: 1
    .uses_dynamic_stack: false
    .vgpr_count:     0
    .vgpr_spill_count: 0
    .wavefront_size: 64
  - .agpr_count:     0
    .args:
      - .offset:         0
        .size:           72
        .value_kind:     by_value
    .group_segment_fixed_size: 0
    .kernarg_segment_align: 8
    .kernarg_segment_size: 72
    .language:       OpenCL C
    .language_version:
      - 2
      - 0
    .max_flat_workgroup_size: 256
    .name:           _ZN7rocprim17ROCPRIM_400000_NS6detail17trampoline_kernelINS0_14default_configENS1_22reduce_config_selectorIbEEZNS1_11reduce_implILb1ES3_N6hipcub16HIPCUB_304000_NS22TransformInputIteratorIb7NonZeroIsEPslEEPllNS8_6detail34convert_binary_result_type_wrapperINS8_3SumESD_lEEEE10hipError_tPvRmT1_T2_T3_mT4_P12ihipStream_tbEUlT_E0_NS1_11comp_targetILNS1_3genE10ELNS1_11target_archE1200ELNS1_3gpuE4ELNS1_3repE0EEENS1_30default_config_static_selectorELNS0_4arch9wavefront6targetE1EEEvSM_
    .private_segment_fixed_size: 0
    .sgpr_count:     6
    .sgpr_spill_count: 0
    .symbol:         _ZN7rocprim17ROCPRIM_400000_NS6detail17trampoline_kernelINS0_14default_configENS1_22reduce_config_selectorIbEEZNS1_11reduce_implILb1ES3_N6hipcub16HIPCUB_304000_NS22TransformInputIteratorIb7NonZeroIsEPslEEPllNS8_6detail34convert_binary_result_type_wrapperINS8_3SumESD_lEEEE10hipError_tPvRmT1_T2_T3_mT4_P12ihipStream_tbEUlT_E0_NS1_11comp_targetILNS1_3genE10ELNS1_11target_archE1200ELNS1_3gpuE4ELNS1_3repE0EEENS1_30default_config_static_selectorELNS0_4arch9wavefront6targetE1EEEvSM_.kd
    .uniform_work_group_size: 1
    .uses_dynamic_stack: false
    .vgpr_count:     0
    .vgpr_spill_count: 0
    .wavefront_size: 64
  - .agpr_count:     0
    .args:
      - .offset:         0
        .size:           72
        .value_kind:     by_value
    .group_segment_fixed_size: 0
    .kernarg_segment_align: 8
    .kernarg_segment_size: 72
    .language:       OpenCL C
    .language_version:
      - 2
      - 0
    .max_flat_workgroup_size: 128
    .name:           _ZN7rocprim17ROCPRIM_400000_NS6detail17trampoline_kernelINS0_14default_configENS1_22reduce_config_selectorIbEEZNS1_11reduce_implILb1ES3_N6hipcub16HIPCUB_304000_NS22TransformInputIteratorIb7NonZeroIsEPslEEPllNS8_6detail34convert_binary_result_type_wrapperINS8_3SumESD_lEEEE10hipError_tPvRmT1_T2_T3_mT4_P12ihipStream_tbEUlT_E0_NS1_11comp_targetILNS1_3genE9ELNS1_11target_archE1100ELNS1_3gpuE3ELNS1_3repE0EEENS1_30default_config_static_selectorELNS0_4arch9wavefront6targetE1EEEvSM_
    .private_segment_fixed_size: 0
    .sgpr_count:     6
    .sgpr_spill_count: 0
    .symbol:         _ZN7rocprim17ROCPRIM_400000_NS6detail17trampoline_kernelINS0_14default_configENS1_22reduce_config_selectorIbEEZNS1_11reduce_implILb1ES3_N6hipcub16HIPCUB_304000_NS22TransformInputIteratorIb7NonZeroIsEPslEEPllNS8_6detail34convert_binary_result_type_wrapperINS8_3SumESD_lEEEE10hipError_tPvRmT1_T2_T3_mT4_P12ihipStream_tbEUlT_E0_NS1_11comp_targetILNS1_3genE9ELNS1_11target_archE1100ELNS1_3gpuE3ELNS1_3repE0EEENS1_30default_config_static_selectorELNS0_4arch9wavefront6targetE1EEEvSM_.kd
    .uniform_work_group_size: 1
    .uses_dynamic_stack: false
    .vgpr_count:     0
    .vgpr_spill_count: 0
    .wavefront_size: 64
  - .agpr_count:     0
    .args:
      - .offset:         0
        .size:           72
        .value_kind:     by_value
    .group_segment_fixed_size: 0
    .kernarg_segment_align: 8
    .kernarg_segment_size: 72
    .language:       OpenCL C
    .language_version:
      - 2
      - 0
    .max_flat_workgroup_size: 256
    .name:           _ZN7rocprim17ROCPRIM_400000_NS6detail17trampoline_kernelINS0_14default_configENS1_22reduce_config_selectorIbEEZNS1_11reduce_implILb1ES3_N6hipcub16HIPCUB_304000_NS22TransformInputIteratorIb7NonZeroIsEPslEEPllNS8_6detail34convert_binary_result_type_wrapperINS8_3SumESD_lEEEE10hipError_tPvRmT1_T2_T3_mT4_P12ihipStream_tbEUlT_E0_NS1_11comp_targetILNS1_3genE8ELNS1_11target_archE1030ELNS1_3gpuE2ELNS1_3repE0EEENS1_30default_config_static_selectorELNS0_4arch9wavefront6targetE1EEEvSM_
    .private_segment_fixed_size: 0
    .sgpr_count:     6
    .sgpr_spill_count: 0
    .symbol:         _ZN7rocprim17ROCPRIM_400000_NS6detail17trampoline_kernelINS0_14default_configENS1_22reduce_config_selectorIbEEZNS1_11reduce_implILb1ES3_N6hipcub16HIPCUB_304000_NS22TransformInputIteratorIb7NonZeroIsEPslEEPllNS8_6detail34convert_binary_result_type_wrapperINS8_3SumESD_lEEEE10hipError_tPvRmT1_T2_T3_mT4_P12ihipStream_tbEUlT_E0_NS1_11comp_targetILNS1_3genE8ELNS1_11target_archE1030ELNS1_3gpuE2ELNS1_3repE0EEENS1_30default_config_static_selectorELNS0_4arch9wavefront6targetE1EEEvSM_.kd
    .uniform_work_group_size: 1
    .uses_dynamic_stack: false
    .vgpr_count:     0
    .vgpr_spill_count: 0
    .wavefront_size: 64
  - .agpr_count:     4
    .args:
      - .offset:         0
        .size:           56
        .value_kind:     by_value
    .group_segment_fixed_size: 288
    .kernarg_segment_align: 8
    .kernarg_segment_size: 56
    .language:       OpenCL C
    .language_version:
      - 2
      - 0
    .max_flat_workgroup_size: 256
    .name:           _ZN7rocprim17ROCPRIM_400000_NS6detail17trampoline_kernelINS0_14default_configENS1_22reduce_config_selectorIbEEZNS1_11reduce_implILb1ES3_N6hipcub16HIPCUB_304000_NS22TransformInputIteratorIb7NonZeroIsEPslEEPllNS8_6detail34convert_binary_result_type_wrapperINS8_3SumESD_lEEEE10hipError_tPvRmT1_T2_T3_mT4_P12ihipStream_tbEUlT_E1_NS1_11comp_targetILNS1_3genE0ELNS1_11target_archE4294967295ELNS1_3gpuE0ELNS1_3repE0EEENS1_30default_config_static_selectorELNS0_4arch9wavefront6targetE1EEEvSM_
    .private_segment_fixed_size: 0
    .sgpr_count:     52
    .sgpr_spill_count: 0
    .symbol:         _ZN7rocprim17ROCPRIM_400000_NS6detail17trampoline_kernelINS0_14default_configENS1_22reduce_config_selectorIbEEZNS1_11reduce_implILb1ES3_N6hipcub16HIPCUB_304000_NS22TransformInputIteratorIb7NonZeroIsEPslEEPllNS8_6detail34convert_binary_result_type_wrapperINS8_3SumESD_lEEEE10hipError_tPvRmT1_T2_T3_mT4_P12ihipStream_tbEUlT_E1_NS1_11comp_targetILNS1_3genE0ELNS1_11target_archE4294967295ELNS1_3gpuE0ELNS1_3repE0EEENS1_30default_config_static_selectorELNS0_4arch9wavefront6targetE1EEEvSM_.kd
    .uniform_work_group_size: 1
    .uses_dynamic_stack: false
    .vgpr_count:     260
    .vgpr_spill_count: 0
    .wavefront_size: 64
  - .agpr_count:     0
    .args:
      - .offset:         0
        .size:           56
        .value_kind:     by_value
    .group_segment_fixed_size: 0
    .kernarg_segment_align: 8
    .kernarg_segment_size: 56
    .language:       OpenCL C
    .language_version:
      - 2
      - 0
    .max_flat_workgroup_size: 256
    .name:           _ZN7rocprim17ROCPRIM_400000_NS6detail17trampoline_kernelINS0_14default_configENS1_22reduce_config_selectorIbEEZNS1_11reduce_implILb1ES3_N6hipcub16HIPCUB_304000_NS22TransformInputIteratorIb7NonZeroIsEPslEEPllNS8_6detail34convert_binary_result_type_wrapperINS8_3SumESD_lEEEE10hipError_tPvRmT1_T2_T3_mT4_P12ihipStream_tbEUlT_E1_NS1_11comp_targetILNS1_3genE5ELNS1_11target_archE942ELNS1_3gpuE9ELNS1_3repE0EEENS1_30default_config_static_selectorELNS0_4arch9wavefront6targetE1EEEvSM_
    .private_segment_fixed_size: 0
    .sgpr_count:     6
    .sgpr_spill_count: 0
    .symbol:         _ZN7rocprim17ROCPRIM_400000_NS6detail17trampoline_kernelINS0_14default_configENS1_22reduce_config_selectorIbEEZNS1_11reduce_implILb1ES3_N6hipcub16HIPCUB_304000_NS22TransformInputIteratorIb7NonZeroIsEPslEEPllNS8_6detail34convert_binary_result_type_wrapperINS8_3SumESD_lEEEE10hipError_tPvRmT1_T2_T3_mT4_P12ihipStream_tbEUlT_E1_NS1_11comp_targetILNS1_3genE5ELNS1_11target_archE942ELNS1_3gpuE9ELNS1_3repE0EEENS1_30default_config_static_selectorELNS0_4arch9wavefront6targetE1EEEvSM_.kd
    .uniform_work_group_size: 1
    .uses_dynamic_stack: false
    .vgpr_count:     0
    .vgpr_spill_count: 0
    .wavefront_size: 64
  - .agpr_count:     0
    .args:
      - .offset:         0
        .size:           56
        .value_kind:     by_value
    .group_segment_fixed_size: 0
    .kernarg_segment_align: 8
    .kernarg_segment_size: 56
    .language:       OpenCL C
    .language_version:
      - 2
      - 0
    .max_flat_workgroup_size: 128
    .name:           _ZN7rocprim17ROCPRIM_400000_NS6detail17trampoline_kernelINS0_14default_configENS1_22reduce_config_selectorIbEEZNS1_11reduce_implILb1ES3_N6hipcub16HIPCUB_304000_NS22TransformInputIteratorIb7NonZeroIsEPslEEPllNS8_6detail34convert_binary_result_type_wrapperINS8_3SumESD_lEEEE10hipError_tPvRmT1_T2_T3_mT4_P12ihipStream_tbEUlT_E1_NS1_11comp_targetILNS1_3genE4ELNS1_11target_archE910ELNS1_3gpuE8ELNS1_3repE0EEENS1_30default_config_static_selectorELNS0_4arch9wavefront6targetE1EEEvSM_
    .private_segment_fixed_size: 0
    .sgpr_count:     6
    .sgpr_spill_count: 0
    .symbol:         _ZN7rocprim17ROCPRIM_400000_NS6detail17trampoline_kernelINS0_14default_configENS1_22reduce_config_selectorIbEEZNS1_11reduce_implILb1ES3_N6hipcub16HIPCUB_304000_NS22TransformInputIteratorIb7NonZeroIsEPslEEPllNS8_6detail34convert_binary_result_type_wrapperINS8_3SumESD_lEEEE10hipError_tPvRmT1_T2_T3_mT4_P12ihipStream_tbEUlT_E1_NS1_11comp_targetILNS1_3genE4ELNS1_11target_archE910ELNS1_3gpuE8ELNS1_3repE0EEENS1_30default_config_static_selectorELNS0_4arch9wavefront6targetE1EEEvSM_.kd
    .uniform_work_group_size: 1
    .uses_dynamic_stack: false
    .vgpr_count:     0
    .vgpr_spill_count: 0
    .wavefront_size: 64
  - .agpr_count:     0
    .args:
      - .offset:         0
        .size:           56
        .value_kind:     by_value
    .group_segment_fixed_size: 0
    .kernarg_segment_align: 8
    .kernarg_segment_size: 56
    .language:       OpenCL C
    .language_version:
      - 2
      - 0
    .max_flat_workgroup_size: 256
    .name:           _ZN7rocprim17ROCPRIM_400000_NS6detail17trampoline_kernelINS0_14default_configENS1_22reduce_config_selectorIbEEZNS1_11reduce_implILb1ES3_N6hipcub16HIPCUB_304000_NS22TransformInputIteratorIb7NonZeroIsEPslEEPllNS8_6detail34convert_binary_result_type_wrapperINS8_3SumESD_lEEEE10hipError_tPvRmT1_T2_T3_mT4_P12ihipStream_tbEUlT_E1_NS1_11comp_targetILNS1_3genE3ELNS1_11target_archE908ELNS1_3gpuE7ELNS1_3repE0EEENS1_30default_config_static_selectorELNS0_4arch9wavefront6targetE1EEEvSM_
    .private_segment_fixed_size: 0
    .sgpr_count:     6
    .sgpr_spill_count: 0
    .symbol:         _ZN7rocprim17ROCPRIM_400000_NS6detail17trampoline_kernelINS0_14default_configENS1_22reduce_config_selectorIbEEZNS1_11reduce_implILb1ES3_N6hipcub16HIPCUB_304000_NS22TransformInputIteratorIb7NonZeroIsEPslEEPllNS8_6detail34convert_binary_result_type_wrapperINS8_3SumESD_lEEEE10hipError_tPvRmT1_T2_T3_mT4_P12ihipStream_tbEUlT_E1_NS1_11comp_targetILNS1_3genE3ELNS1_11target_archE908ELNS1_3gpuE7ELNS1_3repE0EEENS1_30default_config_static_selectorELNS0_4arch9wavefront6targetE1EEEvSM_.kd
    .uniform_work_group_size: 1
    .uses_dynamic_stack: false
    .vgpr_count:     0
    .vgpr_spill_count: 0
    .wavefront_size: 64
  - .agpr_count:     0
    .args:
      - .offset:         0
        .size:           56
        .value_kind:     by_value
    .group_segment_fixed_size: 0
    .kernarg_segment_align: 8
    .kernarg_segment_size: 56
    .language:       OpenCL C
    .language_version:
      - 2
      - 0
    .max_flat_workgroup_size: 128
    .name:           _ZN7rocprim17ROCPRIM_400000_NS6detail17trampoline_kernelINS0_14default_configENS1_22reduce_config_selectorIbEEZNS1_11reduce_implILb1ES3_N6hipcub16HIPCUB_304000_NS22TransformInputIteratorIb7NonZeroIsEPslEEPllNS8_6detail34convert_binary_result_type_wrapperINS8_3SumESD_lEEEE10hipError_tPvRmT1_T2_T3_mT4_P12ihipStream_tbEUlT_E1_NS1_11comp_targetILNS1_3genE2ELNS1_11target_archE906ELNS1_3gpuE6ELNS1_3repE0EEENS1_30default_config_static_selectorELNS0_4arch9wavefront6targetE1EEEvSM_
    .private_segment_fixed_size: 0
    .sgpr_count:     6
    .sgpr_spill_count: 0
    .symbol:         _ZN7rocprim17ROCPRIM_400000_NS6detail17trampoline_kernelINS0_14default_configENS1_22reduce_config_selectorIbEEZNS1_11reduce_implILb1ES3_N6hipcub16HIPCUB_304000_NS22TransformInputIteratorIb7NonZeroIsEPslEEPllNS8_6detail34convert_binary_result_type_wrapperINS8_3SumESD_lEEEE10hipError_tPvRmT1_T2_T3_mT4_P12ihipStream_tbEUlT_E1_NS1_11comp_targetILNS1_3genE2ELNS1_11target_archE906ELNS1_3gpuE6ELNS1_3repE0EEENS1_30default_config_static_selectorELNS0_4arch9wavefront6targetE1EEEvSM_.kd
    .uniform_work_group_size: 1
    .uses_dynamic_stack: false
    .vgpr_count:     0
    .vgpr_spill_count: 0
    .wavefront_size: 64
  - .agpr_count:     0
    .args:
      - .offset:         0
        .size:           56
        .value_kind:     by_value
    .group_segment_fixed_size: 0
    .kernarg_segment_align: 8
    .kernarg_segment_size: 56
    .language:       OpenCL C
    .language_version:
      - 2
      - 0
    .max_flat_workgroup_size: 256
    .name:           _ZN7rocprim17ROCPRIM_400000_NS6detail17trampoline_kernelINS0_14default_configENS1_22reduce_config_selectorIbEEZNS1_11reduce_implILb1ES3_N6hipcub16HIPCUB_304000_NS22TransformInputIteratorIb7NonZeroIsEPslEEPllNS8_6detail34convert_binary_result_type_wrapperINS8_3SumESD_lEEEE10hipError_tPvRmT1_T2_T3_mT4_P12ihipStream_tbEUlT_E1_NS1_11comp_targetILNS1_3genE10ELNS1_11target_archE1201ELNS1_3gpuE5ELNS1_3repE0EEENS1_30default_config_static_selectorELNS0_4arch9wavefront6targetE1EEEvSM_
    .private_segment_fixed_size: 0
    .sgpr_count:     6
    .sgpr_spill_count: 0
    .symbol:         _ZN7rocprim17ROCPRIM_400000_NS6detail17trampoline_kernelINS0_14default_configENS1_22reduce_config_selectorIbEEZNS1_11reduce_implILb1ES3_N6hipcub16HIPCUB_304000_NS22TransformInputIteratorIb7NonZeroIsEPslEEPllNS8_6detail34convert_binary_result_type_wrapperINS8_3SumESD_lEEEE10hipError_tPvRmT1_T2_T3_mT4_P12ihipStream_tbEUlT_E1_NS1_11comp_targetILNS1_3genE10ELNS1_11target_archE1201ELNS1_3gpuE5ELNS1_3repE0EEENS1_30default_config_static_selectorELNS0_4arch9wavefront6targetE1EEEvSM_.kd
    .uniform_work_group_size: 1
    .uses_dynamic_stack: false
    .vgpr_count:     0
    .vgpr_spill_count: 0
    .wavefront_size: 64
  - .agpr_count:     0
    .args:
      - .offset:         0
        .size:           56
        .value_kind:     by_value
    .group_segment_fixed_size: 0
    .kernarg_segment_align: 8
    .kernarg_segment_size: 56
    .language:       OpenCL C
    .language_version:
      - 2
      - 0
    .max_flat_workgroup_size: 256
    .name:           _ZN7rocprim17ROCPRIM_400000_NS6detail17trampoline_kernelINS0_14default_configENS1_22reduce_config_selectorIbEEZNS1_11reduce_implILb1ES3_N6hipcub16HIPCUB_304000_NS22TransformInputIteratorIb7NonZeroIsEPslEEPllNS8_6detail34convert_binary_result_type_wrapperINS8_3SumESD_lEEEE10hipError_tPvRmT1_T2_T3_mT4_P12ihipStream_tbEUlT_E1_NS1_11comp_targetILNS1_3genE10ELNS1_11target_archE1200ELNS1_3gpuE4ELNS1_3repE0EEENS1_30default_config_static_selectorELNS0_4arch9wavefront6targetE1EEEvSM_
    .private_segment_fixed_size: 0
    .sgpr_count:     6
    .sgpr_spill_count: 0
    .symbol:         _ZN7rocprim17ROCPRIM_400000_NS6detail17trampoline_kernelINS0_14default_configENS1_22reduce_config_selectorIbEEZNS1_11reduce_implILb1ES3_N6hipcub16HIPCUB_304000_NS22TransformInputIteratorIb7NonZeroIsEPslEEPllNS8_6detail34convert_binary_result_type_wrapperINS8_3SumESD_lEEEE10hipError_tPvRmT1_T2_T3_mT4_P12ihipStream_tbEUlT_E1_NS1_11comp_targetILNS1_3genE10ELNS1_11target_archE1200ELNS1_3gpuE4ELNS1_3repE0EEENS1_30default_config_static_selectorELNS0_4arch9wavefront6targetE1EEEvSM_.kd
    .uniform_work_group_size: 1
    .uses_dynamic_stack: false
    .vgpr_count:     0
    .vgpr_spill_count: 0
    .wavefront_size: 64
  - .agpr_count:     0
    .args:
      - .offset:         0
        .size:           56
        .value_kind:     by_value
    .group_segment_fixed_size: 0
    .kernarg_segment_align: 8
    .kernarg_segment_size: 56
    .language:       OpenCL C
    .language_version:
      - 2
      - 0
    .max_flat_workgroup_size: 128
    .name:           _ZN7rocprim17ROCPRIM_400000_NS6detail17trampoline_kernelINS0_14default_configENS1_22reduce_config_selectorIbEEZNS1_11reduce_implILb1ES3_N6hipcub16HIPCUB_304000_NS22TransformInputIteratorIb7NonZeroIsEPslEEPllNS8_6detail34convert_binary_result_type_wrapperINS8_3SumESD_lEEEE10hipError_tPvRmT1_T2_T3_mT4_P12ihipStream_tbEUlT_E1_NS1_11comp_targetILNS1_3genE9ELNS1_11target_archE1100ELNS1_3gpuE3ELNS1_3repE0EEENS1_30default_config_static_selectorELNS0_4arch9wavefront6targetE1EEEvSM_
    .private_segment_fixed_size: 0
    .sgpr_count:     6
    .sgpr_spill_count: 0
    .symbol:         _ZN7rocprim17ROCPRIM_400000_NS6detail17trampoline_kernelINS0_14default_configENS1_22reduce_config_selectorIbEEZNS1_11reduce_implILb1ES3_N6hipcub16HIPCUB_304000_NS22TransformInputIteratorIb7NonZeroIsEPslEEPllNS8_6detail34convert_binary_result_type_wrapperINS8_3SumESD_lEEEE10hipError_tPvRmT1_T2_T3_mT4_P12ihipStream_tbEUlT_E1_NS1_11comp_targetILNS1_3genE9ELNS1_11target_archE1100ELNS1_3gpuE3ELNS1_3repE0EEENS1_30default_config_static_selectorELNS0_4arch9wavefront6targetE1EEEvSM_.kd
    .uniform_work_group_size: 1
    .uses_dynamic_stack: false
    .vgpr_count:     0
    .vgpr_spill_count: 0
    .wavefront_size: 64
  - .agpr_count:     0
    .args:
      - .offset:         0
        .size:           56
        .value_kind:     by_value
    .group_segment_fixed_size: 0
    .kernarg_segment_align: 8
    .kernarg_segment_size: 56
    .language:       OpenCL C
    .language_version:
      - 2
      - 0
    .max_flat_workgroup_size: 256
    .name:           _ZN7rocprim17ROCPRIM_400000_NS6detail17trampoline_kernelINS0_14default_configENS1_22reduce_config_selectorIbEEZNS1_11reduce_implILb1ES3_N6hipcub16HIPCUB_304000_NS22TransformInputIteratorIb7NonZeroIsEPslEEPllNS8_6detail34convert_binary_result_type_wrapperINS8_3SumESD_lEEEE10hipError_tPvRmT1_T2_T3_mT4_P12ihipStream_tbEUlT_E1_NS1_11comp_targetILNS1_3genE8ELNS1_11target_archE1030ELNS1_3gpuE2ELNS1_3repE0EEENS1_30default_config_static_selectorELNS0_4arch9wavefront6targetE1EEEvSM_
    .private_segment_fixed_size: 0
    .sgpr_count:     6
    .sgpr_spill_count: 0
    .symbol:         _ZN7rocprim17ROCPRIM_400000_NS6detail17trampoline_kernelINS0_14default_configENS1_22reduce_config_selectorIbEEZNS1_11reduce_implILb1ES3_N6hipcub16HIPCUB_304000_NS22TransformInputIteratorIb7NonZeroIsEPslEEPllNS8_6detail34convert_binary_result_type_wrapperINS8_3SumESD_lEEEE10hipError_tPvRmT1_T2_T3_mT4_P12ihipStream_tbEUlT_E1_NS1_11comp_targetILNS1_3genE8ELNS1_11target_archE1030ELNS1_3gpuE2ELNS1_3repE0EEENS1_30default_config_static_selectorELNS0_4arch9wavefront6targetE1EEEvSM_.kd
    .uniform_work_group_size: 1
    .uses_dynamic_stack: false
    .vgpr_count:     0
    .vgpr_spill_count: 0
    .wavefront_size: 64
  - .agpr_count:     0
    .args:
      - .offset:         0
        .size:           120
        .value_kind:     by_value
    .group_segment_fixed_size: 7184
    .kernarg_segment_align: 8
    .kernarg_segment_size: 120
    .language:       OpenCL C
    .language_version:
      - 2
      - 0
    .max_flat_workgroup_size: 128
    .name:           _ZN7rocprim17ROCPRIM_400000_NS6detail17trampoline_kernelINS0_14default_configENS1_25partition_config_selectorILNS1_17partition_subalgoE5ElNS0_10empty_typeEbEEZZNS1_14partition_implILS5_5ELb0ES3_mN6hipcub16HIPCUB_304000_NS21CountingInputIteratorIllEEPS6_NSA_22TransformInputIteratorIb7NonZeroIsEPslEENS0_5tupleIJPlS6_EEENSJ_IJSD_SD_EEES6_SK_JS6_EEE10hipError_tPvRmT3_T4_T5_T6_T7_T9_mT8_P12ihipStream_tbDpT10_ENKUlT_T0_E_clISt17integral_constantIbLb0EES16_EEDaS11_S12_EUlS11_E_NS1_11comp_targetILNS1_3genE0ELNS1_11target_archE4294967295ELNS1_3gpuE0ELNS1_3repE0EEENS1_30default_config_static_selectorELNS0_4arch9wavefront6targetE1EEEvT1_
    .private_segment_fixed_size: 0
    .sgpr_count:     34
    .sgpr_spill_count: 0
    .symbol:         _ZN7rocprim17ROCPRIM_400000_NS6detail17trampoline_kernelINS0_14default_configENS1_25partition_config_selectorILNS1_17partition_subalgoE5ElNS0_10empty_typeEbEEZZNS1_14partition_implILS5_5ELb0ES3_mN6hipcub16HIPCUB_304000_NS21CountingInputIteratorIllEEPS6_NSA_22TransformInputIteratorIb7NonZeroIsEPslEENS0_5tupleIJPlS6_EEENSJ_IJSD_SD_EEES6_SK_JS6_EEE10hipError_tPvRmT3_T4_T5_T6_T7_T9_mT8_P12ihipStream_tbDpT10_ENKUlT_T0_E_clISt17integral_constantIbLb0EES16_EEDaS11_S12_EUlS11_E_NS1_11comp_targetILNS1_3genE0ELNS1_11target_archE4294967295ELNS1_3gpuE0ELNS1_3repE0EEENS1_30default_config_static_selectorELNS0_4arch9wavefront6targetE1EEEvT1_.kd
    .uniform_work_group_size: 1
    .uses_dynamic_stack: false
    .vgpr_count:     70
    .vgpr_spill_count: 0
    .wavefront_size: 64
  - .agpr_count:     0
    .args:
      - .offset:         0
        .size:           120
        .value_kind:     by_value
    .group_segment_fixed_size: 0
    .kernarg_segment_align: 8
    .kernarg_segment_size: 120
    .language:       OpenCL C
    .language_version:
      - 2
      - 0
    .max_flat_workgroup_size: 512
    .name:           _ZN7rocprim17ROCPRIM_400000_NS6detail17trampoline_kernelINS0_14default_configENS1_25partition_config_selectorILNS1_17partition_subalgoE5ElNS0_10empty_typeEbEEZZNS1_14partition_implILS5_5ELb0ES3_mN6hipcub16HIPCUB_304000_NS21CountingInputIteratorIllEEPS6_NSA_22TransformInputIteratorIb7NonZeroIsEPslEENS0_5tupleIJPlS6_EEENSJ_IJSD_SD_EEES6_SK_JS6_EEE10hipError_tPvRmT3_T4_T5_T6_T7_T9_mT8_P12ihipStream_tbDpT10_ENKUlT_T0_E_clISt17integral_constantIbLb0EES16_EEDaS11_S12_EUlS11_E_NS1_11comp_targetILNS1_3genE5ELNS1_11target_archE942ELNS1_3gpuE9ELNS1_3repE0EEENS1_30default_config_static_selectorELNS0_4arch9wavefront6targetE1EEEvT1_
    .private_segment_fixed_size: 0
    .sgpr_count:     6
    .sgpr_spill_count: 0
    .symbol:         _ZN7rocprim17ROCPRIM_400000_NS6detail17trampoline_kernelINS0_14default_configENS1_25partition_config_selectorILNS1_17partition_subalgoE5ElNS0_10empty_typeEbEEZZNS1_14partition_implILS5_5ELb0ES3_mN6hipcub16HIPCUB_304000_NS21CountingInputIteratorIllEEPS6_NSA_22TransformInputIteratorIb7NonZeroIsEPslEENS0_5tupleIJPlS6_EEENSJ_IJSD_SD_EEES6_SK_JS6_EEE10hipError_tPvRmT3_T4_T5_T6_T7_T9_mT8_P12ihipStream_tbDpT10_ENKUlT_T0_E_clISt17integral_constantIbLb0EES16_EEDaS11_S12_EUlS11_E_NS1_11comp_targetILNS1_3genE5ELNS1_11target_archE942ELNS1_3gpuE9ELNS1_3repE0EEENS1_30default_config_static_selectorELNS0_4arch9wavefront6targetE1EEEvT1_.kd
    .uniform_work_group_size: 1
    .uses_dynamic_stack: false
    .vgpr_count:     0
    .vgpr_spill_count: 0
    .wavefront_size: 64
  - .agpr_count:     0
    .args:
      - .offset:         0
        .size:           120
        .value_kind:     by_value
    .group_segment_fixed_size: 0
    .kernarg_segment_align: 8
    .kernarg_segment_size: 120
    .language:       OpenCL C
    .language_version:
      - 2
      - 0
    .max_flat_workgroup_size: 192
    .name:           _ZN7rocprim17ROCPRIM_400000_NS6detail17trampoline_kernelINS0_14default_configENS1_25partition_config_selectorILNS1_17partition_subalgoE5ElNS0_10empty_typeEbEEZZNS1_14partition_implILS5_5ELb0ES3_mN6hipcub16HIPCUB_304000_NS21CountingInputIteratorIllEEPS6_NSA_22TransformInputIteratorIb7NonZeroIsEPslEENS0_5tupleIJPlS6_EEENSJ_IJSD_SD_EEES6_SK_JS6_EEE10hipError_tPvRmT3_T4_T5_T6_T7_T9_mT8_P12ihipStream_tbDpT10_ENKUlT_T0_E_clISt17integral_constantIbLb0EES16_EEDaS11_S12_EUlS11_E_NS1_11comp_targetILNS1_3genE4ELNS1_11target_archE910ELNS1_3gpuE8ELNS1_3repE0EEENS1_30default_config_static_selectorELNS0_4arch9wavefront6targetE1EEEvT1_
    .private_segment_fixed_size: 0
    .sgpr_count:     6
    .sgpr_spill_count: 0
    .symbol:         _ZN7rocprim17ROCPRIM_400000_NS6detail17trampoline_kernelINS0_14default_configENS1_25partition_config_selectorILNS1_17partition_subalgoE5ElNS0_10empty_typeEbEEZZNS1_14partition_implILS5_5ELb0ES3_mN6hipcub16HIPCUB_304000_NS21CountingInputIteratorIllEEPS6_NSA_22TransformInputIteratorIb7NonZeroIsEPslEENS0_5tupleIJPlS6_EEENSJ_IJSD_SD_EEES6_SK_JS6_EEE10hipError_tPvRmT3_T4_T5_T6_T7_T9_mT8_P12ihipStream_tbDpT10_ENKUlT_T0_E_clISt17integral_constantIbLb0EES16_EEDaS11_S12_EUlS11_E_NS1_11comp_targetILNS1_3genE4ELNS1_11target_archE910ELNS1_3gpuE8ELNS1_3repE0EEENS1_30default_config_static_selectorELNS0_4arch9wavefront6targetE1EEEvT1_.kd
    .uniform_work_group_size: 1
    .uses_dynamic_stack: false
    .vgpr_count:     0
    .vgpr_spill_count: 0
    .wavefront_size: 64
  - .agpr_count:     0
    .args:
      - .offset:         0
        .size:           120
        .value_kind:     by_value
    .group_segment_fixed_size: 0
    .kernarg_segment_align: 8
    .kernarg_segment_size: 120
    .language:       OpenCL C
    .language_version:
      - 2
      - 0
    .max_flat_workgroup_size: 128
    .name:           _ZN7rocprim17ROCPRIM_400000_NS6detail17trampoline_kernelINS0_14default_configENS1_25partition_config_selectorILNS1_17partition_subalgoE5ElNS0_10empty_typeEbEEZZNS1_14partition_implILS5_5ELb0ES3_mN6hipcub16HIPCUB_304000_NS21CountingInputIteratorIllEEPS6_NSA_22TransformInputIteratorIb7NonZeroIsEPslEENS0_5tupleIJPlS6_EEENSJ_IJSD_SD_EEES6_SK_JS6_EEE10hipError_tPvRmT3_T4_T5_T6_T7_T9_mT8_P12ihipStream_tbDpT10_ENKUlT_T0_E_clISt17integral_constantIbLb0EES16_EEDaS11_S12_EUlS11_E_NS1_11comp_targetILNS1_3genE3ELNS1_11target_archE908ELNS1_3gpuE7ELNS1_3repE0EEENS1_30default_config_static_selectorELNS0_4arch9wavefront6targetE1EEEvT1_
    .private_segment_fixed_size: 0
    .sgpr_count:     6
    .sgpr_spill_count: 0
    .symbol:         _ZN7rocprim17ROCPRIM_400000_NS6detail17trampoline_kernelINS0_14default_configENS1_25partition_config_selectorILNS1_17partition_subalgoE5ElNS0_10empty_typeEbEEZZNS1_14partition_implILS5_5ELb0ES3_mN6hipcub16HIPCUB_304000_NS21CountingInputIteratorIllEEPS6_NSA_22TransformInputIteratorIb7NonZeroIsEPslEENS0_5tupleIJPlS6_EEENSJ_IJSD_SD_EEES6_SK_JS6_EEE10hipError_tPvRmT3_T4_T5_T6_T7_T9_mT8_P12ihipStream_tbDpT10_ENKUlT_T0_E_clISt17integral_constantIbLb0EES16_EEDaS11_S12_EUlS11_E_NS1_11comp_targetILNS1_3genE3ELNS1_11target_archE908ELNS1_3gpuE7ELNS1_3repE0EEENS1_30default_config_static_selectorELNS0_4arch9wavefront6targetE1EEEvT1_.kd
    .uniform_work_group_size: 1
    .uses_dynamic_stack: false
    .vgpr_count:     0
    .vgpr_spill_count: 0
    .wavefront_size: 64
  - .agpr_count:     0
    .args:
      - .offset:         0
        .size:           120
        .value_kind:     by_value
    .group_segment_fixed_size: 0
    .kernarg_segment_align: 8
    .kernarg_segment_size: 120
    .language:       OpenCL C
    .language_version:
      - 2
      - 0
    .max_flat_workgroup_size: 256
    .name:           _ZN7rocprim17ROCPRIM_400000_NS6detail17trampoline_kernelINS0_14default_configENS1_25partition_config_selectorILNS1_17partition_subalgoE5ElNS0_10empty_typeEbEEZZNS1_14partition_implILS5_5ELb0ES3_mN6hipcub16HIPCUB_304000_NS21CountingInputIteratorIllEEPS6_NSA_22TransformInputIteratorIb7NonZeroIsEPslEENS0_5tupleIJPlS6_EEENSJ_IJSD_SD_EEES6_SK_JS6_EEE10hipError_tPvRmT3_T4_T5_T6_T7_T9_mT8_P12ihipStream_tbDpT10_ENKUlT_T0_E_clISt17integral_constantIbLb0EES16_EEDaS11_S12_EUlS11_E_NS1_11comp_targetILNS1_3genE2ELNS1_11target_archE906ELNS1_3gpuE6ELNS1_3repE0EEENS1_30default_config_static_selectorELNS0_4arch9wavefront6targetE1EEEvT1_
    .private_segment_fixed_size: 0
    .sgpr_count:     6
    .sgpr_spill_count: 0
    .symbol:         _ZN7rocprim17ROCPRIM_400000_NS6detail17trampoline_kernelINS0_14default_configENS1_25partition_config_selectorILNS1_17partition_subalgoE5ElNS0_10empty_typeEbEEZZNS1_14partition_implILS5_5ELb0ES3_mN6hipcub16HIPCUB_304000_NS21CountingInputIteratorIllEEPS6_NSA_22TransformInputIteratorIb7NonZeroIsEPslEENS0_5tupleIJPlS6_EEENSJ_IJSD_SD_EEES6_SK_JS6_EEE10hipError_tPvRmT3_T4_T5_T6_T7_T9_mT8_P12ihipStream_tbDpT10_ENKUlT_T0_E_clISt17integral_constantIbLb0EES16_EEDaS11_S12_EUlS11_E_NS1_11comp_targetILNS1_3genE2ELNS1_11target_archE906ELNS1_3gpuE6ELNS1_3repE0EEENS1_30default_config_static_selectorELNS0_4arch9wavefront6targetE1EEEvT1_.kd
    .uniform_work_group_size: 1
    .uses_dynamic_stack: false
    .vgpr_count:     0
    .vgpr_spill_count: 0
    .wavefront_size: 64
  - .agpr_count:     0
    .args:
      - .offset:         0
        .size:           120
        .value_kind:     by_value
    .group_segment_fixed_size: 0
    .kernarg_segment_align: 8
    .kernarg_segment_size: 120
    .language:       OpenCL C
    .language_version:
      - 2
      - 0
    .max_flat_workgroup_size: 256
    .name:           _ZN7rocprim17ROCPRIM_400000_NS6detail17trampoline_kernelINS0_14default_configENS1_25partition_config_selectorILNS1_17partition_subalgoE5ElNS0_10empty_typeEbEEZZNS1_14partition_implILS5_5ELb0ES3_mN6hipcub16HIPCUB_304000_NS21CountingInputIteratorIllEEPS6_NSA_22TransformInputIteratorIb7NonZeroIsEPslEENS0_5tupleIJPlS6_EEENSJ_IJSD_SD_EEES6_SK_JS6_EEE10hipError_tPvRmT3_T4_T5_T6_T7_T9_mT8_P12ihipStream_tbDpT10_ENKUlT_T0_E_clISt17integral_constantIbLb0EES16_EEDaS11_S12_EUlS11_E_NS1_11comp_targetILNS1_3genE10ELNS1_11target_archE1200ELNS1_3gpuE4ELNS1_3repE0EEENS1_30default_config_static_selectorELNS0_4arch9wavefront6targetE1EEEvT1_
    .private_segment_fixed_size: 0
    .sgpr_count:     6
    .sgpr_spill_count: 0
    .symbol:         _ZN7rocprim17ROCPRIM_400000_NS6detail17trampoline_kernelINS0_14default_configENS1_25partition_config_selectorILNS1_17partition_subalgoE5ElNS0_10empty_typeEbEEZZNS1_14partition_implILS5_5ELb0ES3_mN6hipcub16HIPCUB_304000_NS21CountingInputIteratorIllEEPS6_NSA_22TransformInputIteratorIb7NonZeroIsEPslEENS0_5tupleIJPlS6_EEENSJ_IJSD_SD_EEES6_SK_JS6_EEE10hipError_tPvRmT3_T4_T5_T6_T7_T9_mT8_P12ihipStream_tbDpT10_ENKUlT_T0_E_clISt17integral_constantIbLb0EES16_EEDaS11_S12_EUlS11_E_NS1_11comp_targetILNS1_3genE10ELNS1_11target_archE1200ELNS1_3gpuE4ELNS1_3repE0EEENS1_30default_config_static_selectorELNS0_4arch9wavefront6targetE1EEEvT1_.kd
    .uniform_work_group_size: 1
    .uses_dynamic_stack: false
    .vgpr_count:     0
    .vgpr_spill_count: 0
    .wavefront_size: 64
  - .agpr_count:     0
    .args:
      - .offset:         0
        .size:           120
        .value_kind:     by_value
    .group_segment_fixed_size: 0
    .kernarg_segment_align: 8
    .kernarg_segment_size: 120
    .language:       OpenCL C
    .language_version:
      - 2
      - 0
    .max_flat_workgroup_size: 128
    .name:           _ZN7rocprim17ROCPRIM_400000_NS6detail17trampoline_kernelINS0_14default_configENS1_25partition_config_selectorILNS1_17partition_subalgoE5ElNS0_10empty_typeEbEEZZNS1_14partition_implILS5_5ELb0ES3_mN6hipcub16HIPCUB_304000_NS21CountingInputIteratorIllEEPS6_NSA_22TransformInputIteratorIb7NonZeroIsEPslEENS0_5tupleIJPlS6_EEENSJ_IJSD_SD_EEES6_SK_JS6_EEE10hipError_tPvRmT3_T4_T5_T6_T7_T9_mT8_P12ihipStream_tbDpT10_ENKUlT_T0_E_clISt17integral_constantIbLb0EES16_EEDaS11_S12_EUlS11_E_NS1_11comp_targetILNS1_3genE9ELNS1_11target_archE1100ELNS1_3gpuE3ELNS1_3repE0EEENS1_30default_config_static_selectorELNS0_4arch9wavefront6targetE1EEEvT1_
    .private_segment_fixed_size: 0
    .sgpr_count:     6
    .sgpr_spill_count: 0
    .symbol:         _ZN7rocprim17ROCPRIM_400000_NS6detail17trampoline_kernelINS0_14default_configENS1_25partition_config_selectorILNS1_17partition_subalgoE5ElNS0_10empty_typeEbEEZZNS1_14partition_implILS5_5ELb0ES3_mN6hipcub16HIPCUB_304000_NS21CountingInputIteratorIllEEPS6_NSA_22TransformInputIteratorIb7NonZeroIsEPslEENS0_5tupleIJPlS6_EEENSJ_IJSD_SD_EEES6_SK_JS6_EEE10hipError_tPvRmT3_T4_T5_T6_T7_T9_mT8_P12ihipStream_tbDpT10_ENKUlT_T0_E_clISt17integral_constantIbLb0EES16_EEDaS11_S12_EUlS11_E_NS1_11comp_targetILNS1_3genE9ELNS1_11target_archE1100ELNS1_3gpuE3ELNS1_3repE0EEENS1_30default_config_static_selectorELNS0_4arch9wavefront6targetE1EEEvT1_.kd
    .uniform_work_group_size: 1
    .uses_dynamic_stack: false
    .vgpr_count:     0
    .vgpr_spill_count: 0
    .wavefront_size: 64
  - .agpr_count:     0
    .args:
      - .offset:         0
        .size:           120
        .value_kind:     by_value
    .group_segment_fixed_size: 0
    .kernarg_segment_align: 8
    .kernarg_segment_size: 120
    .language:       OpenCL C
    .language_version:
      - 2
      - 0
    .max_flat_workgroup_size: 512
    .name:           _ZN7rocprim17ROCPRIM_400000_NS6detail17trampoline_kernelINS0_14default_configENS1_25partition_config_selectorILNS1_17partition_subalgoE5ElNS0_10empty_typeEbEEZZNS1_14partition_implILS5_5ELb0ES3_mN6hipcub16HIPCUB_304000_NS21CountingInputIteratorIllEEPS6_NSA_22TransformInputIteratorIb7NonZeroIsEPslEENS0_5tupleIJPlS6_EEENSJ_IJSD_SD_EEES6_SK_JS6_EEE10hipError_tPvRmT3_T4_T5_T6_T7_T9_mT8_P12ihipStream_tbDpT10_ENKUlT_T0_E_clISt17integral_constantIbLb0EES16_EEDaS11_S12_EUlS11_E_NS1_11comp_targetILNS1_3genE8ELNS1_11target_archE1030ELNS1_3gpuE2ELNS1_3repE0EEENS1_30default_config_static_selectorELNS0_4arch9wavefront6targetE1EEEvT1_
    .private_segment_fixed_size: 0
    .sgpr_count:     6
    .sgpr_spill_count: 0
    .symbol:         _ZN7rocprim17ROCPRIM_400000_NS6detail17trampoline_kernelINS0_14default_configENS1_25partition_config_selectorILNS1_17partition_subalgoE5ElNS0_10empty_typeEbEEZZNS1_14partition_implILS5_5ELb0ES3_mN6hipcub16HIPCUB_304000_NS21CountingInputIteratorIllEEPS6_NSA_22TransformInputIteratorIb7NonZeroIsEPslEENS0_5tupleIJPlS6_EEENSJ_IJSD_SD_EEES6_SK_JS6_EEE10hipError_tPvRmT3_T4_T5_T6_T7_T9_mT8_P12ihipStream_tbDpT10_ENKUlT_T0_E_clISt17integral_constantIbLb0EES16_EEDaS11_S12_EUlS11_E_NS1_11comp_targetILNS1_3genE8ELNS1_11target_archE1030ELNS1_3gpuE2ELNS1_3repE0EEENS1_30default_config_static_selectorELNS0_4arch9wavefront6targetE1EEEvT1_.kd
    .uniform_work_group_size: 1
    .uses_dynamic_stack: false
    .vgpr_count:     0
    .vgpr_spill_count: 0
    .wavefront_size: 64
  - .agpr_count:     0
    .args:
      - .offset:         0
        .size:           136
        .value_kind:     by_value
    .group_segment_fixed_size: 0
    .kernarg_segment_align: 8
    .kernarg_segment_size: 136
    .language:       OpenCL C
    .language_version:
      - 2
      - 0
    .max_flat_workgroup_size: 128
    .name:           _ZN7rocprim17ROCPRIM_400000_NS6detail17trampoline_kernelINS0_14default_configENS1_25partition_config_selectorILNS1_17partition_subalgoE5ElNS0_10empty_typeEbEEZZNS1_14partition_implILS5_5ELb0ES3_mN6hipcub16HIPCUB_304000_NS21CountingInputIteratorIllEEPS6_NSA_22TransformInputIteratorIb7NonZeroIsEPslEENS0_5tupleIJPlS6_EEENSJ_IJSD_SD_EEES6_SK_JS6_EEE10hipError_tPvRmT3_T4_T5_T6_T7_T9_mT8_P12ihipStream_tbDpT10_ENKUlT_T0_E_clISt17integral_constantIbLb1EES16_EEDaS11_S12_EUlS11_E_NS1_11comp_targetILNS1_3genE0ELNS1_11target_archE4294967295ELNS1_3gpuE0ELNS1_3repE0EEENS1_30default_config_static_selectorELNS0_4arch9wavefront6targetE1EEEvT1_
    .private_segment_fixed_size: 0
    .sgpr_count:     6
    .sgpr_spill_count: 0
    .symbol:         _ZN7rocprim17ROCPRIM_400000_NS6detail17trampoline_kernelINS0_14default_configENS1_25partition_config_selectorILNS1_17partition_subalgoE5ElNS0_10empty_typeEbEEZZNS1_14partition_implILS5_5ELb0ES3_mN6hipcub16HIPCUB_304000_NS21CountingInputIteratorIllEEPS6_NSA_22TransformInputIteratorIb7NonZeroIsEPslEENS0_5tupleIJPlS6_EEENSJ_IJSD_SD_EEES6_SK_JS6_EEE10hipError_tPvRmT3_T4_T5_T6_T7_T9_mT8_P12ihipStream_tbDpT10_ENKUlT_T0_E_clISt17integral_constantIbLb1EES16_EEDaS11_S12_EUlS11_E_NS1_11comp_targetILNS1_3genE0ELNS1_11target_archE4294967295ELNS1_3gpuE0ELNS1_3repE0EEENS1_30default_config_static_selectorELNS0_4arch9wavefront6targetE1EEEvT1_.kd
    .uniform_work_group_size: 1
    .uses_dynamic_stack: false
    .vgpr_count:     0
    .vgpr_spill_count: 0
    .wavefront_size: 64
  - .agpr_count:     0
    .args:
      - .offset:         0
        .size:           136
        .value_kind:     by_value
    .group_segment_fixed_size: 0
    .kernarg_segment_align: 8
    .kernarg_segment_size: 136
    .language:       OpenCL C
    .language_version:
      - 2
      - 0
    .max_flat_workgroup_size: 512
    .name:           _ZN7rocprim17ROCPRIM_400000_NS6detail17trampoline_kernelINS0_14default_configENS1_25partition_config_selectorILNS1_17partition_subalgoE5ElNS0_10empty_typeEbEEZZNS1_14partition_implILS5_5ELb0ES3_mN6hipcub16HIPCUB_304000_NS21CountingInputIteratorIllEEPS6_NSA_22TransformInputIteratorIb7NonZeroIsEPslEENS0_5tupleIJPlS6_EEENSJ_IJSD_SD_EEES6_SK_JS6_EEE10hipError_tPvRmT3_T4_T5_T6_T7_T9_mT8_P12ihipStream_tbDpT10_ENKUlT_T0_E_clISt17integral_constantIbLb1EES16_EEDaS11_S12_EUlS11_E_NS1_11comp_targetILNS1_3genE5ELNS1_11target_archE942ELNS1_3gpuE9ELNS1_3repE0EEENS1_30default_config_static_selectorELNS0_4arch9wavefront6targetE1EEEvT1_
    .private_segment_fixed_size: 0
    .sgpr_count:     6
    .sgpr_spill_count: 0
    .symbol:         _ZN7rocprim17ROCPRIM_400000_NS6detail17trampoline_kernelINS0_14default_configENS1_25partition_config_selectorILNS1_17partition_subalgoE5ElNS0_10empty_typeEbEEZZNS1_14partition_implILS5_5ELb0ES3_mN6hipcub16HIPCUB_304000_NS21CountingInputIteratorIllEEPS6_NSA_22TransformInputIteratorIb7NonZeroIsEPslEENS0_5tupleIJPlS6_EEENSJ_IJSD_SD_EEES6_SK_JS6_EEE10hipError_tPvRmT3_T4_T5_T6_T7_T9_mT8_P12ihipStream_tbDpT10_ENKUlT_T0_E_clISt17integral_constantIbLb1EES16_EEDaS11_S12_EUlS11_E_NS1_11comp_targetILNS1_3genE5ELNS1_11target_archE942ELNS1_3gpuE9ELNS1_3repE0EEENS1_30default_config_static_selectorELNS0_4arch9wavefront6targetE1EEEvT1_.kd
    .uniform_work_group_size: 1
    .uses_dynamic_stack: false
    .vgpr_count:     0
    .vgpr_spill_count: 0
    .wavefront_size: 64
  - .agpr_count:     0
    .args:
      - .offset:         0
        .size:           136
        .value_kind:     by_value
    .group_segment_fixed_size: 0
    .kernarg_segment_align: 8
    .kernarg_segment_size: 136
    .language:       OpenCL C
    .language_version:
      - 2
      - 0
    .max_flat_workgroup_size: 192
    .name:           _ZN7rocprim17ROCPRIM_400000_NS6detail17trampoline_kernelINS0_14default_configENS1_25partition_config_selectorILNS1_17partition_subalgoE5ElNS0_10empty_typeEbEEZZNS1_14partition_implILS5_5ELb0ES3_mN6hipcub16HIPCUB_304000_NS21CountingInputIteratorIllEEPS6_NSA_22TransformInputIteratorIb7NonZeroIsEPslEENS0_5tupleIJPlS6_EEENSJ_IJSD_SD_EEES6_SK_JS6_EEE10hipError_tPvRmT3_T4_T5_T6_T7_T9_mT8_P12ihipStream_tbDpT10_ENKUlT_T0_E_clISt17integral_constantIbLb1EES16_EEDaS11_S12_EUlS11_E_NS1_11comp_targetILNS1_3genE4ELNS1_11target_archE910ELNS1_3gpuE8ELNS1_3repE0EEENS1_30default_config_static_selectorELNS0_4arch9wavefront6targetE1EEEvT1_
    .private_segment_fixed_size: 0
    .sgpr_count:     6
    .sgpr_spill_count: 0
    .symbol:         _ZN7rocprim17ROCPRIM_400000_NS6detail17trampoline_kernelINS0_14default_configENS1_25partition_config_selectorILNS1_17partition_subalgoE5ElNS0_10empty_typeEbEEZZNS1_14partition_implILS5_5ELb0ES3_mN6hipcub16HIPCUB_304000_NS21CountingInputIteratorIllEEPS6_NSA_22TransformInputIteratorIb7NonZeroIsEPslEENS0_5tupleIJPlS6_EEENSJ_IJSD_SD_EEES6_SK_JS6_EEE10hipError_tPvRmT3_T4_T5_T6_T7_T9_mT8_P12ihipStream_tbDpT10_ENKUlT_T0_E_clISt17integral_constantIbLb1EES16_EEDaS11_S12_EUlS11_E_NS1_11comp_targetILNS1_3genE4ELNS1_11target_archE910ELNS1_3gpuE8ELNS1_3repE0EEENS1_30default_config_static_selectorELNS0_4arch9wavefront6targetE1EEEvT1_.kd
    .uniform_work_group_size: 1
    .uses_dynamic_stack: false
    .vgpr_count:     0
    .vgpr_spill_count: 0
    .wavefront_size: 64
  - .agpr_count:     0
    .args:
      - .offset:         0
        .size:           136
        .value_kind:     by_value
    .group_segment_fixed_size: 0
    .kernarg_segment_align: 8
    .kernarg_segment_size: 136
    .language:       OpenCL C
    .language_version:
      - 2
      - 0
    .max_flat_workgroup_size: 128
    .name:           _ZN7rocprim17ROCPRIM_400000_NS6detail17trampoline_kernelINS0_14default_configENS1_25partition_config_selectorILNS1_17partition_subalgoE5ElNS0_10empty_typeEbEEZZNS1_14partition_implILS5_5ELb0ES3_mN6hipcub16HIPCUB_304000_NS21CountingInputIteratorIllEEPS6_NSA_22TransformInputIteratorIb7NonZeroIsEPslEENS0_5tupleIJPlS6_EEENSJ_IJSD_SD_EEES6_SK_JS6_EEE10hipError_tPvRmT3_T4_T5_T6_T7_T9_mT8_P12ihipStream_tbDpT10_ENKUlT_T0_E_clISt17integral_constantIbLb1EES16_EEDaS11_S12_EUlS11_E_NS1_11comp_targetILNS1_3genE3ELNS1_11target_archE908ELNS1_3gpuE7ELNS1_3repE0EEENS1_30default_config_static_selectorELNS0_4arch9wavefront6targetE1EEEvT1_
    .private_segment_fixed_size: 0
    .sgpr_count:     6
    .sgpr_spill_count: 0
    .symbol:         _ZN7rocprim17ROCPRIM_400000_NS6detail17trampoline_kernelINS0_14default_configENS1_25partition_config_selectorILNS1_17partition_subalgoE5ElNS0_10empty_typeEbEEZZNS1_14partition_implILS5_5ELb0ES3_mN6hipcub16HIPCUB_304000_NS21CountingInputIteratorIllEEPS6_NSA_22TransformInputIteratorIb7NonZeroIsEPslEENS0_5tupleIJPlS6_EEENSJ_IJSD_SD_EEES6_SK_JS6_EEE10hipError_tPvRmT3_T4_T5_T6_T7_T9_mT8_P12ihipStream_tbDpT10_ENKUlT_T0_E_clISt17integral_constantIbLb1EES16_EEDaS11_S12_EUlS11_E_NS1_11comp_targetILNS1_3genE3ELNS1_11target_archE908ELNS1_3gpuE7ELNS1_3repE0EEENS1_30default_config_static_selectorELNS0_4arch9wavefront6targetE1EEEvT1_.kd
    .uniform_work_group_size: 1
    .uses_dynamic_stack: false
    .vgpr_count:     0
    .vgpr_spill_count: 0
    .wavefront_size: 64
  - .agpr_count:     0
    .args:
      - .offset:         0
        .size:           136
        .value_kind:     by_value
    .group_segment_fixed_size: 0
    .kernarg_segment_align: 8
    .kernarg_segment_size: 136
    .language:       OpenCL C
    .language_version:
      - 2
      - 0
    .max_flat_workgroup_size: 256
    .name:           _ZN7rocprim17ROCPRIM_400000_NS6detail17trampoline_kernelINS0_14default_configENS1_25partition_config_selectorILNS1_17partition_subalgoE5ElNS0_10empty_typeEbEEZZNS1_14partition_implILS5_5ELb0ES3_mN6hipcub16HIPCUB_304000_NS21CountingInputIteratorIllEEPS6_NSA_22TransformInputIteratorIb7NonZeroIsEPslEENS0_5tupleIJPlS6_EEENSJ_IJSD_SD_EEES6_SK_JS6_EEE10hipError_tPvRmT3_T4_T5_T6_T7_T9_mT8_P12ihipStream_tbDpT10_ENKUlT_T0_E_clISt17integral_constantIbLb1EES16_EEDaS11_S12_EUlS11_E_NS1_11comp_targetILNS1_3genE2ELNS1_11target_archE906ELNS1_3gpuE6ELNS1_3repE0EEENS1_30default_config_static_selectorELNS0_4arch9wavefront6targetE1EEEvT1_
    .private_segment_fixed_size: 0
    .sgpr_count:     6
    .sgpr_spill_count: 0
    .symbol:         _ZN7rocprim17ROCPRIM_400000_NS6detail17trampoline_kernelINS0_14default_configENS1_25partition_config_selectorILNS1_17partition_subalgoE5ElNS0_10empty_typeEbEEZZNS1_14partition_implILS5_5ELb0ES3_mN6hipcub16HIPCUB_304000_NS21CountingInputIteratorIllEEPS6_NSA_22TransformInputIteratorIb7NonZeroIsEPslEENS0_5tupleIJPlS6_EEENSJ_IJSD_SD_EEES6_SK_JS6_EEE10hipError_tPvRmT3_T4_T5_T6_T7_T9_mT8_P12ihipStream_tbDpT10_ENKUlT_T0_E_clISt17integral_constantIbLb1EES16_EEDaS11_S12_EUlS11_E_NS1_11comp_targetILNS1_3genE2ELNS1_11target_archE906ELNS1_3gpuE6ELNS1_3repE0EEENS1_30default_config_static_selectorELNS0_4arch9wavefront6targetE1EEEvT1_.kd
    .uniform_work_group_size: 1
    .uses_dynamic_stack: false
    .vgpr_count:     0
    .vgpr_spill_count: 0
    .wavefront_size: 64
  - .agpr_count:     0
    .args:
      - .offset:         0
        .size:           136
        .value_kind:     by_value
    .group_segment_fixed_size: 0
    .kernarg_segment_align: 8
    .kernarg_segment_size: 136
    .language:       OpenCL C
    .language_version:
      - 2
      - 0
    .max_flat_workgroup_size: 256
    .name:           _ZN7rocprim17ROCPRIM_400000_NS6detail17trampoline_kernelINS0_14default_configENS1_25partition_config_selectorILNS1_17partition_subalgoE5ElNS0_10empty_typeEbEEZZNS1_14partition_implILS5_5ELb0ES3_mN6hipcub16HIPCUB_304000_NS21CountingInputIteratorIllEEPS6_NSA_22TransformInputIteratorIb7NonZeroIsEPslEENS0_5tupleIJPlS6_EEENSJ_IJSD_SD_EEES6_SK_JS6_EEE10hipError_tPvRmT3_T4_T5_T6_T7_T9_mT8_P12ihipStream_tbDpT10_ENKUlT_T0_E_clISt17integral_constantIbLb1EES16_EEDaS11_S12_EUlS11_E_NS1_11comp_targetILNS1_3genE10ELNS1_11target_archE1200ELNS1_3gpuE4ELNS1_3repE0EEENS1_30default_config_static_selectorELNS0_4arch9wavefront6targetE1EEEvT1_
    .private_segment_fixed_size: 0
    .sgpr_count:     6
    .sgpr_spill_count: 0
    .symbol:         _ZN7rocprim17ROCPRIM_400000_NS6detail17trampoline_kernelINS0_14default_configENS1_25partition_config_selectorILNS1_17partition_subalgoE5ElNS0_10empty_typeEbEEZZNS1_14partition_implILS5_5ELb0ES3_mN6hipcub16HIPCUB_304000_NS21CountingInputIteratorIllEEPS6_NSA_22TransformInputIteratorIb7NonZeroIsEPslEENS0_5tupleIJPlS6_EEENSJ_IJSD_SD_EEES6_SK_JS6_EEE10hipError_tPvRmT3_T4_T5_T6_T7_T9_mT8_P12ihipStream_tbDpT10_ENKUlT_T0_E_clISt17integral_constantIbLb1EES16_EEDaS11_S12_EUlS11_E_NS1_11comp_targetILNS1_3genE10ELNS1_11target_archE1200ELNS1_3gpuE4ELNS1_3repE0EEENS1_30default_config_static_selectorELNS0_4arch9wavefront6targetE1EEEvT1_.kd
    .uniform_work_group_size: 1
    .uses_dynamic_stack: false
    .vgpr_count:     0
    .vgpr_spill_count: 0
    .wavefront_size: 64
  - .agpr_count:     0
    .args:
      - .offset:         0
        .size:           136
        .value_kind:     by_value
    .group_segment_fixed_size: 0
    .kernarg_segment_align: 8
    .kernarg_segment_size: 136
    .language:       OpenCL C
    .language_version:
      - 2
      - 0
    .max_flat_workgroup_size: 128
    .name:           _ZN7rocprim17ROCPRIM_400000_NS6detail17trampoline_kernelINS0_14default_configENS1_25partition_config_selectorILNS1_17partition_subalgoE5ElNS0_10empty_typeEbEEZZNS1_14partition_implILS5_5ELb0ES3_mN6hipcub16HIPCUB_304000_NS21CountingInputIteratorIllEEPS6_NSA_22TransformInputIteratorIb7NonZeroIsEPslEENS0_5tupleIJPlS6_EEENSJ_IJSD_SD_EEES6_SK_JS6_EEE10hipError_tPvRmT3_T4_T5_T6_T7_T9_mT8_P12ihipStream_tbDpT10_ENKUlT_T0_E_clISt17integral_constantIbLb1EES16_EEDaS11_S12_EUlS11_E_NS1_11comp_targetILNS1_3genE9ELNS1_11target_archE1100ELNS1_3gpuE3ELNS1_3repE0EEENS1_30default_config_static_selectorELNS0_4arch9wavefront6targetE1EEEvT1_
    .private_segment_fixed_size: 0
    .sgpr_count:     6
    .sgpr_spill_count: 0
    .symbol:         _ZN7rocprim17ROCPRIM_400000_NS6detail17trampoline_kernelINS0_14default_configENS1_25partition_config_selectorILNS1_17partition_subalgoE5ElNS0_10empty_typeEbEEZZNS1_14partition_implILS5_5ELb0ES3_mN6hipcub16HIPCUB_304000_NS21CountingInputIteratorIllEEPS6_NSA_22TransformInputIteratorIb7NonZeroIsEPslEENS0_5tupleIJPlS6_EEENSJ_IJSD_SD_EEES6_SK_JS6_EEE10hipError_tPvRmT3_T4_T5_T6_T7_T9_mT8_P12ihipStream_tbDpT10_ENKUlT_T0_E_clISt17integral_constantIbLb1EES16_EEDaS11_S12_EUlS11_E_NS1_11comp_targetILNS1_3genE9ELNS1_11target_archE1100ELNS1_3gpuE3ELNS1_3repE0EEENS1_30default_config_static_selectorELNS0_4arch9wavefront6targetE1EEEvT1_.kd
    .uniform_work_group_size: 1
    .uses_dynamic_stack: false
    .vgpr_count:     0
    .vgpr_spill_count: 0
    .wavefront_size: 64
  - .agpr_count:     0
    .args:
      - .offset:         0
        .size:           136
        .value_kind:     by_value
    .group_segment_fixed_size: 0
    .kernarg_segment_align: 8
    .kernarg_segment_size: 136
    .language:       OpenCL C
    .language_version:
      - 2
      - 0
    .max_flat_workgroup_size: 512
    .name:           _ZN7rocprim17ROCPRIM_400000_NS6detail17trampoline_kernelINS0_14default_configENS1_25partition_config_selectorILNS1_17partition_subalgoE5ElNS0_10empty_typeEbEEZZNS1_14partition_implILS5_5ELb0ES3_mN6hipcub16HIPCUB_304000_NS21CountingInputIteratorIllEEPS6_NSA_22TransformInputIteratorIb7NonZeroIsEPslEENS0_5tupleIJPlS6_EEENSJ_IJSD_SD_EEES6_SK_JS6_EEE10hipError_tPvRmT3_T4_T5_T6_T7_T9_mT8_P12ihipStream_tbDpT10_ENKUlT_T0_E_clISt17integral_constantIbLb1EES16_EEDaS11_S12_EUlS11_E_NS1_11comp_targetILNS1_3genE8ELNS1_11target_archE1030ELNS1_3gpuE2ELNS1_3repE0EEENS1_30default_config_static_selectorELNS0_4arch9wavefront6targetE1EEEvT1_
    .private_segment_fixed_size: 0
    .sgpr_count:     6
    .sgpr_spill_count: 0
    .symbol:         _ZN7rocprim17ROCPRIM_400000_NS6detail17trampoline_kernelINS0_14default_configENS1_25partition_config_selectorILNS1_17partition_subalgoE5ElNS0_10empty_typeEbEEZZNS1_14partition_implILS5_5ELb0ES3_mN6hipcub16HIPCUB_304000_NS21CountingInputIteratorIllEEPS6_NSA_22TransformInputIteratorIb7NonZeroIsEPslEENS0_5tupleIJPlS6_EEENSJ_IJSD_SD_EEES6_SK_JS6_EEE10hipError_tPvRmT3_T4_T5_T6_T7_T9_mT8_P12ihipStream_tbDpT10_ENKUlT_T0_E_clISt17integral_constantIbLb1EES16_EEDaS11_S12_EUlS11_E_NS1_11comp_targetILNS1_3genE8ELNS1_11target_archE1030ELNS1_3gpuE2ELNS1_3repE0EEENS1_30default_config_static_selectorELNS0_4arch9wavefront6targetE1EEEvT1_.kd
    .uniform_work_group_size: 1
    .uses_dynamic_stack: false
    .vgpr_count:     0
    .vgpr_spill_count: 0
    .wavefront_size: 64
  - .agpr_count:     0
    .args:
      - .offset:         0
        .size:           120
        .value_kind:     by_value
    .group_segment_fixed_size: 0
    .kernarg_segment_align: 8
    .kernarg_segment_size: 120
    .language:       OpenCL C
    .language_version:
      - 2
      - 0
    .max_flat_workgroup_size: 128
    .name:           _ZN7rocprim17ROCPRIM_400000_NS6detail17trampoline_kernelINS0_14default_configENS1_25partition_config_selectorILNS1_17partition_subalgoE5ElNS0_10empty_typeEbEEZZNS1_14partition_implILS5_5ELb0ES3_mN6hipcub16HIPCUB_304000_NS21CountingInputIteratorIllEEPS6_NSA_22TransformInputIteratorIb7NonZeroIsEPslEENS0_5tupleIJPlS6_EEENSJ_IJSD_SD_EEES6_SK_JS6_EEE10hipError_tPvRmT3_T4_T5_T6_T7_T9_mT8_P12ihipStream_tbDpT10_ENKUlT_T0_E_clISt17integral_constantIbLb1EES15_IbLb0EEEEDaS11_S12_EUlS11_E_NS1_11comp_targetILNS1_3genE0ELNS1_11target_archE4294967295ELNS1_3gpuE0ELNS1_3repE0EEENS1_30default_config_static_selectorELNS0_4arch9wavefront6targetE1EEEvT1_
    .private_segment_fixed_size: 0
    .sgpr_count:     6
    .sgpr_spill_count: 0
    .symbol:         _ZN7rocprim17ROCPRIM_400000_NS6detail17trampoline_kernelINS0_14default_configENS1_25partition_config_selectorILNS1_17partition_subalgoE5ElNS0_10empty_typeEbEEZZNS1_14partition_implILS5_5ELb0ES3_mN6hipcub16HIPCUB_304000_NS21CountingInputIteratorIllEEPS6_NSA_22TransformInputIteratorIb7NonZeroIsEPslEENS0_5tupleIJPlS6_EEENSJ_IJSD_SD_EEES6_SK_JS6_EEE10hipError_tPvRmT3_T4_T5_T6_T7_T9_mT8_P12ihipStream_tbDpT10_ENKUlT_T0_E_clISt17integral_constantIbLb1EES15_IbLb0EEEEDaS11_S12_EUlS11_E_NS1_11comp_targetILNS1_3genE0ELNS1_11target_archE4294967295ELNS1_3gpuE0ELNS1_3repE0EEENS1_30default_config_static_selectorELNS0_4arch9wavefront6targetE1EEEvT1_.kd
    .uniform_work_group_size: 1
    .uses_dynamic_stack: false
    .vgpr_count:     0
    .vgpr_spill_count: 0
    .wavefront_size: 64
  - .agpr_count:     0
    .args:
      - .offset:         0
        .size:           120
        .value_kind:     by_value
    .group_segment_fixed_size: 0
    .kernarg_segment_align: 8
    .kernarg_segment_size: 120
    .language:       OpenCL C
    .language_version:
      - 2
      - 0
    .max_flat_workgroup_size: 512
    .name:           _ZN7rocprim17ROCPRIM_400000_NS6detail17trampoline_kernelINS0_14default_configENS1_25partition_config_selectorILNS1_17partition_subalgoE5ElNS0_10empty_typeEbEEZZNS1_14partition_implILS5_5ELb0ES3_mN6hipcub16HIPCUB_304000_NS21CountingInputIteratorIllEEPS6_NSA_22TransformInputIteratorIb7NonZeroIsEPslEENS0_5tupleIJPlS6_EEENSJ_IJSD_SD_EEES6_SK_JS6_EEE10hipError_tPvRmT3_T4_T5_T6_T7_T9_mT8_P12ihipStream_tbDpT10_ENKUlT_T0_E_clISt17integral_constantIbLb1EES15_IbLb0EEEEDaS11_S12_EUlS11_E_NS1_11comp_targetILNS1_3genE5ELNS1_11target_archE942ELNS1_3gpuE9ELNS1_3repE0EEENS1_30default_config_static_selectorELNS0_4arch9wavefront6targetE1EEEvT1_
    .private_segment_fixed_size: 0
    .sgpr_count:     6
    .sgpr_spill_count: 0
    .symbol:         _ZN7rocprim17ROCPRIM_400000_NS6detail17trampoline_kernelINS0_14default_configENS1_25partition_config_selectorILNS1_17partition_subalgoE5ElNS0_10empty_typeEbEEZZNS1_14partition_implILS5_5ELb0ES3_mN6hipcub16HIPCUB_304000_NS21CountingInputIteratorIllEEPS6_NSA_22TransformInputIteratorIb7NonZeroIsEPslEENS0_5tupleIJPlS6_EEENSJ_IJSD_SD_EEES6_SK_JS6_EEE10hipError_tPvRmT3_T4_T5_T6_T7_T9_mT8_P12ihipStream_tbDpT10_ENKUlT_T0_E_clISt17integral_constantIbLb1EES15_IbLb0EEEEDaS11_S12_EUlS11_E_NS1_11comp_targetILNS1_3genE5ELNS1_11target_archE942ELNS1_3gpuE9ELNS1_3repE0EEENS1_30default_config_static_selectorELNS0_4arch9wavefront6targetE1EEEvT1_.kd
    .uniform_work_group_size: 1
    .uses_dynamic_stack: false
    .vgpr_count:     0
    .vgpr_spill_count: 0
    .wavefront_size: 64
  - .agpr_count:     0
    .args:
      - .offset:         0
        .size:           120
        .value_kind:     by_value
    .group_segment_fixed_size: 0
    .kernarg_segment_align: 8
    .kernarg_segment_size: 120
    .language:       OpenCL C
    .language_version:
      - 2
      - 0
    .max_flat_workgroup_size: 192
    .name:           _ZN7rocprim17ROCPRIM_400000_NS6detail17trampoline_kernelINS0_14default_configENS1_25partition_config_selectorILNS1_17partition_subalgoE5ElNS0_10empty_typeEbEEZZNS1_14partition_implILS5_5ELb0ES3_mN6hipcub16HIPCUB_304000_NS21CountingInputIteratorIllEEPS6_NSA_22TransformInputIteratorIb7NonZeroIsEPslEENS0_5tupleIJPlS6_EEENSJ_IJSD_SD_EEES6_SK_JS6_EEE10hipError_tPvRmT3_T4_T5_T6_T7_T9_mT8_P12ihipStream_tbDpT10_ENKUlT_T0_E_clISt17integral_constantIbLb1EES15_IbLb0EEEEDaS11_S12_EUlS11_E_NS1_11comp_targetILNS1_3genE4ELNS1_11target_archE910ELNS1_3gpuE8ELNS1_3repE0EEENS1_30default_config_static_selectorELNS0_4arch9wavefront6targetE1EEEvT1_
    .private_segment_fixed_size: 0
    .sgpr_count:     6
    .sgpr_spill_count: 0
    .symbol:         _ZN7rocprim17ROCPRIM_400000_NS6detail17trampoline_kernelINS0_14default_configENS1_25partition_config_selectorILNS1_17partition_subalgoE5ElNS0_10empty_typeEbEEZZNS1_14partition_implILS5_5ELb0ES3_mN6hipcub16HIPCUB_304000_NS21CountingInputIteratorIllEEPS6_NSA_22TransformInputIteratorIb7NonZeroIsEPslEENS0_5tupleIJPlS6_EEENSJ_IJSD_SD_EEES6_SK_JS6_EEE10hipError_tPvRmT3_T4_T5_T6_T7_T9_mT8_P12ihipStream_tbDpT10_ENKUlT_T0_E_clISt17integral_constantIbLb1EES15_IbLb0EEEEDaS11_S12_EUlS11_E_NS1_11comp_targetILNS1_3genE4ELNS1_11target_archE910ELNS1_3gpuE8ELNS1_3repE0EEENS1_30default_config_static_selectorELNS0_4arch9wavefront6targetE1EEEvT1_.kd
    .uniform_work_group_size: 1
    .uses_dynamic_stack: false
    .vgpr_count:     0
    .vgpr_spill_count: 0
    .wavefront_size: 64
  - .agpr_count:     0
    .args:
      - .offset:         0
        .size:           120
        .value_kind:     by_value
    .group_segment_fixed_size: 0
    .kernarg_segment_align: 8
    .kernarg_segment_size: 120
    .language:       OpenCL C
    .language_version:
      - 2
      - 0
    .max_flat_workgroup_size: 128
    .name:           _ZN7rocprim17ROCPRIM_400000_NS6detail17trampoline_kernelINS0_14default_configENS1_25partition_config_selectorILNS1_17partition_subalgoE5ElNS0_10empty_typeEbEEZZNS1_14partition_implILS5_5ELb0ES3_mN6hipcub16HIPCUB_304000_NS21CountingInputIteratorIllEEPS6_NSA_22TransformInputIteratorIb7NonZeroIsEPslEENS0_5tupleIJPlS6_EEENSJ_IJSD_SD_EEES6_SK_JS6_EEE10hipError_tPvRmT3_T4_T5_T6_T7_T9_mT8_P12ihipStream_tbDpT10_ENKUlT_T0_E_clISt17integral_constantIbLb1EES15_IbLb0EEEEDaS11_S12_EUlS11_E_NS1_11comp_targetILNS1_3genE3ELNS1_11target_archE908ELNS1_3gpuE7ELNS1_3repE0EEENS1_30default_config_static_selectorELNS0_4arch9wavefront6targetE1EEEvT1_
    .private_segment_fixed_size: 0
    .sgpr_count:     6
    .sgpr_spill_count: 0
    .symbol:         _ZN7rocprim17ROCPRIM_400000_NS6detail17trampoline_kernelINS0_14default_configENS1_25partition_config_selectorILNS1_17partition_subalgoE5ElNS0_10empty_typeEbEEZZNS1_14partition_implILS5_5ELb0ES3_mN6hipcub16HIPCUB_304000_NS21CountingInputIteratorIllEEPS6_NSA_22TransformInputIteratorIb7NonZeroIsEPslEENS0_5tupleIJPlS6_EEENSJ_IJSD_SD_EEES6_SK_JS6_EEE10hipError_tPvRmT3_T4_T5_T6_T7_T9_mT8_P12ihipStream_tbDpT10_ENKUlT_T0_E_clISt17integral_constantIbLb1EES15_IbLb0EEEEDaS11_S12_EUlS11_E_NS1_11comp_targetILNS1_3genE3ELNS1_11target_archE908ELNS1_3gpuE7ELNS1_3repE0EEENS1_30default_config_static_selectorELNS0_4arch9wavefront6targetE1EEEvT1_.kd
    .uniform_work_group_size: 1
    .uses_dynamic_stack: false
    .vgpr_count:     0
    .vgpr_spill_count: 0
    .wavefront_size: 64
  - .agpr_count:     0
    .args:
      - .offset:         0
        .size:           120
        .value_kind:     by_value
    .group_segment_fixed_size: 0
    .kernarg_segment_align: 8
    .kernarg_segment_size: 120
    .language:       OpenCL C
    .language_version:
      - 2
      - 0
    .max_flat_workgroup_size: 256
    .name:           _ZN7rocprim17ROCPRIM_400000_NS6detail17trampoline_kernelINS0_14default_configENS1_25partition_config_selectorILNS1_17partition_subalgoE5ElNS0_10empty_typeEbEEZZNS1_14partition_implILS5_5ELb0ES3_mN6hipcub16HIPCUB_304000_NS21CountingInputIteratorIllEEPS6_NSA_22TransformInputIteratorIb7NonZeroIsEPslEENS0_5tupleIJPlS6_EEENSJ_IJSD_SD_EEES6_SK_JS6_EEE10hipError_tPvRmT3_T4_T5_T6_T7_T9_mT8_P12ihipStream_tbDpT10_ENKUlT_T0_E_clISt17integral_constantIbLb1EES15_IbLb0EEEEDaS11_S12_EUlS11_E_NS1_11comp_targetILNS1_3genE2ELNS1_11target_archE906ELNS1_3gpuE6ELNS1_3repE0EEENS1_30default_config_static_selectorELNS0_4arch9wavefront6targetE1EEEvT1_
    .private_segment_fixed_size: 0
    .sgpr_count:     6
    .sgpr_spill_count: 0
    .symbol:         _ZN7rocprim17ROCPRIM_400000_NS6detail17trampoline_kernelINS0_14default_configENS1_25partition_config_selectorILNS1_17partition_subalgoE5ElNS0_10empty_typeEbEEZZNS1_14partition_implILS5_5ELb0ES3_mN6hipcub16HIPCUB_304000_NS21CountingInputIteratorIllEEPS6_NSA_22TransformInputIteratorIb7NonZeroIsEPslEENS0_5tupleIJPlS6_EEENSJ_IJSD_SD_EEES6_SK_JS6_EEE10hipError_tPvRmT3_T4_T5_T6_T7_T9_mT8_P12ihipStream_tbDpT10_ENKUlT_T0_E_clISt17integral_constantIbLb1EES15_IbLb0EEEEDaS11_S12_EUlS11_E_NS1_11comp_targetILNS1_3genE2ELNS1_11target_archE906ELNS1_3gpuE6ELNS1_3repE0EEENS1_30default_config_static_selectorELNS0_4arch9wavefront6targetE1EEEvT1_.kd
    .uniform_work_group_size: 1
    .uses_dynamic_stack: false
    .vgpr_count:     0
    .vgpr_spill_count: 0
    .wavefront_size: 64
  - .agpr_count:     0
    .args:
      - .offset:         0
        .size:           120
        .value_kind:     by_value
    .group_segment_fixed_size: 0
    .kernarg_segment_align: 8
    .kernarg_segment_size: 120
    .language:       OpenCL C
    .language_version:
      - 2
      - 0
    .max_flat_workgroup_size: 256
    .name:           _ZN7rocprim17ROCPRIM_400000_NS6detail17trampoline_kernelINS0_14default_configENS1_25partition_config_selectorILNS1_17partition_subalgoE5ElNS0_10empty_typeEbEEZZNS1_14partition_implILS5_5ELb0ES3_mN6hipcub16HIPCUB_304000_NS21CountingInputIteratorIllEEPS6_NSA_22TransformInputIteratorIb7NonZeroIsEPslEENS0_5tupleIJPlS6_EEENSJ_IJSD_SD_EEES6_SK_JS6_EEE10hipError_tPvRmT3_T4_T5_T6_T7_T9_mT8_P12ihipStream_tbDpT10_ENKUlT_T0_E_clISt17integral_constantIbLb1EES15_IbLb0EEEEDaS11_S12_EUlS11_E_NS1_11comp_targetILNS1_3genE10ELNS1_11target_archE1200ELNS1_3gpuE4ELNS1_3repE0EEENS1_30default_config_static_selectorELNS0_4arch9wavefront6targetE1EEEvT1_
    .private_segment_fixed_size: 0
    .sgpr_count:     6
    .sgpr_spill_count: 0
    .symbol:         _ZN7rocprim17ROCPRIM_400000_NS6detail17trampoline_kernelINS0_14default_configENS1_25partition_config_selectorILNS1_17partition_subalgoE5ElNS0_10empty_typeEbEEZZNS1_14partition_implILS5_5ELb0ES3_mN6hipcub16HIPCUB_304000_NS21CountingInputIteratorIllEEPS6_NSA_22TransformInputIteratorIb7NonZeroIsEPslEENS0_5tupleIJPlS6_EEENSJ_IJSD_SD_EEES6_SK_JS6_EEE10hipError_tPvRmT3_T4_T5_T6_T7_T9_mT8_P12ihipStream_tbDpT10_ENKUlT_T0_E_clISt17integral_constantIbLb1EES15_IbLb0EEEEDaS11_S12_EUlS11_E_NS1_11comp_targetILNS1_3genE10ELNS1_11target_archE1200ELNS1_3gpuE4ELNS1_3repE0EEENS1_30default_config_static_selectorELNS0_4arch9wavefront6targetE1EEEvT1_.kd
    .uniform_work_group_size: 1
    .uses_dynamic_stack: false
    .vgpr_count:     0
    .vgpr_spill_count: 0
    .wavefront_size: 64
  - .agpr_count:     0
    .args:
      - .offset:         0
        .size:           120
        .value_kind:     by_value
    .group_segment_fixed_size: 0
    .kernarg_segment_align: 8
    .kernarg_segment_size: 120
    .language:       OpenCL C
    .language_version:
      - 2
      - 0
    .max_flat_workgroup_size: 128
    .name:           _ZN7rocprim17ROCPRIM_400000_NS6detail17trampoline_kernelINS0_14default_configENS1_25partition_config_selectorILNS1_17partition_subalgoE5ElNS0_10empty_typeEbEEZZNS1_14partition_implILS5_5ELb0ES3_mN6hipcub16HIPCUB_304000_NS21CountingInputIteratorIllEEPS6_NSA_22TransformInputIteratorIb7NonZeroIsEPslEENS0_5tupleIJPlS6_EEENSJ_IJSD_SD_EEES6_SK_JS6_EEE10hipError_tPvRmT3_T4_T5_T6_T7_T9_mT8_P12ihipStream_tbDpT10_ENKUlT_T0_E_clISt17integral_constantIbLb1EES15_IbLb0EEEEDaS11_S12_EUlS11_E_NS1_11comp_targetILNS1_3genE9ELNS1_11target_archE1100ELNS1_3gpuE3ELNS1_3repE0EEENS1_30default_config_static_selectorELNS0_4arch9wavefront6targetE1EEEvT1_
    .private_segment_fixed_size: 0
    .sgpr_count:     6
    .sgpr_spill_count: 0
    .symbol:         _ZN7rocprim17ROCPRIM_400000_NS6detail17trampoline_kernelINS0_14default_configENS1_25partition_config_selectorILNS1_17partition_subalgoE5ElNS0_10empty_typeEbEEZZNS1_14partition_implILS5_5ELb0ES3_mN6hipcub16HIPCUB_304000_NS21CountingInputIteratorIllEEPS6_NSA_22TransformInputIteratorIb7NonZeroIsEPslEENS0_5tupleIJPlS6_EEENSJ_IJSD_SD_EEES6_SK_JS6_EEE10hipError_tPvRmT3_T4_T5_T6_T7_T9_mT8_P12ihipStream_tbDpT10_ENKUlT_T0_E_clISt17integral_constantIbLb1EES15_IbLb0EEEEDaS11_S12_EUlS11_E_NS1_11comp_targetILNS1_3genE9ELNS1_11target_archE1100ELNS1_3gpuE3ELNS1_3repE0EEENS1_30default_config_static_selectorELNS0_4arch9wavefront6targetE1EEEvT1_.kd
    .uniform_work_group_size: 1
    .uses_dynamic_stack: false
    .vgpr_count:     0
    .vgpr_spill_count: 0
    .wavefront_size: 64
  - .agpr_count:     0
    .args:
      - .offset:         0
        .size:           120
        .value_kind:     by_value
    .group_segment_fixed_size: 0
    .kernarg_segment_align: 8
    .kernarg_segment_size: 120
    .language:       OpenCL C
    .language_version:
      - 2
      - 0
    .max_flat_workgroup_size: 512
    .name:           _ZN7rocprim17ROCPRIM_400000_NS6detail17trampoline_kernelINS0_14default_configENS1_25partition_config_selectorILNS1_17partition_subalgoE5ElNS0_10empty_typeEbEEZZNS1_14partition_implILS5_5ELb0ES3_mN6hipcub16HIPCUB_304000_NS21CountingInputIteratorIllEEPS6_NSA_22TransformInputIteratorIb7NonZeroIsEPslEENS0_5tupleIJPlS6_EEENSJ_IJSD_SD_EEES6_SK_JS6_EEE10hipError_tPvRmT3_T4_T5_T6_T7_T9_mT8_P12ihipStream_tbDpT10_ENKUlT_T0_E_clISt17integral_constantIbLb1EES15_IbLb0EEEEDaS11_S12_EUlS11_E_NS1_11comp_targetILNS1_3genE8ELNS1_11target_archE1030ELNS1_3gpuE2ELNS1_3repE0EEENS1_30default_config_static_selectorELNS0_4arch9wavefront6targetE1EEEvT1_
    .private_segment_fixed_size: 0
    .sgpr_count:     6
    .sgpr_spill_count: 0
    .symbol:         _ZN7rocprim17ROCPRIM_400000_NS6detail17trampoline_kernelINS0_14default_configENS1_25partition_config_selectorILNS1_17partition_subalgoE5ElNS0_10empty_typeEbEEZZNS1_14partition_implILS5_5ELb0ES3_mN6hipcub16HIPCUB_304000_NS21CountingInputIteratorIllEEPS6_NSA_22TransformInputIteratorIb7NonZeroIsEPslEENS0_5tupleIJPlS6_EEENSJ_IJSD_SD_EEES6_SK_JS6_EEE10hipError_tPvRmT3_T4_T5_T6_T7_T9_mT8_P12ihipStream_tbDpT10_ENKUlT_T0_E_clISt17integral_constantIbLb1EES15_IbLb0EEEEDaS11_S12_EUlS11_E_NS1_11comp_targetILNS1_3genE8ELNS1_11target_archE1030ELNS1_3gpuE2ELNS1_3repE0EEENS1_30default_config_static_selectorELNS0_4arch9wavefront6targetE1EEEvT1_.kd
    .uniform_work_group_size: 1
    .uses_dynamic_stack: false
    .vgpr_count:     0
    .vgpr_spill_count: 0
    .wavefront_size: 64
  - .agpr_count:     0
    .args:
      - .offset:         0
        .size:           136
        .value_kind:     by_value
    .group_segment_fixed_size: 7184
    .kernarg_segment_align: 8
    .kernarg_segment_size: 136
    .language:       OpenCL C
    .language_version:
      - 2
      - 0
    .max_flat_workgroup_size: 128
    .name:           _ZN7rocprim17ROCPRIM_400000_NS6detail17trampoline_kernelINS0_14default_configENS1_25partition_config_selectorILNS1_17partition_subalgoE5ElNS0_10empty_typeEbEEZZNS1_14partition_implILS5_5ELb0ES3_mN6hipcub16HIPCUB_304000_NS21CountingInputIteratorIllEEPS6_NSA_22TransformInputIteratorIb7NonZeroIsEPslEENS0_5tupleIJPlS6_EEENSJ_IJSD_SD_EEES6_SK_JS6_EEE10hipError_tPvRmT3_T4_T5_T6_T7_T9_mT8_P12ihipStream_tbDpT10_ENKUlT_T0_E_clISt17integral_constantIbLb0EES15_IbLb1EEEEDaS11_S12_EUlS11_E_NS1_11comp_targetILNS1_3genE0ELNS1_11target_archE4294967295ELNS1_3gpuE0ELNS1_3repE0EEENS1_30default_config_static_selectorELNS0_4arch9wavefront6targetE1EEEvT1_
    .private_segment_fixed_size: 0
    .sgpr_count:     34
    .sgpr_spill_count: 0
    .symbol:         _ZN7rocprim17ROCPRIM_400000_NS6detail17trampoline_kernelINS0_14default_configENS1_25partition_config_selectorILNS1_17partition_subalgoE5ElNS0_10empty_typeEbEEZZNS1_14partition_implILS5_5ELb0ES3_mN6hipcub16HIPCUB_304000_NS21CountingInputIteratorIllEEPS6_NSA_22TransformInputIteratorIb7NonZeroIsEPslEENS0_5tupleIJPlS6_EEENSJ_IJSD_SD_EEES6_SK_JS6_EEE10hipError_tPvRmT3_T4_T5_T6_T7_T9_mT8_P12ihipStream_tbDpT10_ENKUlT_T0_E_clISt17integral_constantIbLb0EES15_IbLb1EEEEDaS11_S12_EUlS11_E_NS1_11comp_targetILNS1_3genE0ELNS1_11target_archE4294967295ELNS1_3gpuE0ELNS1_3repE0EEENS1_30default_config_static_selectorELNS0_4arch9wavefront6targetE1EEEvT1_.kd
    .uniform_work_group_size: 1
    .uses_dynamic_stack: false
    .vgpr_count:     72
    .vgpr_spill_count: 0
    .wavefront_size: 64
  - .agpr_count:     0
    .args:
      - .offset:         0
        .size:           136
        .value_kind:     by_value
    .group_segment_fixed_size: 0
    .kernarg_segment_align: 8
    .kernarg_segment_size: 136
    .language:       OpenCL C
    .language_version:
      - 2
      - 0
    .max_flat_workgroup_size: 512
    .name:           _ZN7rocprim17ROCPRIM_400000_NS6detail17trampoline_kernelINS0_14default_configENS1_25partition_config_selectorILNS1_17partition_subalgoE5ElNS0_10empty_typeEbEEZZNS1_14partition_implILS5_5ELb0ES3_mN6hipcub16HIPCUB_304000_NS21CountingInputIteratorIllEEPS6_NSA_22TransformInputIteratorIb7NonZeroIsEPslEENS0_5tupleIJPlS6_EEENSJ_IJSD_SD_EEES6_SK_JS6_EEE10hipError_tPvRmT3_T4_T5_T6_T7_T9_mT8_P12ihipStream_tbDpT10_ENKUlT_T0_E_clISt17integral_constantIbLb0EES15_IbLb1EEEEDaS11_S12_EUlS11_E_NS1_11comp_targetILNS1_3genE5ELNS1_11target_archE942ELNS1_3gpuE9ELNS1_3repE0EEENS1_30default_config_static_selectorELNS0_4arch9wavefront6targetE1EEEvT1_
    .private_segment_fixed_size: 0
    .sgpr_count:     6
    .sgpr_spill_count: 0
    .symbol:         _ZN7rocprim17ROCPRIM_400000_NS6detail17trampoline_kernelINS0_14default_configENS1_25partition_config_selectorILNS1_17partition_subalgoE5ElNS0_10empty_typeEbEEZZNS1_14partition_implILS5_5ELb0ES3_mN6hipcub16HIPCUB_304000_NS21CountingInputIteratorIllEEPS6_NSA_22TransformInputIteratorIb7NonZeroIsEPslEENS0_5tupleIJPlS6_EEENSJ_IJSD_SD_EEES6_SK_JS6_EEE10hipError_tPvRmT3_T4_T5_T6_T7_T9_mT8_P12ihipStream_tbDpT10_ENKUlT_T0_E_clISt17integral_constantIbLb0EES15_IbLb1EEEEDaS11_S12_EUlS11_E_NS1_11comp_targetILNS1_3genE5ELNS1_11target_archE942ELNS1_3gpuE9ELNS1_3repE0EEENS1_30default_config_static_selectorELNS0_4arch9wavefront6targetE1EEEvT1_.kd
    .uniform_work_group_size: 1
    .uses_dynamic_stack: false
    .vgpr_count:     0
    .vgpr_spill_count: 0
    .wavefront_size: 64
  - .agpr_count:     0
    .args:
      - .offset:         0
        .size:           136
        .value_kind:     by_value
    .group_segment_fixed_size: 0
    .kernarg_segment_align: 8
    .kernarg_segment_size: 136
    .language:       OpenCL C
    .language_version:
      - 2
      - 0
    .max_flat_workgroup_size: 192
    .name:           _ZN7rocprim17ROCPRIM_400000_NS6detail17trampoline_kernelINS0_14default_configENS1_25partition_config_selectorILNS1_17partition_subalgoE5ElNS0_10empty_typeEbEEZZNS1_14partition_implILS5_5ELb0ES3_mN6hipcub16HIPCUB_304000_NS21CountingInputIteratorIllEEPS6_NSA_22TransformInputIteratorIb7NonZeroIsEPslEENS0_5tupleIJPlS6_EEENSJ_IJSD_SD_EEES6_SK_JS6_EEE10hipError_tPvRmT3_T4_T5_T6_T7_T9_mT8_P12ihipStream_tbDpT10_ENKUlT_T0_E_clISt17integral_constantIbLb0EES15_IbLb1EEEEDaS11_S12_EUlS11_E_NS1_11comp_targetILNS1_3genE4ELNS1_11target_archE910ELNS1_3gpuE8ELNS1_3repE0EEENS1_30default_config_static_selectorELNS0_4arch9wavefront6targetE1EEEvT1_
    .private_segment_fixed_size: 0
    .sgpr_count:     6
    .sgpr_spill_count: 0
    .symbol:         _ZN7rocprim17ROCPRIM_400000_NS6detail17trampoline_kernelINS0_14default_configENS1_25partition_config_selectorILNS1_17partition_subalgoE5ElNS0_10empty_typeEbEEZZNS1_14partition_implILS5_5ELb0ES3_mN6hipcub16HIPCUB_304000_NS21CountingInputIteratorIllEEPS6_NSA_22TransformInputIteratorIb7NonZeroIsEPslEENS0_5tupleIJPlS6_EEENSJ_IJSD_SD_EEES6_SK_JS6_EEE10hipError_tPvRmT3_T4_T5_T6_T7_T9_mT8_P12ihipStream_tbDpT10_ENKUlT_T0_E_clISt17integral_constantIbLb0EES15_IbLb1EEEEDaS11_S12_EUlS11_E_NS1_11comp_targetILNS1_3genE4ELNS1_11target_archE910ELNS1_3gpuE8ELNS1_3repE0EEENS1_30default_config_static_selectorELNS0_4arch9wavefront6targetE1EEEvT1_.kd
    .uniform_work_group_size: 1
    .uses_dynamic_stack: false
    .vgpr_count:     0
    .vgpr_spill_count: 0
    .wavefront_size: 64
  - .agpr_count:     0
    .args:
      - .offset:         0
        .size:           136
        .value_kind:     by_value
    .group_segment_fixed_size: 0
    .kernarg_segment_align: 8
    .kernarg_segment_size: 136
    .language:       OpenCL C
    .language_version:
      - 2
      - 0
    .max_flat_workgroup_size: 128
    .name:           _ZN7rocprim17ROCPRIM_400000_NS6detail17trampoline_kernelINS0_14default_configENS1_25partition_config_selectorILNS1_17partition_subalgoE5ElNS0_10empty_typeEbEEZZNS1_14partition_implILS5_5ELb0ES3_mN6hipcub16HIPCUB_304000_NS21CountingInputIteratorIllEEPS6_NSA_22TransformInputIteratorIb7NonZeroIsEPslEENS0_5tupleIJPlS6_EEENSJ_IJSD_SD_EEES6_SK_JS6_EEE10hipError_tPvRmT3_T4_T5_T6_T7_T9_mT8_P12ihipStream_tbDpT10_ENKUlT_T0_E_clISt17integral_constantIbLb0EES15_IbLb1EEEEDaS11_S12_EUlS11_E_NS1_11comp_targetILNS1_3genE3ELNS1_11target_archE908ELNS1_3gpuE7ELNS1_3repE0EEENS1_30default_config_static_selectorELNS0_4arch9wavefront6targetE1EEEvT1_
    .private_segment_fixed_size: 0
    .sgpr_count:     6
    .sgpr_spill_count: 0
    .symbol:         _ZN7rocprim17ROCPRIM_400000_NS6detail17trampoline_kernelINS0_14default_configENS1_25partition_config_selectorILNS1_17partition_subalgoE5ElNS0_10empty_typeEbEEZZNS1_14partition_implILS5_5ELb0ES3_mN6hipcub16HIPCUB_304000_NS21CountingInputIteratorIllEEPS6_NSA_22TransformInputIteratorIb7NonZeroIsEPslEENS0_5tupleIJPlS6_EEENSJ_IJSD_SD_EEES6_SK_JS6_EEE10hipError_tPvRmT3_T4_T5_T6_T7_T9_mT8_P12ihipStream_tbDpT10_ENKUlT_T0_E_clISt17integral_constantIbLb0EES15_IbLb1EEEEDaS11_S12_EUlS11_E_NS1_11comp_targetILNS1_3genE3ELNS1_11target_archE908ELNS1_3gpuE7ELNS1_3repE0EEENS1_30default_config_static_selectorELNS0_4arch9wavefront6targetE1EEEvT1_.kd
    .uniform_work_group_size: 1
    .uses_dynamic_stack: false
    .vgpr_count:     0
    .vgpr_spill_count: 0
    .wavefront_size: 64
  - .agpr_count:     0
    .args:
      - .offset:         0
        .size:           136
        .value_kind:     by_value
    .group_segment_fixed_size: 0
    .kernarg_segment_align: 8
    .kernarg_segment_size: 136
    .language:       OpenCL C
    .language_version:
      - 2
      - 0
    .max_flat_workgroup_size: 256
    .name:           _ZN7rocprim17ROCPRIM_400000_NS6detail17trampoline_kernelINS0_14default_configENS1_25partition_config_selectorILNS1_17partition_subalgoE5ElNS0_10empty_typeEbEEZZNS1_14partition_implILS5_5ELb0ES3_mN6hipcub16HIPCUB_304000_NS21CountingInputIteratorIllEEPS6_NSA_22TransformInputIteratorIb7NonZeroIsEPslEENS0_5tupleIJPlS6_EEENSJ_IJSD_SD_EEES6_SK_JS6_EEE10hipError_tPvRmT3_T4_T5_T6_T7_T9_mT8_P12ihipStream_tbDpT10_ENKUlT_T0_E_clISt17integral_constantIbLb0EES15_IbLb1EEEEDaS11_S12_EUlS11_E_NS1_11comp_targetILNS1_3genE2ELNS1_11target_archE906ELNS1_3gpuE6ELNS1_3repE0EEENS1_30default_config_static_selectorELNS0_4arch9wavefront6targetE1EEEvT1_
    .private_segment_fixed_size: 0
    .sgpr_count:     6
    .sgpr_spill_count: 0
    .symbol:         _ZN7rocprim17ROCPRIM_400000_NS6detail17trampoline_kernelINS0_14default_configENS1_25partition_config_selectorILNS1_17partition_subalgoE5ElNS0_10empty_typeEbEEZZNS1_14partition_implILS5_5ELb0ES3_mN6hipcub16HIPCUB_304000_NS21CountingInputIteratorIllEEPS6_NSA_22TransformInputIteratorIb7NonZeroIsEPslEENS0_5tupleIJPlS6_EEENSJ_IJSD_SD_EEES6_SK_JS6_EEE10hipError_tPvRmT3_T4_T5_T6_T7_T9_mT8_P12ihipStream_tbDpT10_ENKUlT_T0_E_clISt17integral_constantIbLb0EES15_IbLb1EEEEDaS11_S12_EUlS11_E_NS1_11comp_targetILNS1_3genE2ELNS1_11target_archE906ELNS1_3gpuE6ELNS1_3repE0EEENS1_30default_config_static_selectorELNS0_4arch9wavefront6targetE1EEEvT1_.kd
    .uniform_work_group_size: 1
    .uses_dynamic_stack: false
    .vgpr_count:     0
    .vgpr_spill_count: 0
    .wavefront_size: 64
  - .agpr_count:     0
    .args:
      - .offset:         0
        .size:           136
        .value_kind:     by_value
    .group_segment_fixed_size: 0
    .kernarg_segment_align: 8
    .kernarg_segment_size: 136
    .language:       OpenCL C
    .language_version:
      - 2
      - 0
    .max_flat_workgroup_size: 256
    .name:           _ZN7rocprim17ROCPRIM_400000_NS6detail17trampoline_kernelINS0_14default_configENS1_25partition_config_selectorILNS1_17partition_subalgoE5ElNS0_10empty_typeEbEEZZNS1_14partition_implILS5_5ELb0ES3_mN6hipcub16HIPCUB_304000_NS21CountingInputIteratorIllEEPS6_NSA_22TransformInputIteratorIb7NonZeroIsEPslEENS0_5tupleIJPlS6_EEENSJ_IJSD_SD_EEES6_SK_JS6_EEE10hipError_tPvRmT3_T4_T5_T6_T7_T9_mT8_P12ihipStream_tbDpT10_ENKUlT_T0_E_clISt17integral_constantIbLb0EES15_IbLb1EEEEDaS11_S12_EUlS11_E_NS1_11comp_targetILNS1_3genE10ELNS1_11target_archE1200ELNS1_3gpuE4ELNS1_3repE0EEENS1_30default_config_static_selectorELNS0_4arch9wavefront6targetE1EEEvT1_
    .private_segment_fixed_size: 0
    .sgpr_count:     6
    .sgpr_spill_count: 0
    .symbol:         _ZN7rocprim17ROCPRIM_400000_NS6detail17trampoline_kernelINS0_14default_configENS1_25partition_config_selectorILNS1_17partition_subalgoE5ElNS0_10empty_typeEbEEZZNS1_14partition_implILS5_5ELb0ES3_mN6hipcub16HIPCUB_304000_NS21CountingInputIteratorIllEEPS6_NSA_22TransformInputIteratorIb7NonZeroIsEPslEENS0_5tupleIJPlS6_EEENSJ_IJSD_SD_EEES6_SK_JS6_EEE10hipError_tPvRmT3_T4_T5_T6_T7_T9_mT8_P12ihipStream_tbDpT10_ENKUlT_T0_E_clISt17integral_constantIbLb0EES15_IbLb1EEEEDaS11_S12_EUlS11_E_NS1_11comp_targetILNS1_3genE10ELNS1_11target_archE1200ELNS1_3gpuE4ELNS1_3repE0EEENS1_30default_config_static_selectorELNS0_4arch9wavefront6targetE1EEEvT1_.kd
    .uniform_work_group_size: 1
    .uses_dynamic_stack: false
    .vgpr_count:     0
    .vgpr_spill_count: 0
    .wavefront_size: 64
  - .agpr_count:     0
    .args:
      - .offset:         0
        .size:           136
        .value_kind:     by_value
    .group_segment_fixed_size: 0
    .kernarg_segment_align: 8
    .kernarg_segment_size: 136
    .language:       OpenCL C
    .language_version:
      - 2
      - 0
    .max_flat_workgroup_size: 128
    .name:           _ZN7rocprim17ROCPRIM_400000_NS6detail17trampoline_kernelINS0_14default_configENS1_25partition_config_selectorILNS1_17partition_subalgoE5ElNS0_10empty_typeEbEEZZNS1_14partition_implILS5_5ELb0ES3_mN6hipcub16HIPCUB_304000_NS21CountingInputIteratorIllEEPS6_NSA_22TransformInputIteratorIb7NonZeroIsEPslEENS0_5tupleIJPlS6_EEENSJ_IJSD_SD_EEES6_SK_JS6_EEE10hipError_tPvRmT3_T4_T5_T6_T7_T9_mT8_P12ihipStream_tbDpT10_ENKUlT_T0_E_clISt17integral_constantIbLb0EES15_IbLb1EEEEDaS11_S12_EUlS11_E_NS1_11comp_targetILNS1_3genE9ELNS1_11target_archE1100ELNS1_3gpuE3ELNS1_3repE0EEENS1_30default_config_static_selectorELNS0_4arch9wavefront6targetE1EEEvT1_
    .private_segment_fixed_size: 0
    .sgpr_count:     6
    .sgpr_spill_count: 0
    .symbol:         _ZN7rocprim17ROCPRIM_400000_NS6detail17trampoline_kernelINS0_14default_configENS1_25partition_config_selectorILNS1_17partition_subalgoE5ElNS0_10empty_typeEbEEZZNS1_14partition_implILS5_5ELb0ES3_mN6hipcub16HIPCUB_304000_NS21CountingInputIteratorIllEEPS6_NSA_22TransformInputIteratorIb7NonZeroIsEPslEENS0_5tupleIJPlS6_EEENSJ_IJSD_SD_EEES6_SK_JS6_EEE10hipError_tPvRmT3_T4_T5_T6_T7_T9_mT8_P12ihipStream_tbDpT10_ENKUlT_T0_E_clISt17integral_constantIbLb0EES15_IbLb1EEEEDaS11_S12_EUlS11_E_NS1_11comp_targetILNS1_3genE9ELNS1_11target_archE1100ELNS1_3gpuE3ELNS1_3repE0EEENS1_30default_config_static_selectorELNS0_4arch9wavefront6targetE1EEEvT1_.kd
    .uniform_work_group_size: 1
    .uses_dynamic_stack: false
    .vgpr_count:     0
    .vgpr_spill_count: 0
    .wavefront_size: 64
  - .agpr_count:     0
    .args:
      - .offset:         0
        .size:           136
        .value_kind:     by_value
    .group_segment_fixed_size: 0
    .kernarg_segment_align: 8
    .kernarg_segment_size: 136
    .language:       OpenCL C
    .language_version:
      - 2
      - 0
    .max_flat_workgroup_size: 512
    .name:           _ZN7rocprim17ROCPRIM_400000_NS6detail17trampoline_kernelINS0_14default_configENS1_25partition_config_selectorILNS1_17partition_subalgoE5ElNS0_10empty_typeEbEEZZNS1_14partition_implILS5_5ELb0ES3_mN6hipcub16HIPCUB_304000_NS21CountingInputIteratorIllEEPS6_NSA_22TransformInputIteratorIb7NonZeroIsEPslEENS0_5tupleIJPlS6_EEENSJ_IJSD_SD_EEES6_SK_JS6_EEE10hipError_tPvRmT3_T4_T5_T6_T7_T9_mT8_P12ihipStream_tbDpT10_ENKUlT_T0_E_clISt17integral_constantIbLb0EES15_IbLb1EEEEDaS11_S12_EUlS11_E_NS1_11comp_targetILNS1_3genE8ELNS1_11target_archE1030ELNS1_3gpuE2ELNS1_3repE0EEENS1_30default_config_static_selectorELNS0_4arch9wavefront6targetE1EEEvT1_
    .private_segment_fixed_size: 0
    .sgpr_count:     6
    .sgpr_spill_count: 0
    .symbol:         _ZN7rocprim17ROCPRIM_400000_NS6detail17trampoline_kernelINS0_14default_configENS1_25partition_config_selectorILNS1_17partition_subalgoE5ElNS0_10empty_typeEbEEZZNS1_14partition_implILS5_5ELb0ES3_mN6hipcub16HIPCUB_304000_NS21CountingInputIteratorIllEEPS6_NSA_22TransformInputIteratorIb7NonZeroIsEPslEENS0_5tupleIJPlS6_EEENSJ_IJSD_SD_EEES6_SK_JS6_EEE10hipError_tPvRmT3_T4_T5_T6_T7_T9_mT8_P12ihipStream_tbDpT10_ENKUlT_T0_E_clISt17integral_constantIbLb0EES15_IbLb1EEEEDaS11_S12_EUlS11_E_NS1_11comp_targetILNS1_3genE8ELNS1_11target_archE1030ELNS1_3gpuE2ELNS1_3repE0EEENS1_30default_config_static_selectorELNS0_4arch9wavefront6targetE1EEEvT1_.kd
    .uniform_work_group_size: 1
    .uses_dynamic_stack: false
    .vgpr_count:     0
    .vgpr_spill_count: 0
    .wavefront_size: 64
  - .agpr_count:     0
    .args:
      - .offset:         0
        .size:           64
        .value_kind:     by_value
    .group_segment_fixed_size: 64
    .kernarg_segment_align: 8
    .kernarg_segment_size: 64
    .language:       OpenCL C
    .language_version:
      - 2
      - 0
    .max_flat_workgroup_size: 256
    .name:           _ZN7rocprim17ROCPRIM_400000_NS6detail17trampoline_kernelINS0_14default_configENS1_22reduce_config_selectorIlEEZNS1_11reduce_implILb1ES3_PlS7_lN6hipcub16HIPCUB_304000_NS6detail34convert_binary_result_type_wrapperINS9_3SumENS9_22TransformInputIteratorIb7NonZeroIiEPilEElEEEE10hipError_tPvRmT1_T2_T3_mT4_P12ihipStream_tbEUlT_E0_NS1_11comp_targetILNS1_3genE0ELNS1_11target_archE4294967295ELNS1_3gpuE0ELNS1_3repE0EEENS1_30default_config_static_selectorELNS0_4arch9wavefront6targetE1EEEvSM_
    .private_segment_fixed_size: 0
    .sgpr_count:     54
    .sgpr_spill_count: 0
    .symbol:         _ZN7rocprim17ROCPRIM_400000_NS6detail17trampoline_kernelINS0_14default_configENS1_22reduce_config_selectorIlEEZNS1_11reduce_implILb1ES3_PlS7_lN6hipcub16HIPCUB_304000_NS6detail34convert_binary_result_type_wrapperINS9_3SumENS9_22TransformInputIteratorIb7NonZeroIiEPilEElEEEE10hipError_tPvRmT1_T2_T3_mT4_P12ihipStream_tbEUlT_E0_NS1_11comp_targetILNS1_3genE0ELNS1_11target_archE4294967295ELNS1_3gpuE0ELNS1_3repE0EEENS1_30default_config_static_selectorELNS0_4arch9wavefront6targetE1EEEvSM_.kd
    .uniform_work_group_size: 1
    .uses_dynamic_stack: false
    .vgpr_count:     68
    .vgpr_spill_count: 0
    .wavefront_size: 64
  - .agpr_count:     0
    .args:
      - .offset:         0
        .size:           64
        .value_kind:     by_value
    .group_segment_fixed_size: 0
    .kernarg_segment_align: 8
    .kernarg_segment_size: 64
    .language:       OpenCL C
    .language_version:
      - 2
      - 0
    .max_flat_workgroup_size: 256
    .name:           _ZN7rocprim17ROCPRIM_400000_NS6detail17trampoline_kernelINS0_14default_configENS1_22reduce_config_selectorIlEEZNS1_11reduce_implILb1ES3_PlS7_lN6hipcub16HIPCUB_304000_NS6detail34convert_binary_result_type_wrapperINS9_3SumENS9_22TransformInputIteratorIb7NonZeroIiEPilEElEEEE10hipError_tPvRmT1_T2_T3_mT4_P12ihipStream_tbEUlT_E0_NS1_11comp_targetILNS1_3genE5ELNS1_11target_archE942ELNS1_3gpuE9ELNS1_3repE0EEENS1_30default_config_static_selectorELNS0_4arch9wavefront6targetE1EEEvSM_
    .private_segment_fixed_size: 0
    .sgpr_count:     6
    .sgpr_spill_count: 0
    .symbol:         _ZN7rocprim17ROCPRIM_400000_NS6detail17trampoline_kernelINS0_14default_configENS1_22reduce_config_selectorIlEEZNS1_11reduce_implILb1ES3_PlS7_lN6hipcub16HIPCUB_304000_NS6detail34convert_binary_result_type_wrapperINS9_3SumENS9_22TransformInputIteratorIb7NonZeroIiEPilEElEEEE10hipError_tPvRmT1_T2_T3_mT4_P12ihipStream_tbEUlT_E0_NS1_11comp_targetILNS1_3genE5ELNS1_11target_archE942ELNS1_3gpuE9ELNS1_3repE0EEENS1_30default_config_static_selectorELNS0_4arch9wavefront6targetE1EEEvSM_.kd
    .uniform_work_group_size: 1
    .uses_dynamic_stack: false
    .vgpr_count:     0
    .vgpr_spill_count: 0
    .wavefront_size: 64
  - .agpr_count:     0
    .args:
      - .offset:         0
        .size:           64
        .value_kind:     by_value
    .group_segment_fixed_size: 0
    .kernarg_segment_align: 8
    .kernarg_segment_size: 64
    .language:       OpenCL C
    .language_version:
      - 2
      - 0
    .max_flat_workgroup_size: 256
    .name:           _ZN7rocprim17ROCPRIM_400000_NS6detail17trampoline_kernelINS0_14default_configENS1_22reduce_config_selectorIlEEZNS1_11reduce_implILb1ES3_PlS7_lN6hipcub16HIPCUB_304000_NS6detail34convert_binary_result_type_wrapperINS9_3SumENS9_22TransformInputIteratorIb7NonZeroIiEPilEElEEEE10hipError_tPvRmT1_T2_T3_mT4_P12ihipStream_tbEUlT_E0_NS1_11comp_targetILNS1_3genE4ELNS1_11target_archE910ELNS1_3gpuE8ELNS1_3repE0EEENS1_30default_config_static_selectorELNS0_4arch9wavefront6targetE1EEEvSM_
    .private_segment_fixed_size: 0
    .sgpr_count:     6
    .sgpr_spill_count: 0
    .symbol:         _ZN7rocprim17ROCPRIM_400000_NS6detail17trampoline_kernelINS0_14default_configENS1_22reduce_config_selectorIlEEZNS1_11reduce_implILb1ES3_PlS7_lN6hipcub16HIPCUB_304000_NS6detail34convert_binary_result_type_wrapperINS9_3SumENS9_22TransformInputIteratorIb7NonZeroIiEPilEElEEEE10hipError_tPvRmT1_T2_T3_mT4_P12ihipStream_tbEUlT_E0_NS1_11comp_targetILNS1_3genE4ELNS1_11target_archE910ELNS1_3gpuE8ELNS1_3repE0EEENS1_30default_config_static_selectorELNS0_4arch9wavefront6targetE1EEEvSM_.kd
    .uniform_work_group_size: 1
    .uses_dynamic_stack: false
    .vgpr_count:     0
    .vgpr_spill_count: 0
    .wavefront_size: 64
  - .agpr_count:     0
    .args:
      - .offset:         0
        .size:           64
        .value_kind:     by_value
    .group_segment_fixed_size: 0
    .kernarg_segment_align: 8
    .kernarg_segment_size: 64
    .language:       OpenCL C
    .language_version:
      - 2
      - 0
    .max_flat_workgroup_size: 256
    .name:           _ZN7rocprim17ROCPRIM_400000_NS6detail17trampoline_kernelINS0_14default_configENS1_22reduce_config_selectorIlEEZNS1_11reduce_implILb1ES3_PlS7_lN6hipcub16HIPCUB_304000_NS6detail34convert_binary_result_type_wrapperINS9_3SumENS9_22TransformInputIteratorIb7NonZeroIiEPilEElEEEE10hipError_tPvRmT1_T2_T3_mT4_P12ihipStream_tbEUlT_E0_NS1_11comp_targetILNS1_3genE3ELNS1_11target_archE908ELNS1_3gpuE7ELNS1_3repE0EEENS1_30default_config_static_selectorELNS0_4arch9wavefront6targetE1EEEvSM_
    .private_segment_fixed_size: 0
    .sgpr_count:     6
    .sgpr_spill_count: 0
    .symbol:         _ZN7rocprim17ROCPRIM_400000_NS6detail17trampoline_kernelINS0_14default_configENS1_22reduce_config_selectorIlEEZNS1_11reduce_implILb1ES3_PlS7_lN6hipcub16HIPCUB_304000_NS6detail34convert_binary_result_type_wrapperINS9_3SumENS9_22TransformInputIteratorIb7NonZeroIiEPilEElEEEE10hipError_tPvRmT1_T2_T3_mT4_P12ihipStream_tbEUlT_E0_NS1_11comp_targetILNS1_3genE3ELNS1_11target_archE908ELNS1_3gpuE7ELNS1_3repE0EEENS1_30default_config_static_selectorELNS0_4arch9wavefront6targetE1EEEvSM_.kd
    .uniform_work_group_size: 1
    .uses_dynamic_stack: false
    .vgpr_count:     0
    .vgpr_spill_count: 0
    .wavefront_size: 64
  - .agpr_count:     0
    .args:
      - .offset:         0
        .size:           64
        .value_kind:     by_value
    .group_segment_fixed_size: 0
    .kernarg_segment_align: 8
    .kernarg_segment_size: 64
    .language:       OpenCL C
    .language_version:
      - 2
      - 0
    .max_flat_workgroup_size: 256
    .name:           _ZN7rocprim17ROCPRIM_400000_NS6detail17trampoline_kernelINS0_14default_configENS1_22reduce_config_selectorIlEEZNS1_11reduce_implILb1ES3_PlS7_lN6hipcub16HIPCUB_304000_NS6detail34convert_binary_result_type_wrapperINS9_3SumENS9_22TransformInputIteratorIb7NonZeroIiEPilEElEEEE10hipError_tPvRmT1_T2_T3_mT4_P12ihipStream_tbEUlT_E0_NS1_11comp_targetILNS1_3genE2ELNS1_11target_archE906ELNS1_3gpuE6ELNS1_3repE0EEENS1_30default_config_static_selectorELNS0_4arch9wavefront6targetE1EEEvSM_
    .private_segment_fixed_size: 0
    .sgpr_count:     6
    .sgpr_spill_count: 0
    .symbol:         _ZN7rocprim17ROCPRIM_400000_NS6detail17trampoline_kernelINS0_14default_configENS1_22reduce_config_selectorIlEEZNS1_11reduce_implILb1ES3_PlS7_lN6hipcub16HIPCUB_304000_NS6detail34convert_binary_result_type_wrapperINS9_3SumENS9_22TransformInputIteratorIb7NonZeroIiEPilEElEEEE10hipError_tPvRmT1_T2_T3_mT4_P12ihipStream_tbEUlT_E0_NS1_11comp_targetILNS1_3genE2ELNS1_11target_archE906ELNS1_3gpuE6ELNS1_3repE0EEENS1_30default_config_static_selectorELNS0_4arch9wavefront6targetE1EEEvSM_.kd
    .uniform_work_group_size: 1
    .uses_dynamic_stack: false
    .vgpr_count:     0
    .vgpr_spill_count: 0
    .wavefront_size: 64
  - .agpr_count:     0
    .args:
      - .offset:         0
        .size:           64
        .value_kind:     by_value
    .group_segment_fixed_size: 0
    .kernarg_segment_align: 8
    .kernarg_segment_size: 64
    .language:       OpenCL C
    .language_version:
      - 2
      - 0
    .max_flat_workgroup_size: 256
    .name:           _ZN7rocprim17ROCPRIM_400000_NS6detail17trampoline_kernelINS0_14default_configENS1_22reduce_config_selectorIlEEZNS1_11reduce_implILb1ES3_PlS7_lN6hipcub16HIPCUB_304000_NS6detail34convert_binary_result_type_wrapperINS9_3SumENS9_22TransformInputIteratorIb7NonZeroIiEPilEElEEEE10hipError_tPvRmT1_T2_T3_mT4_P12ihipStream_tbEUlT_E0_NS1_11comp_targetILNS1_3genE10ELNS1_11target_archE1201ELNS1_3gpuE5ELNS1_3repE0EEENS1_30default_config_static_selectorELNS0_4arch9wavefront6targetE1EEEvSM_
    .private_segment_fixed_size: 0
    .sgpr_count:     6
    .sgpr_spill_count: 0
    .symbol:         _ZN7rocprim17ROCPRIM_400000_NS6detail17trampoline_kernelINS0_14default_configENS1_22reduce_config_selectorIlEEZNS1_11reduce_implILb1ES3_PlS7_lN6hipcub16HIPCUB_304000_NS6detail34convert_binary_result_type_wrapperINS9_3SumENS9_22TransformInputIteratorIb7NonZeroIiEPilEElEEEE10hipError_tPvRmT1_T2_T3_mT4_P12ihipStream_tbEUlT_E0_NS1_11comp_targetILNS1_3genE10ELNS1_11target_archE1201ELNS1_3gpuE5ELNS1_3repE0EEENS1_30default_config_static_selectorELNS0_4arch9wavefront6targetE1EEEvSM_.kd
    .uniform_work_group_size: 1
    .uses_dynamic_stack: false
    .vgpr_count:     0
    .vgpr_spill_count: 0
    .wavefront_size: 64
  - .agpr_count:     0
    .args:
      - .offset:         0
        .size:           64
        .value_kind:     by_value
    .group_segment_fixed_size: 0
    .kernarg_segment_align: 8
    .kernarg_segment_size: 64
    .language:       OpenCL C
    .language_version:
      - 2
      - 0
    .max_flat_workgroup_size: 256
    .name:           _ZN7rocprim17ROCPRIM_400000_NS6detail17trampoline_kernelINS0_14default_configENS1_22reduce_config_selectorIlEEZNS1_11reduce_implILb1ES3_PlS7_lN6hipcub16HIPCUB_304000_NS6detail34convert_binary_result_type_wrapperINS9_3SumENS9_22TransformInputIteratorIb7NonZeroIiEPilEElEEEE10hipError_tPvRmT1_T2_T3_mT4_P12ihipStream_tbEUlT_E0_NS1_11comp_targetILNS1_3genE10ELNS1_11target_archE1200ELNS1_3gpuE4ELNS1_3repE0EEENS1_30default_config_static_selectorELNS0_4arch9wavefront6targetE1EEEvSM_
    .private_segment_fixed_size: 0
    .sgpr_count:     6
    .sgpr_spill_count: 0
    .symbol:         _ZN7rocprim17ROCPRIM_400000_NS6detail17trampoline_kernelINS0_14default_configENS1_22reduce_config_selectorIlEEZNS1_11reduce_implILb1ES3_PlS7_lN6hipcub16HIPCUB_304000_NS6detail34convert_binary_result_type_wrapperINS9_3SumENS9_22TransformInputIteratorIb7NonZeroIiEPilEElEEEE10hipError_tPvRmT1_T2_T3_mT4_P12ihipStream_tbEUlT_E0_NS1_11comp_targetILNS1_3genE10ELNS1_11target_archE1200ELNS1_3gpuE4ELNS1_3repE0EEENS1_30default_config_static_selectorELNS0_4arch9wavefront6targetE1EEEvSM_.kd
    .uniform_work_group_size: 1
    .uses_dynamic_stack: false
    .vgpr_count:     0
    .vgpr_spill_count: 0
    .wavefront_size: 64
  - .agpr_count:     0
    .args:
      - .offset:         0
        .size:           64
        .value_kind:     by_value
    .group_segment_fixed_size: 0
    .kernarg_segment_align: 8
    .kernarg_segment_size: 64
    .language:       OpenCL C
    .language_version:
      - 2
      - 0
    .max_flat_workgroup_size: 256
    .name:           _ZN7rocprim17ROCPRIM_400000_NS6detail17trampoline_kernelINS0_14default_configENS1_22reduce_config_selectorIlEEZNS1_11reduce_implILb1ES3_PlS7_lN6hipcub16HIPCUB_304000_NS6detail34convert_binary_result_type_wrapperINS9_3SumENS9_22TransformInputIteratorIb7NonZeroIiEPilEElEEEE10hipError_tPvRmT1_T2_T3_mT4_P12ihipStream_tbEUlT_E0_NS1_11comp_targetILNS1_3genE9ELNS1_11target_archE1100ELNS1_3gpuE3ELNS1_3repE0EEENS1_30default_config_static_selectorELNS0_4arch9wavefront6targetE1EEEvSM_
    .private_segment_fixed_size: 0
    .sgpr_count:     6
    .sgpr_spill_count: 0
    .symbol:         _ZN7rocprim17ROCPRIM_400000_NS6detail17trampoline_kernelINS0_14default_configENS1_22reduce_config_selectorIlEEZNS1_11reduce_implILb1ES3_PlS7_lN6hipcub16HIPCUB_304000_NS6detail34convert_binary_result_type_wrapperINS9_3SumENS9_22TransformInputIteratorIb7NonZeroIiEPilEElEEEE10hipError_tPvRmT1_T2_T3_mT4_P12ihipStream_tbEUlT_E0_NS1_11comp_targetILNS1_3genE9ELNS1_11target_archE1100ELNS1_3gpuE3ELNS1_3repE0EEENS1_30default_config_static_selectorELNS0_4arch9wavefront6targetE1EEEvSM_.kd
    .uniform_work_group_size: 1
    .uses_dynamic_stack: false
    .vgpr_count:     0
    .vgpr_spill_count: 0
    .wavefront_size: 64
  - .agpr_count:     0
    .args:
      - .offset:         0
        .size:           64
        .value_kind:     by_value
    .group_segment_fixed_size: 0
    .kernarg_segment_align: 8
    .kernarg_segment_size: 64
    .language:       OpenCL C
    .language_version:
      - 2
      - 0
    .max_flat_workgroup_size: 256
    .name:           _ZN7rocprim17ROCPRIM_400000_NS6detail17trampoline_kernelINS0_14default_configENS1_22reduce_config_selectorIlEEZNS1_11reduce_implILb1ES3_PlS7_lN6hipcub16HIPCUB_304000_NS6detail34convert_binary_result_type_wrapperINS9_3SumENS9_22TransformInputIteratorIb7NonZeroIiEPilEElEEEE10hipError_tPvRmT1_T2_T3_mT4_P12ihipStream_tbEUlT_E0_NS1_11comp_targetILNS1_3genE8ELNS1_11target_archE1030ELNS1_3gpuE2ELNS1_3repE0EEENS1_30default_config_static_selectorELNS0_4arch9wavefront6targetE1EEEvSM_
    .private_segment_fixed_size: 0
    .sgpr_count:     6
    .sgpr_spill_count: 0
    .symbol:         _ZN7rocprim17ROCPRIM_400000_NS6detail17trampoline_kernelINS0_14default_configENS1_22reduce_config_selectorIlEEZNS1_11reduce_implILb1ES3_PlS7_lN6hipcub16HIPCUB_304000_NS6detail34convert_binary_result_type_wrapperINS9_3SumENS9_22TransformInputIteratorIb7NonZeroIiEPilEElEEEE10hipError_tPvRmT1_T2_T3_mT4_P12ihipStream_tbEUlT_E0_NS1_11comp_targetILNS1_3genE8ELNS1_11target_archE1030ELNS1_3gpuE2ELNS1_3repE0EEENS1_30default_config_static_selectorELNS0_4arch9wavefront6targetE1EEEvSM_.kd
    .uniform_work_group_size: 1
    .uses_dynamic_stack: false
    .vgpr_count:     0
    .vgpr_spill_count: 0
    .wavefront_size: 64
  - .agpr_count:     0
    .args:
      - .offset:         0
        .size:           48
        .value_kind:     by_value
    .group_segment_fixed_size: 192
    .kernarg_segment_align: 8
    .kernarg_segment_size: 48
    .language:       OpenCL C
    .language_version:
      - 2
      - 0
    .max_flat_workgroup_size: 256
    .name:           _ZN7rocprim17ROCPRIM_400000_NS6detail17trampoline_kernelINS0_14default_configENS1_22reduce_config_selectorIlEEZNS1_11reduce_implILb1ES3_PlS7_lN6hipcub16HIPCUB_304000_NS6detail34convert_binary_result_type_wrapperINS9_3SumENS9_22TransformInputIteratorIb7NonZeroIiEPilEElEEEE10hipError_tPvRmT1_T2_T3_mT4_P12ihipStream_tbEUlT_E1_NS1_11comp_targetILNS1_3genE0ELNS1_11target_archE4294967295ELNS1_3gpuE0ELNS1_3repE0EEENS1_30default_config_static_selectorELNS0_4arch9wavefront6targetE1EEEvSM_
    .private_segment_fixed_size: 0
    .sgpr_count:     53
    .sgpr_spill_count: 0
    .symbol:         _ZN7rocprim17ROCPRIM_400000_NS6detail17trampoline_kernelINS0_14default_configENS1_22reduce_config_selectorIlEEZNS1_11reduce_implILb1ES3_PlS7_lN6hipcub16HIPCUB_304000_NS6detail34convert_binary_result_type_wrapperINS9_3SumENS9_22TransformInputIteratorIb7NonZeroIiEPilEElEEEE10hipError_tPvRmT1_T2_T3_mT4_P12ihipStream_tbEUlT_E1_NS1_11comp_targetILNS1_3genE0ELNS1_11target_archE4294967295ELNS1_3gpuE0ELNS1_3repE0EEENS1_30default_config_static_selectorELNS0_4arch9wavefront6targetE1EEEvSM_.kd
    .uniform_work_group_size: 1
    .uses_dynamic_stack: false
    .vgpr_count:     48
    .vgpr_spill_count: 0
    .wavefront_size: 64
  - .agpr_count:     0
    .args:
      - .offset:         0
        .size:           48
        .value_kind:     by_value
    .group_segment_fixed_size: 0
    .kernarg_segment_align: 8
    .kernarg_segment_size: 48
    .language:       OpenCL C
    .language_version:
      - 2
      - 0
    .max_flat_workgroup_size: 256
    .name:           _ZN7rocprim17ROCPRIM_400000_NS6detail17trampoline_kernelINS0_14default_configENS1_22reduce_config_selectorIlEEZNS1_11reduce_implILb1ES3_PlS7_lN6hipcub16HIPCUB_304000_NS6detail34convert_binary_result_type_wrapperINS9_3SumENS9_22TransformInputIteratorIb7NonZeroIiEPilEElEEEE10hipError_tPvRmT1_T2_T3_mT4_P12ihipStream_tbEUlT_E1_NS1_11comp_targetILNS1_3genE5ELNS1_11target_archE942ELNS1_3gpuE9ELNS1_3repE0EEENS1_30default_config_static_selectorELNS0_4arch9wavefront6targetE1EEEvSM_
    .private_segment_fixed_size: 0
    .sgpr_count:     6
    .sgpr_spill_count: 0
    .symbol:         _ZN7rocprim17ROCPRIM_400000_NS6detail17trampoline_kernelINS0_14default_configENS1_22reduce_config_selectorIlEEZNS1_11reduce_implILb1ES3_PlS7_lN6hipcub16HIPCUB_304000_NS6detail34convert_binary_result_type_wrapperINS9_3SumENS9_22TransformInputIteratorIb7NonZeroIiEPilEElEEEE10hipError_tPvRmT1_T2_T3_mT4_P12ihipStream_tbEUlT_E1_NS1_11comp_targetILNS1_3genE5ELNS1_11target_archE942ELNS1_3gpuE9ELNS1_3repE0EEENS1_30default_config_static_selectorELNS0_4arch9wavefront6targetE1EEEvSM_.kd
    .uniform_work_group_size: 1
    .uses_dynamic_stack: false
    .vgpr_count:     0
    .vgpr_spill_count: 0
    .wavefront_size: 64
  - .agpr_count:     0
    .args:
      - .offset:         0
        .size:           48
        .value_kind:     by_value
    .group_segment_fixed_size: 0
    .kernarg_segment_align: 8
    .kernarg_segment_size: 48
    .language:       OpenCL C
    .language_version:
      - 2
      - 0
    .max_flat_workgroup_size: 256
    .name:           _ZN7rocprim17ROCPRIM_400000_NS6detail17trampoline_kernelINS0_14default_configENS1_22reduce_config_selectorIlEEZNS1_11reduce_implILb1ES3_PlS7_lN6hipcub16HIPCUB_304000_NS6detail34convert_binary_result_type_wrapperINS9_3SumENS9_22TransformInputIteratorIb7NonZeroIiEPilEElEEEE10hipError_tPvRmT1_T2_T3_mT4_P12ihipStream_tbEUlT_E1_NS1_11comp_targetILNS1_3genE4ELNS1_11target_archE910ELNS1_3gpuE8ELNS1_3repE0EEENS1_30default_config_static_selectorELNS0_4arch9wavefront6targetE1EEEvSM_
    .private_segment_fixed_size: 0
    .sgpr_count:     6
    .sgpr_spill_count: 0
    .symbol:         _ZN7rocprim17ROCPRIM_400000_NS6detail17trampoline_kernelINS0_14default_configENS1_22reduce_config_selectorIlEEZNS1_11reduce_implILb1ES3_PlS7_lN6hipcub16HIPCUB_304000_NS6detail34convert_binary_result_type_wrapperINS9_3SumENS9_22TransformInputIteratorIb7NonZeroIiEPilEElEEEE10hipError_tPvRmT1_T2_T3_mT4_P12ihipStream_tbEUlT_E1_NS1_11comp_targetILNS1_3genE4ELNS1_11target_archE910ELNS1_3gpuE8ELNS1_3repE0EEENS1_30default_config_static_selectorELNS0_4arch9wavefront6targetE1EEEvSM_.kd
    .uniform_work_group_size: 1
    .uses_dynamic_stack: false
    .vgpr_count:     0
    .vgpr_spill_count: 0
    .wavefront_size: 64
  - .agpr_count:     0
    .args:
      - .offset:         0
        .size:           48
        .value_kind:     by_value
    .group_segment_fixed_size: 0
    .kernarg_segment_align: 8
    .kernarg_segment_size: 48
    .language:       OpenCL C
    .language_version:
      - 2
      - 0
    .max_flat_workgroup_size: 256
    .name:           _ZN7rocprim17ROCPRIM_400000_NS6detail17trampoline_kernelINS0_14default_configENS1_22reduce_config_selectorIlEEZNS1_11reduce_implILb1ES3_PlS7_lN6hipcub16HIPCUB_304000_NS6detail34convert_binary_result_type_wrapperINS9_3SumENS9_22TransformInputIteratorIb7NonZeroIiEPilEElEEEE10hipError_tPvRmT1_T2_T3_mT4_P12ihipStream_tbEUlT_E1_NS1_11comp_targetILNS1_3genE3ELNS1_11target_archE908ELNS1_3gpuE7ELNS1_3repE0EEENS1_30default_config_static_selectorELNS0_4arch9wavefront6targetE1EEEvSM_
    .private_segment_fixed_size: 0
    .sgpr_count:     6
    .sgpr_spill_count: 0
    .symbol:         _ZN7rocprim17ROCPRIM_400000_NS6detail17trampoline_kernelINS0_14default_configENS1_22reduce_config_selectorIlEEZNS1_11reduce_implILb1ES3_PlS7_lN6hipcub16HIPCUB_304000_NS6detail34convert_binary_result_type_wrapperINS9_3SumENS9_22TransformInputIteratorIb7NonZeroIiEPilEElEEEE10hipError_tPvRmT1_T2_T3_mT4_P12ihipStream_tbEUlT_E1_NS1_11comp_targetILNS1_3genE3ELNS1_11target_archE908ELNS1_3gpuE7ELNS1_3repE0EEENS1_30default_config_static_selectorELNS0_4arch9wavefront6targetE1EEEvSM_.kd
    .uniform_work_group_size: 1
    .uses_dynamic_stack: false
    .vgpr_count:     0
    .vgpr_spill_count: 0
    .wavefront_size: 64
  - .agpr_count:     0
    .args:
      - .offset:         0
        .size:           48
        .value_kind:     by_value
    .group_segment_fixed_size: 0
    .kernarg_segment_align: 8
    .kernarg_segment_size: 48
    .language:       OpenCL C
    .language_version:
      - 2
      - 0
    .max_flat_workgroup_size: 256
    .name:           _ZN7rocprim17ROCPRIM_400000_NS6detail17trampoline_kernelINS0_14default_configENS1_22reduce_config_selectorIlEEZNS1_11reduce_implILb1ES3_PlS7_lN6hipcub16HIPCUB_304000_NS6detail34convert_binary_result_type_wrapperINS9_3SumENS9_22TransformInputIteratorIb7NonZeroIiEPilEElEEEE10hipError_tPvRmT1_T2_T3_mT4_P12ihipStream_tbEUlT_E1_NS1_11comp_targetILNS1_3genE2ELNS1_11target_archE906ELNS1_3gpuE6ELNS1_3repE0EEENS1_30default_config_static_selectorELNS0_4arch9wavefront6targetE1EEEvSM_
    .private_segment_fixed_size: 0
    .sgpr_count:     6
    .sgpr_spill_count: 0
    .symbol:         _ZN7rocprim17ROCPRIM_400000_NS6detail17trampoline_kernelINS0_14default_configENS1_22reduce_config_selectorIlEEZNS1_11reduce_implILb1ES3_PlS7_lN6hipcub16HIPCUB_304000_NS6detail34convert_binary_result_type_wrapperINS9_3SumENS9_22TransformInputIteratorIb7NonZeroIiEPilEElEEEE10hipError_tPvRmT1_T2_T3_mT4_P12ihipStream_tbEUlT_E1_NS1_11comp_targetILNS1_3genE2ELNS1_11target_archE906ELNS1_3gpuE6ELNS1_3repE0EEENS1_30default_config_static_selectorELNS0_4arch9wavefront6targetE1EEEvSM_.kd
    .uniform_work_group_size: 1
    .uses_dynamic_stack: false
    .vgpr_count:     0
    .vgpr_spill_count: 0
    .wavefront_size: 64
  - .agpr_count:     0
    .args:
      - .offset:         0
        .size:           48
        .value_kind:     by_value
    .group_segment_fixed_size: 0
    .kernarg_segment_align: 8
    .kernarg_segment_size: 48
    .language:       OpenCL C
    .language_version:
      - 2
      - 0
    .max_flat_workgroup_size: 256
    .name:           _ZN7rocprim17ROCPRIM_400000_NS6detail17trampoline_kernelINS0_14default_configENS1_22reduce_config_selectorIlEEZNS1_11reduce_implILb1ES3_PlS7_lN6hipcub16HIPCUB_304000_NS6detail34convert_binary_result_type_wrapperINS9_3SumENS9_22TransformInputIteratorIb7NonZeroIiEPilEElEEEE10hipError_tPvRmT1_T2_T3_mT4_P12ihipStream_tbEUlT_E1_NS1_11comp_targetILNS1_3genE10ELNS1_11target_archE1201ELNS1_3gpuE5ELNS1_3repE0EEENS1_30default_config_static_selectorELNS0_4arch9wavefront6targetE1EEEvSM_
    .private_segment_fixed_size: 0
    .sgpr_count:     6
    .sgpr_spill_count: 0
    .symbol:         _ZN7rocprim17ROCPRIM_400000_NS6detail17trampoline_kernelINS0_14default_configENS1_22reduce_config_selectorIlEEZNS1_11reduce_implILb1ES3_PlS7_lN6hipcub16HIPCUB_304000_NS6detail34convert_binary_result_type_wrapperINS9_3SumENS9_22TransformInputIteratorIb7NonZeroIiEPilEElEEEE10hipError_tPvRmT1_T2_T3_mT4_P12ihipStream_tbEUlT_E1_NS1_11comp_targetILNS1_3genE10ELNS1_11target_archE1201ELNS1_3gpuE5ELNS1_3repE0EEENS1_30default_config_static_selectorELNS0_4arch9wavefront6targetE1EEEvSM_.kd
    .uniform_work_group_size: 1
    .uses_dynamic_stack: false
    .vgpr_count:     0
    .vgpr_spill_count: 0
    .wavefront_size: 64
  - .agpr_count:     0
    .args:
      - .offset:         0
        .size:           48
        .value_kind:     by_value
    .group_segment_fixed_size: 0
    .kernarg_segment_align: 8
    .kernarg_segment_size: 48
    .language:       OpenCL C
    .language_version:
      - 2
      - 0
    .max_flat_workgroup_size: 256
    .name:           _ZN7rocprim17ROCPRIM_400000_NS6detail17trampoline_kernelINS0_14default_configENS1_22reduce_config_selectorIlEEZNS1_11reduce_implILb1ES3_PlS7_lN6hipcub16HIPCUB_304000_NS6detail34convert_binary_result_type_wrapperINS9_3SumENS9_22TransformInputIteratorIb7NonZeroIiEPilEElEEEE10hipError_tPvRmT1_T2_T3_mT4_P12ihipStream_tbEUlT_E1_NS1_11comp_targetILNS1_3genE10ELNS1_11target_archE1200ELNS1_3gpuE4ELNS1_3repE0EEENS1_30default_config_static_selectorELNS0_4arch9wavefront6targetE1EEEvSM_
    .private_segment_fixed_size: 0
    .sgpr_count:     6
    .sgpr_spill_count: 0
    .symbol:         _ZN7rocprim17ROCPRIM_400000_NS6detail17trampoline_kernelINS0_14default_configENS1_22reduce_config_selectorIlEEZNS1_11reduce_implILb1ES3_PlS7_lN6hipcub16HIPCUB_304000_NS6detail34convert_binary_result_type_wrapperINS9_3SumENS9_22TransformInputIteratorIb7NonZeroIiEPilEElEEEE10hipError_tPvRmT1_T2_T3_mT4_P12ihipStream_tbEUlT_E1_NS1_11comp_targetILNS1_3genE10ELNS1_11target_archE1200ELNS1_3gpuE4ELNS1_3repE0EEENS1_30default_config_static_selectorELNS0_4arch9wavefront6targetE1EEEvSM_.kd
    .uniform_work_group_size: 1
    .uses_dynamic_stack: false
    .vgpr_count:     0
    .vgpr_spill_count: 0
    .wavefront_size: 64
  - .agpr_count:     0
    .args:
      - .offset:         0
        .size:           48
        .value_kind:     by_value
    .group_segment_fixed_size: 0
    .kernarg_segment_align: 8
    .kernarg_segment_size: 48
    .language:       OpenCL C
    .language_version:
      - 2
      - 0
    .max_flat_workgroup_size: 256
    .name:           _ZN7rocprim17ROCPRIM_400000_NS6detail17trampoline_kernelINS0_14default_configENS1_22reduce_config_selectorIlEEZNS1_11reduce_implILb1ES3_PlS7_lN6hipcub16HIPCUB_304000_NS6detail34convert_binary_result_type_wrapperINS9_3SumENS9_22TransformInputIteratorIb7NonZeroIiEPilEElEEEE10hipError_tPvRmT1_T2_T3_mT4_P12ihipStream_tbEUlT_E1_NS1_11comp_targetILNS1_3genE9ELNS1_11target_archE1100ELNS1_3gpuE3ELNS1_3repE0EEENS1_30default_config_static_selectorELNS0_4arch9wavefront6targetE1EEEvSM_
    .private_segment_fixed_size: 0
    .sgpr_count:     6
    .sgpr_spill_count: 0
    .symbol:         _ZN7rocprim17ROCPRIM_400000_NS6detail17trampoline_kernelINS0_14default_configENS1_22reduce_config_selectorIlEEZNS1_11reduce_implILb1ES3_PlS7_lN6hipcub16HIPCUB_304000_NS6detail34convert_binary_result_type_wrapperINS9_3SumENS9_22TransformInputIteratorIb7NonZeroIiEPilEElEEEE10hipError_tPvRmT1_T2_T3_mT4_P12ihipStream_tbEUlT_E1_NS1_11comp_targetILNS1_3genE9ELNS1_11target_archE1100ELNS1_3gpuE3ELNS1_3repE0EEENS1_30default_config_static_selectorELNS0_4arch9wavefront6targetE1EEEvSM_.kd
    .uniform_work_group_size: 1
    .uses_dynamic_stack: false
    .vgpr_count:     0
    .vgpr_spill_count: 0
    .wavefront_size: 64
  - .agpr_count:     0
    .args:
      - .offset:         0
        .size:           48
        .value_kind:     by_value
    .group_segment_fixed_size: 0
    .kernarg_segment_align: 8
    .kernarg_segment_size: 48
    .language:       OpenCL C
    .language_version:
      - 2
      - 0
    .max_flat_workgroup_size: 256
    .name:           _ZN7rocprim17ROCPRIM_400000_NS6detail17trampoline_kernelINS0_14default_configENS1_22reduce_config_selectorIlEEZNS1_11reduce_implILb1ES3_PlS7_lN6hipcub16HIPCUB_304000_NS6detail34convert_binary_result_type_wrapperINS9_3SumENS9_22TransformInputIteratorIb7NonZeroIiEPilEElEEEE10hipError_tPvRmT1_T2_T3_mT4_P12ihipStream_tbEUlT_E1_NS1_11comp_targetILNS1_3genE8ELNS1_11target_archE1030ELNS1_3gpuE2ELNS1_3repE0EEENS1_30default_config_static_selectorELNS0_4arch9wavefront6targetE1EEEvSM_
    .private_segment_fixed_size: 0
    .sgpr_count:     6
    .sgpr_spill_count: 0
    .symbol:         _ZN7rocprim17ROCPRIM_400000_NS6detail17trampoline_kernelINS0_14default_configENS1_22reduce_config_selectorIlEEZNS1_11reduce_implILb1ES3_PlS7_lN6hipcub16HIPCUB_304000_NS6detail34convert_binary_result_type_wrapperINS9_3SumENS9_22TransformInputIteratorIb7NonZeroIiEPilEElEEEE10hipError_tPvRmT1_T2_T3_mT4_P12ihipStream_tbEUlT_E1_NS1_11comp_targetILNS1_3genE8ELNS1_11target_archE1030ELNS1_3gpuE2ELNS1_3repE0EEENS1_30default_config_static_selectorELNS0_4arch9wavefront6targetE1EEEvSM_.kd
    .uniform_work_group_size: 1
    .uses_dynamic_stack: false
    .vgpr_count:     0
    .vgpr_spill_count: 0
    .wavefront_size: 64
  - .agpr_count:     0
    .args:
      - .offset:         0
        .size:           72
        .value_kind:     by_value
    .group_segment_fixed_size: 64
    .kernarg_segment_align: 8
    .kernarg_segment_size: 72
    .language:       OpenCL C
    .language_version:
      - 2
      - 0
    .max_flat_workgroup_size: 256
    .name:           _ZN7rocprim17ROCPRIM_400000_NS6detail17trampoline_kernelINS0_14default_configENS1_22reduce_config_selectorIbEEZNS1_11reduce_implILb1ES3_N6hipcub16HIPCUB_304000_NS22TransformInputIteratorIb7NonZeroIiEPilEEPllNS8_6detail34convert_binary_result_type_wrapperINS8_3SumESD_lEEEE10hipError_tPvRmT1_T2_T3_mT4_P12ihipStream_tbEUlT_E0_NS1_11comp_targetILNS1_3genE0ELNS1_11target_archE4294967295ELNS1_3gpuE0ELNS1_3repE0EEENS1_30default_config_static_selectorELNS0_4arch9wavefront6targetE1EEEvSM_
    .private_segment_fixed_size: 0
    .sgpr_count:     54
    .sgpr_spill_count: 0
    .symbol:         _ZN7rocprim17ROCPRIM_400000_NS6detail17trampoline_kernelINS0_14default_configENS1_22reduce_config_selectorIbEEZNS1_11reduce_implILb1ES3_N6hipcub16HIPCUB_304000_NS22TransformInputIteratorIb7NonZeroIiEPilEEPllNS8_6detail34convert_binary_result_type_wrapperINS8_3SumESD_lEEEE10hipError_tPvRmT1_T2_T3_mT4_P12ihipStream_tbEUlT_E0_NS1_11comp_targetILNS1_3genE0ELNS1_11target_archE4294967295ELNS1_3gpuE0ELNS1_3repE0EEENS1_30default_config_static_selectorELNS0_4arch9wavefront6targetE1EEEvSM_.kd
    .uniform_work_group_size: 1
    .uses_dynamic_stack: false
    .vgpr_count:     43
    .vgpr_spill_count: 0
    .wavefront_size: 64
  - .agpr_count:     0
    .args:
      - .offset:         0
        .size:           72
        .value_kind:     by_value
    .group_segment_fixed_size: 0
    .kernarg_segment_align: 8
    .kernarg_segment_size: 72
    .language:       OpenCL C
    .language_version:
      - 2
      - 0
    .max_flat_workgroup_size: 256
    .name:           _ZN7rocprim17ROCPRIM_400000_NS6detail17trampoline_kernelINS0_14default_configENS1_22reduce_config_selectorIbEEZNS1_11reduce_implILb1ES3_N6hipcub16HIPCUB_304000_NS22TransformInputIteratorIb7NonZeroIiEPilEEPllNS8_6detail34convert_binary_result_type_wrapperINS8_3SumESD_lEEEE10hipError_tPvRmT1_T2_T3_mT4_P12ihipStream_tbEUlT_E0_NS1_11comp_targetILNS1_3genE5ELNS1_11target_archE942ELNS1_3gpuE9ELNS1_3repE0EEENS1_30default_config_static_selectorELNS0_4arch9wavefront6targetE1EEEvSM_
    .private_segment_fixed_size: 0
    .sgpr_count:     6
    .sgpr_spill_count: 0
    .symbol:         _ZN7rocprim17ROCPRIM_400000_NS6detail17trampoline_kernelINS0_14default_configENS1_22reduce_config_selectorIbEEZNS1_11reduce_implILb1ES3_N6hipcub16HIPCUB_304000_NS22TransformInputIteratorIb7NonZeroIiEPilEEPllNS8_6detail34convert_binary_result_type_wrapperINS8_3SumESD_lEEEE10hipError_tPvRmT1_T2_T3_mT4_P12ihipStream_tbEUlT_E0_NS1_11comp_targetILNS1_3genE5ELNS1_11target_archE942ELNS1_3gpuE9ELNS1_3repE0EEENS1_30default_config_static_selectorELNS0_4arch9wavefront6targetE1EEEvSM_.kd
    .uniform_work_group_size: 1
    .uses_dynamic_stack: false
    .vgpr_count:     0
    .vgpr_spill_count: 0
    .wavefront_size: 64
  - .agpr_count:     0
    .args:
      - .offset:         0
        .size:           72
        .value_kind:     by_value
    .group_segment_fixed_size: 0
    .kernarg_segment_align: 8
    .kernarg_segment_size: 72
    .language:       OpenCL C
    .language_version:
      - 2
      - 0
    .max_flat_workgroup_size: 128
    .name:           _ZN7rocprim17ROCPRIM_400000_NS6detail17trampoline_kernelINS0_14default_configENS1_22reduce_config_selectorIbEEZNS1_11reduce_implILb1ES3_N6hipcub16HIPCUB_304000_NS22TransformInputIteratorIb7NonZeroIiEPilEEPllNS8_6detail34convert_binary_result_type_wrapperINS8_3SumESD_lEEEE10hipError_tPvRmT1_T2_T3_mT4_P12ihipStream_tbEUlT_E0_NS1_11comp_targetILNS1_3genE4ELNS1_11target_archE910ELNS1_3gpuE8ELNS1_3repE0EEENS1_30default_config_static_selectorELNS0_4arch9wavefront6targetE1EEEvSM_
    .private_segment_fixed_size: 0
    .sgpr_count:     6
    .sgpr_spill_count: 0
    .symbol:         _ZN7rocprim17ROCPRIM_400000_NS6detail17trampoline_kernelINS0_14default_configENS1_22reduce_config_selectorIbEEZNS1_11reduce_implILb1ES3_N6hipcub16HIPCUB_304000_NS22TransformInputIteratorIb7NonZeroIiEPilEEPllNS8_6detail34convert_binary_result_type_wrapperINS8_3SumESD_lEEEE10hipError_tPvRmT1_T2_T3_mT4_P12ihipStream_tbEUlT_E0_NS1_11comp_targetILNS1_3genE4ELNS1_11target_archE910ELNS1_3gpuE8ELNS1_3repE0EEENS1_30default_config_static_selectorELNS0_4arch9wavefront6targetE1EEEvSM_.kd
    .uniform_work_group_size: 1
    .uses_dynamic_stack: false
    .vgpr_count:     0
    .vgpr_spill_count: 0
    .wavefront_size: 64
  - .agpr_count:     0
    .args:
      - .offset:         0
        .size:           72
        .value_kind:     by_value
    .group_segment_fixed_size: 0
    .kernarg_segment_align: 8
    .kernarg_segment_size: 72
    .language:       OpenCL C
    .language_version:
      - 2
      - 0
    .max_flat_workgroup_size: 256
    .name:           _ZN7rocprim17ROCPRIM_400000_NS6detail17trampoline_kernelINS0_14default_configENS1_22reduce_config_selectorIbEEZNS1_11reduce_implILb1ES3_N6hipcub16HIPCUB_304000_NS22TransformInputIteratorIb7NonZeroIiEPilEEPllNS8_6detail34convert_binary_result_type_wrapperINS8_3SumESD_lEEEE10hipError_tPvRmT1_T2_T3_mT4_P12ihipStream_tbEUlT_E0_NS1_11comp_targetILNS1_3genE3ELNS1_11target_archE908ELNS1_3gpuE7ELNS1_3repE0EEENS1_30default_config_static_selectorELNS0_4arch9wavefront6targetE1EEEvSM_
    .private_segment_fixed_size: 0
    .sgpr_count:     6
    .sgpr_spill_count: 0
    .symbol:         _ZN7rocprim17ROCPRIM_400000_NS6detail17trampoline_kernelINS0_14default_configENS1_22reduce_config_selectorIbEEZNS1_11reduce_implILb1ES3_N6hipcub16HIPCUB_304000_NS22TransformInputIteratorIb7NonZeroIiEPilEEPllNS8_6detail34convert_binary_result_type_wrapperINS8_3SumESD_lEEEE10hipError_tPvRmT1_T2_T3_mT4_P12ihipStream_tbEUlT_E0_NS1_11comp_targetILNS1_3genE3ELNS1_11target_archE908ELNS1_3gpuE7ELNS1_3repE0EEENS1_30default_config_static_selectorELNS0_4arch9wavefront6targetE1EEEvSM_.kd
    .uniform_work_group_size: 1
    .uses_dynamic_stack: false
    .vgpr_count:     0
    .vgpr_spill_count: 0
    .wavefront_size: 64
  - .agpr_count:     0
    .args:
      - .offset:         0
        .size:           72
        .value_kind:     by_value
    .group_segment_fixed_size: 0
    .kernarg_segment_align: 8
    .kernarg_segment_size: 72
    .language:       OpenCL C
    .language_version:
      - 2
      - 0
    .max_flat_workgroup_size: 128
    .name:           _ZN7rocprim17ROCPRIM_400000_NS6detail17trampoline_kernelINS0_14default_configENS1_22reduce_config_selectorIbEEZNS1_11reduce_implILb1ES3_N6hipcub16HIPCUB_304000_NS22TransformInputIteratorIb7NonZeroIiEPilEEPllNS8_6detail34convert_binary_result_type_wrapperINS8_3SumESD_lEEEE10hipError_tPvRmT1_T2_T3_mT4_P12ihipStream_tbEUlT_E0_NS1_11comp_targetILNS1_3genE2ELNS1_11target_archE906ELNS1_3gpuE6ELNS1_3repE0EEENS1_30default_config_static_selectorELNS0_4arch9wavefront6targetE1EEEvSM_
    .private_segment_fixed_size: 0
    .sgpr_count:     6
    .sgpr_spill_count: 0
    .symbol:         _ZN7rocprim17ROCPRIM_400000_NS6detail17trampoline_kernelINS0_14default_configENS1_22reduce_config_selectorIbEEZNS1_11reduce_implILb1ES3_N6hipcub16HIPCUB_304000_NS22TransformInputIteratorIb7NonZeroIiEPilEEPllNS8_6detail34convert_binary_result_type_wrapperINS8_3SumESD_lEEEE10hipError_tPvRmT1_T2_T3_mT4_P12ihipStream_tbEUlT_E0_NS1_11comp_targetILNS1_3genE2ELNS1_11target_archE906ELNS1_3gpuE6ELNS1_3repE0EEENS1_30default_config_static_selectorELNS0_4arch9wavefront6targetE1EEEvSM_.kd
    .uniform_work_group_size: 1
    .uses_dynamic_stack: false
    .vgpr_count:     0
    .vgpr_spill_count: 0
    .wavefront_size: 64
  - .agpr_count:     0
    .args:
      - .offset:         0
        .size:           72
        .value_kind:     by_value
    .group_segment_fixed_size: 0
    .kernarg_segment_align: 8
    .kernarg_segment_size: 72
    .language:       OpenCL C
    .language_version:
      - 2
      - 0
    .max_flat_workgroup_size: 256
    .name:           _ZN7rocprim17ROCPRIM_400000_NS6detail17trampoline_kernelINS0_14default_configENS1_22reduce_config_selectorIbEEZNS1_11reduce_implILb1ES3_N6hipcub16HIPCUB_304000_NS22TransformInputIteratorIb7NonZeroIiEPilEEPllNS8_6detail34convert_binary_result_type_wrapperINS8_3SumESD_lEEEE10hipError_tPvRmT1_T2_T3_mT4_P12ihipStream_tbEUlT_E0_NS1_11comp_targetILNS1_3genE10ELNS1_11target_archE1201ELNS1_3gpuE5ELNS1_3repE0EEENS1_30default_config_static_selectorELNS0_4arch9wavefront6targetE1EEEvSM_
    .private_segment_fixed_size: 0
    .sgpr_count:     6
    .sgpr_spill_count: 0
    .symbol:         _ZN7rocprim17ROCPRIM_400000_NS6detail17trampoline_kernelINS0_14default_configENS1_22reduce_config_selectorIbEEZNS1_11reduce_implILb1ES3_N6hipcub16HIPCUB_304000_NS22TransformInputIteratorIb7NonZeroIiEPilEEPllNS8_6detail34convert_binary_result_type_wrapperINS8_3SumESD_lEEEE10hipError_tPvRmT1_T2_T3_mT4_P12ihipStream_tbEUlT_E0_NS1_11comp_targetILNS1_3genE10ELNS1_11target_archE1201ELNS1_3gpuE5ELNS1_3repE0EEENS1_30default_config_static_selectorELNS0_4arch9wavefront6targetE1EEEvSM_.kd
    .uniform_work_group_size: 1
    .uses_dynamic_stack: false
    .vgpr_count:     0
    .vgpr_spill_count: 0
    .wavefront_size: 64
  - .agpr_count:     0
    .args:
      - .offset:         0
        .size:           72
        .value_kind:     by_value
    .group_segment_fixed_size: 0
    .kernarg_segment_align: 8
    .kernarg_segment_size: 72
    .language:       OpenCL C
    .language_version:
      - 2
      - 0
    .max_flat_workgroup_size: 256
    .name:           _ZN7rocprim17ROCPRIM_400000_NS6detail17trampoline_kernelINS0_14default_configENS1_22reduce_config_selectorIbEEZNS1_11reduce_implILb1ES3_N6hipcub16HIPCUB_304000_NS22TransformInputIteratorIb7NonZeroIiEPilEEPllNS8_6detail34convert_binary_result_type_wrapperINS8_3SumESD_lEEEE10hipError_tPvRmT1_T2_T3_mT4_P12ihipStream_tbEUlT_E0_NS1_11comp_targetILNS1_3genE10ELNS1_11target_archE1200ELNS1_3gpuE4ELNS1_3repE0EEENS1_30default_config_static_selectorELNS0_4arch9wavefront6targetE1EEEvSM_
    .private_segment_fixed_size: 0
    .sgpr_count:     6
    .sgpr_spill_count: 0
    .symbol:         _ZN7rocprim17ROCPRIM_400000_NS6detail17trampoline_kernelINS0_14default_configENS1_22reduce_config_selectorIbEEZNS1_11reduce_implILb1ES3_N6hipcub16HIPCUB_304000_NS22TransformInputIteratorIb7NonZeroIiEPilEEPllNS8_6detail34convert_binary_result_type_wrapperINS8_3SumESD_lEEEE10hipError_tPvRmT1_T2_T3_mT4_P12ihipStream_tbEUlT_E0_NS1_11comp_targetILNS1_3genE10ELNS1_11target_archE1200ELNS1_3gpuE4ELNS1_3repE0EEENS1_30default_config_static_selectorELNS0_4arch9wavefront6targetE1EEEvSM_.kd
    .uniform_work_group_size: 1
    .uses_dynamic_stack: false
    .vgpr_count:     0
    .vgpr_spill_count: 0
    .wavefront_size: 64
  - .agpr_count:     0
    .args:
      - .offset:         0
        .size:           72
        .value_kind:     by_value
    .group_segment_fixed_size: 0
    .kernarg_segment_align: 8
    .kernarg_segment_size: 72
    .language:       OpenCL C
    .language_version:
      - 2
      - 0
    .max_flat_workgroup_size: 128
    .name:           _ZN7rocprim17ROCPRIM_400000_NS6detail17trampoline_kernelINS0_14default_configENS1_22reduce_config_selectorIbEEZNS1_11reduce_implILb1ES3_N6hipcub16HIPCUB_304000_NS22TransformInputIteratorIb7NonZeroIiEPilEEPllNS8_6detail34convert_binary_result_type_wrapperINS8_3SumESD_lEEEE10hipError_tPvRmT1_T2_T3_mT4_P12ihipStream_tbEUlT_E0_NS1_11comp_targetILNS1_3genE9ELNS1_11target_archE1100ELNS1_3gpuE3ELNS1_3repE0EEENS1_30default_config_static_selectorELNS0_4arch9wavefront6targetE1EEEvSM_
    .private_segment_fixed_size: 0
    .sgpr_count:     6
    .sgpr_spill_count: 0
    .symbol:         _ZN7rocprim17ROCPRIM_400000_NS6detail17trampoline_kernelINS0_14default_configENS1_22reduce_config_selectorIbEEZNS1_11reduce_implILb1ES3_N6hipcub16HIPCUB_304000_NS22TransformInputIteratorIb7NonZeroIiEPilEEPllNS8_6detail34convert_binary_result_type_wrapperINS8_3SumESD_lEEEE10hipError_tPvRmT1_T2_T3_mT4_P12ihipStream_tbEUlT_E0_NS1_11comp_targetILNS1_3genE9ELNS1_11target_archE1100ELNS1_3gpuE3ELNS1_3repE0EEENS1_30default_config_static_selectorELNS0_4arch9wavefront6targetE1EEEvSM_.kd
    .uniform_work_group_size: 1
    .uses_dynamic_stack: false
    .vgpr_count:     0
    .vgpr_spill_count: 0
    .wavefront_size: 64
  - .agpr_count:     0
    .args:
      - .offset:         0
        .size:           72
        .value_kind:     by_value
    .group_segment_fixed_size: 0
    .kernarg_segment_align: 8
    .kernarg_segment_size: 72
    .language:       OpenCL C
    .language_version:
      - 2
      - 0
    .max_flat_workgroup_size: 256
    .name:           _ZN7rocprim17ROCPRIM_400000_NS6detail17trampoline_kernelINS0_14default_configENS1_22reduce_config_selectorIbEEZNS1_11reduce_implILb1ES3_N6hipcub16HIPCUB_304000_NS22TransformInputIteratorIb7NonZeroIiEPilEEPllNS8_6detail34convert_binary_result_type_wrapperINS8_3SumESD_lEEEE10hipError_tPvRmT1_T2_T3_mT4_P12ihipStream_tbEUlT_E0_NS1_11comp_targetILNS1_3genE8ELNS1_11target_archE1030ELNS1_3gpuE2ELNS1_3repE0EEENS1_30default_config_static_selectorELNS0_4arch9wavefront6targetE1EEEvSM_
    .private_segment_fixed_size: 0
    .sgpr_count:     6
    .sgpr_spill_count: 0
    .symbol:         _ZN7rocprim17ROCPRIM_400000_NS6detail17trampoline_kernelINS0_14default_configENS1_22reduce_config_selectorIbEEZNS1_11reduce_implILb1ES3_N6hipcub16HIPCUB_304000_NS22TransformInputIteratorIb7NonZeroIiEPilEEPllNS8_6detail34convert_binary_result_type_wrapperINS8_3SumESD_lEEEE10hipError_tPvRmT1_T2_T3_mT4_P12ihipStream_tbEUlT_E0_NS1_11comp_targetILNS1_3genE8ELNS1_11target_archE1030ELNS1_3gpuE2ELNS1_3repE0EEENS1_30default_config_static_selectorELNS0_4arch9wavefront6targetE1EEEvSM_.kd
    .uniform_work_group_size: 1
    .uses_dynamic_stack: false
    .vgpr_count:     0
    .vgpr_spill_count: 0
    .wavefront_size: 64
  - .agpr_count:     4
    .args:
      - .offset:         0
        .size:           56
        .value_kind:     by_value
    .group_segment_fixed_size: 288
    .kernarg_segment_align: 8
    .kernarg_segment_size: 56
    .language:       OpenCL C
    .language_version:
      - 2
      - 0
    .max_flat_workgroup_size: 256
    .name:           _ZN7rocprim17ROCPRIM_400000_NS6detail17trampoline_kernelINS0_14default_configENS1_22reduce_config_selectorIbEEZNS1_11reduce_implILb1ES3_N6hipcub16HIPCUB_304000_NS22TransformInputIteratorIb7NonZeroIiEPilEEPllNS8_6detail34convert_binary_result_type_wrapperINS8_3SumESD_lEEEE10hipError_tPvRmT1_T2_T3_mT4_P12ihipStream_tbEUlT_E1_NS1_11comp_targetILNS1_3genE0ELNS1_11target_archE4294967295ELNS1_3gpuE0ELNS1_3repE0EEENS1_30default_config_static_selectorELNS0_4arch9wavefront6targetE1EEEvSM_
    .private_segment_fixed_size: 0
    .sgpr_count:     52
    .sgpr_spill_count: 0
    .symbol:         _ZN7rocprim17ROCPRIM_400000_NS6detail17trampoline_kernelINS0_14default_configENS1_22reduce_config_selectorIbEEZNS1_11reduce_implILb1ES3_N6hipcub16HIPCUB_304000_NS22TransformInputIteratorIb7NonZeroIiEPilEEPllNS8_6detail34convert_binary_result_type_wrapperINS8_3SumESD_lEEEE10hipError_tPvRmT1_T2_T3_mT4_P12ihipStream_tbEUlT_E1_NS1_11comp_targetILNS1_3genE0ELNS1_11target_archE4294967295ELNS1_3gpuE0ELNS1_3repE0EEENS1_30default_config_static_selectorELNS0_4arch9wavefront6targetE1EEEvSM_.kd
    .uniform_work_group_size: 1
    .uses_dynamic_stack: false
    .vgpr_count:     260
    .vgpr_spill_count: 0
    .wavefront_size: 64
  - .agpr_count:     0
    .args:
      - .offset:         0
        .size:           56
        .value_kind:     by_value
    .group_segment_fixed_size: 0
    .kernarg_segment_align: 8
    .kernarg_segment_size: 56
    .language:       OpenCL C
    .language_version:
      - 2
      - 0
    .max_flat_workgroup_size: 256
    .name:           _ZN7rocprim17ROCPRIM_400000_NS6detail17trampoline_kernelINS0_14default_configENS1_22reduce_config_selectorIbEEZNS1_11reduce_implILb1ES3_N6hipcub16HIPCUB_304000_NS22TransformInputIteratorIb7NonZeroIiEPilEEPllNS8_6detail34convert_binary_result_type_wrapperINS8_3SumESD_lEEEE10hipError_tPvRmT1_T2_T3_mT4_P12ihipStream_tbEUlT_E1_NS1_11comp_targetILNS1_3genE5ELNS1_11target_archE942ELNS1_3gpuE9ELNS1_3repE0EEENS1_30default_config_static_selectorELNS0_4arch9wavefront6targetE1EEEvSM_
    .private_segment_fixed_size: 0
    .sgpr_count:     6
    .sgpr_spill_count: 0
    .symbol:         _ZN7rocprim17ROCPRIM_400000_NS6detail17trampoline_kernelINS0_14default_configENS1_22reduce_config_selectorIbEEZNS1_11reduce_implILb1ES3_N6hipcub16HIPCUB_304000_NS22TransformInputIteratorIb7NonZeroIiEPilEEPllNS8_6detail34convert_binary_result_type_wrapperINS8_3SumESD_lEEEE10hipError_tPvRmT1_T2_T3_mT4_P12ihipStream_tbEUlT_E1_NS1_11comp_targetILNS1_3genE5ELNS1_11target_archE942ELNS1_3gpuE9ELNS1_3repE0EEENS1_30default_config_static_selectorELNS0_4arch9wavefront6targetE1EEEvSM_.kd
    .uniform_work_group_size: 1
    .uses_dynamic_stack: false
    .vgpr_count:     0
    .vgpr_spill_count: 0
    .wavefront_size: 64
  - .agpr_count:     0
    .args:
      - .offset:         0
        .size:           56
        .value_kind:     by_value
    .group_segment_fixed_size: 0
    .kernarg_segment_align: 8
    .kernarg_segment_size: 56
    .language:       OpenCL C
    .language_version:
      - 2
      - 0
    .max_flat_workgroup_size: 128
    .name:           _ZN7rocprim17ROCPRIM_400000_NS6detail17trampoline_kernelINS0_14default_configENS1_22reduce_config_selectorIbEEZNS1_11reduce_implILb1ES3_N6hipcub16HIPCUB_304000_NS22TransformInputIteratorIb7NonZeroIiEPilEEPllNS8_6detail34convert_binary_result_type_wrapperINS8_3SumESD_lEEEE10hipError_tPvRmT1_T2_T3_mT4_P12ihipStream_tbEUlT_E1_NS1_11comp_targetILNS1_3genE4ELNS1_11target_archE910ELNS1_3gpuE8ELNS1_3repE0EEENS1_30default_config_static_selectorELNS0_4arch9wavefront6targetE1EEEvSM_
    .private_segment_fixed_size: 0
    .sgpr_count:     6
    .sgpr_spill_count: 0
    .symbol:         _ZN7rocprim17ROCPRIM_400000_NS6detail17trampoline_kernelINS0_14default_configENS1_22reduce_config_selectorIbEEZNS1_11reduce_implILb1ES3_N6hipcub16HIPCUB_304000_NS22TransformInputIteratorIb7NonZeroIiEPilEEPllNS8_6detail34convert_binary_result_type_wrapperINS8_3SumESD_lEEEE10hipError_tPvRmT1_T2_T3_mT4_P12ihipStream_tbEUlT_E1_NS1_11comp_targetILNS1_3genE4ELNS1_11target_archE910ELNS1_3gpuE8ELNS1_3repE0EEENS1_30default_config_static_selectorELNS0_4arch9wavefront6targetE1EEEvSM_.kd
    .uniform_work_group_size: 1
    .uses_dynamic_stack: false
    .vgpr_count:     0
    .vgpr_spill_count: 0
    .wavefront_size: 64
  - .agpr_count:     0
    .args:
      - .offset:         0
        .size:           56
        .value_kind:     by_value
    .group_segment_fixed_size: 0
    .kernarg_segment_align: 8
    .kernarg_segment_size: 56
    .language:       OpenCL C
    .language_version:
      - 2
      - 0
    .max_flat_workgroup_size: 256
    .name:           _ZN7rocprim17ROCPRIM_400000_NS6detail17trampoline_kernelINS0_14default_configENS1_22reduce_config_selectorIbEEZNS1_11reduce_implILb1ES3_N6hipcub16HIPCUB_304000_NS22TransformInputIteratorIb7NonZeroIiEPilEEPllNS8_6detail34convert_binary_result_type_wrapperINS8_3SumESD_lEEEE10hipError_tPvRmT1_T2_T3_mT4_P12ihipStream_tbEUlT_E1_NS1_11comp_targetILNS1_3genE3ELNS1_11target_archE908ELNS1_3gpuE7ELNS1_3repE0EEENS1_30default_config_static_selectorELNS0_4arch9wavefront6targetE1EEEvSM_
    .private_segment_fixed_size: 0
    .sgpr_count:     6
    .sgpr_spill_count: 0
    .symbol:         _ZN7rocprim17ROCPRIM_400000_NS6detail17trampoline_kernelINS0_14default_configENS1_22reduce_config_selectorIbEEZNS1_11reduce_implILb1ES3_N6hipcub16HIPCUB_304000_NS22TransformInputIteratorIb7NonZeroIiEPilEEPllNS8_6detail34convert_binary_result_type_wrapperINS8_3SumESD_lEEEE10hipError_tPvRmT1_T2_T3_mT4_P12ihipStream_tbEUlT_E1_NS1_11comp_targetILNS1_3genE3ELNS1_11target_archE908ELNS1_3gpuE7ELNS1_3repE0EEENS1_30default_config_static_selectorELNS0_4arch9wavefront6targetE1EEEvSM_.kd
    .uniform_work_group_size: 1
    .uses_dynamic_stack: false
    .vgpr_count:     0
    .vgpr_spill_count: 0
    .wavefront_size: 64
  - .agpr_count:     0
    .args:
      - .offset:         0
        .size:           56
        .value_kind:     by_value
    .group_segment_fixed_size: 0
    .kernarg_segment_align: 8
    .kernarg_segment_size: 56
    .language:       OpenCL C
    .language_version:
      - 2
      - 0
    .max_flat_workgroup_size: 128
    .name:           _ZN7rocprim17ROCPRIM_400000_NS6detail17trampoline_kernelINS0_14default_configENS1_22reduce_config_selectorIbEEZNS1_11reduce_implILb1ES3_N6hipcub16HIPCUB_304000_NS22TransformInputIteratorIb7NonZeroIiEPilEEPllNS8_6detail34convert_binary_result_type_wrapperINS8_3SumESD_lEEEE10hipError_tPvRmT1_T2_T3_mT4_P12ihipStream_tbEUlT_E1_NS1_11comp_targetILNS1_3genE2ELNS1_11target_archE906ELNS1_3gpuE6ELNS1_3repE0EEENS1_30default_config_static_selectorELNS0_4arch9wavefront6targetE1EEEvSM_
    .private_segment_fixed_size: 0
    .sgpr_count:     6
    .sgpr_spill_count: 0
    .symbol:         _ZN7rocprim17ROCPRIM_400000_NS6detail17trampoline_kernelINS0_14default_configENS1_22reduce_config_selectorIbEEZNS1_11reduce_implILb1ES3_N6hipcub16HIPCUB_304000_NS22TransformInputIteratorIb7NonZeroIiEPilEEPllNS8_6detail34convert_binary_result_type_wrapperINS8_3SumESD_lEEEE10hipError_tPvRmT1_T2_T3_mT4_P12ihipStream_tbEUlT_E1_NS1_11comp_targetILNS1_3genE2ELNS1_11target_archE906ELNS1_3gpuE6ELNS1_3repE0EEENS1_30default_config_static_selectorELNS0_4arch9wavefront6targetE1EEEvSM_.kd
    .uniform_work_group_size: 1
    .uses_dynamic_stack: false
    .vgpr_count:     0
    .vgpr_spill_count: 0
    .wavefront_size: 64
  - .agpr_count:     0
    .args:
      - .offset:         0
        .size:           56
        .value_kind:     by_value
    .group_segment_fixed_size: 0
    .kernarg_segment_align: 8
    .kernarg_segment_size: 56
    .language:       OpenCL C
    .language_version:
      - 2
      - 0
    .max_flat_workgroup_size: 256
    .name:           _ZN7rocprim17ROCPRIM_400000_NS6detail17trampoline_kernelINS0_14default_configENS1_22reduce_config_selectorIbEEZNS1_11reduce_implILb1ES3_N6hipcub16HIPCUB_304000_NS22TransformInputIteratorIb7NonZeroIiEPilEEPllNS8_6detail34convert_binary_result_type_wrapperINS8_3SumESD_lEEEE10hipError_tPvRmT1_T2_T3_mT4_P12ihipStream_tbEUlT_E1_NS1_11comp_targetILNS1_3genE10ELNS1_11target_archE1201ELNS1_3gpuE5ELNS1_3repE0EEENS1_30default_config_static_selectorELNS0_4arch9wavefront6targetE1EEEvSM_
    .private_segment_fixed_size: 0
    .sgpr_count:     6
    .sgpr_spill_count: 0
    .symbol:         _ZN7rocprim17ROCPRIM_400000_NS6detail17trampoline_kernelINS0_14default_configENS1_22reduce_config_selectorIbEEZNS1_11reduce_implILb1ES3_N6hipcub16HIPCUB_304000_NS22TransformInputIteratorIb7NonZeroIiEPilEEPllNS8_6detail34convert_binary_result_type_wrapperINS8_3SumESD_lEEEE10hipError_tPvRmT1_T2_T3_mT4_P12ihipStream_tbEUlT_E1_NS1_11comp_targetILNS1_3genE10ELNS1_11target_archE1201ELNS1_3gpuE5ELNS1_3repE0EEENS1_30default_config_static_selectorELNS0_4arch9wavefront6targetE1EEEvSM_.kd
    .uniform_work_group_size: 1
    .uses_dynamic_stack: false
    .vgpr_count:     0
    .vgpr_spill_count: 0
    .wavefront_size: 64
  - .agpr_count:     0
    .args:
      - .offset:         0
        .size:           56
        .value_kind:     by_value
    .group_segment_fixed_size: 0
    .kernarg_segment_align: 8
    .kernarg_segment_size: 56
    .language:       OpenCL C
    .language_version:
      - 2
      - 0
    .max_flat_workgroup_size: 256
    .name:           _ZN7rocprim17ROCPRIM_400000_NS6detail17trampoline_kernelINS0_14default_configENS1_22reduce_config_selectorIbEEZNS1_11reduce_implILb1ES3_N6hipcub16HIPCUB_304000_NS22TransformInputIteratorIb7NonZeroIiEPilEEPllNS8_6detail34convert_binary_result_type_wrapperINS8_3SumESD_lEEEE10hipError_tPvRmT1_T2_T3_mT4_P12ihipStream_tbEUlT_E1_NS1_11comp_targetILNS1_3genE10ELNS1_11target_archE1200ELNS1_3gpuE4ELNS1_3repE0EEENS1_30default_config_static_selectorELNS0_4arch9wavefront6targetE1EEEvSM_
    .private_segment_fixed_size: 0
    .sgpr_count:     6
    .sgpr_spill_count: 0
    .symbol:         _ZN7rocprim17ROCPRIM_400000_NS6detail17trampoline_kernelINS0_14default_configENS1_22reduce_config_selectorIbEEZNS1_11reduce_implILb1ES3_N6hipcub16HIPCUB_304000_NS22TransformInputIteratorIb7NonZeroIiEPilEEPllNS8_6detail34convert_binary_result_type_wrapperINS8_3SumESD_lEEEE10hipError_tPvRmT1_T2_T3_mT4_P12ihipStream_tbEUlT_E1_NS1_11comp_targetILNS1_3genE10ELNS1_11target_archE1200ELNS1_3gpuE4ELNS1_3repE0EEENS1_30default_config_static_selectorELNS0_4arch9wavefront6targetE1EEEvSM_.kd
    .uniform_work_group_size: 1
    .uses_dynamic_stack: false
    .vgpr_count:     0
    .vgpr_spill_count: 0
    .wavefront_size: 64
  - .agpr_count:     0
    .args:
      - .offset:         0
        .size:           56
        .value_kind:     by_value
    .group_segment_fixed_size: 0
    .kernarg_segment_align: 8
    .kernarg_segment_size: 56
    .language:       OpenCL C
    .language_version:
      - 2
      - 0
    .max_flat_workgroup_size: 128
    .name:           _ZN7rocprim17ROCPRIM_400000_NS6detail17trampoline_kernelINS0_14default_configENS1_22reduce_config_selectorIbEEZNS1_11reduce_implILb1ES3_N6hipcub16HIPCUB_304000_NS22TransformInputIteratorIb7NonZeroIiEPilEEPllNS8_6detail34convert_binary_result_type_wrapperINS8_3SumESD_lEEEE10hipError_tPvRmT1_T2_T3_mT4_P12ihipStream_tbEUlT_E1_NS1_11comp_targetILNS1_3genE9ELNS1_11target_archE1100ELNS1_3gpuE3ELNS1_3repE0EEENS1_30default_config_static_selectorELNS0_4arch9wavefront6targetE1EEEvSM_
    .private_segment_fixed_size: 0
    .sgpr_count:     6
    .sgpr_spill_count: 0
    .symbol:         _ZN7rocprim17ROCPRIM_400000_NS6detail17trampoline_kernelINS0_14default_configENS1_22reduce_config_selectorIbEEZNS1_11reduce_implILb1ES3_N6hipcub16HIPCUB_304000_NS22TransformInputIteratorIb7NonZeroIiEPilEEPllNS8_6detail34convert_binary_result_type_wrapperINS8_3SumESD_lEEEE10hipError_tPvRmT1_T2_T3_mT4_P12ihipStream_tbEUlT_E1_NS1_11comp_targetILNS1_3genE9ELNS1_11target_archE1100ELNS1_3gpuE3ELNS1_3repE0EEENS1_30default_config_static_selectorELNS0_4arch9wavefront6targetE1EEEvSM_.kd
    .uniform_work_group_size: 1
    .uses_dynamic_stack: false
    .vgpr_count:     0
    .vgpr_spill_count: 0
    .wavefront_size: 64
  - .agpr_count:     0
    .args:
      - .offset:         0
        .size:           56
        .value_kind:     by_value
    .group_segment_fixed_size: 0
    .kernarg_segment_align: 8
    .kernarg_segment_size: 56
    .language:       OpenCL C
    .language_version:
      - 2
      - 0
    .max_flat_workgroup_size: 256
    .name:           _ZN7rocprim17ROCPRIM_400000_NS6detail17trampoline_kernelINS0_14default_configENS1_22reduce_config_selectorIbEEZNS1_11reduce_implILb1ES3_N6hipcub16HIPCUB_304000_NS22TransformInputIteratorIb7NonZeroIiEPilEEPllNS8_6detail34convert_binary_result_type_wrapperINS8_3SumESD_lEEEE10hipError_tPvRmT1_T2_T3_mT4_P12ihipStream_tbEUlT_E1_NS1_11comp_targetILNS1_3genE8ELNS1_11target_archE1030ELNS1_3gpuE2ELNS1_3repE0EEENS1_30default_config_static_selectorELNS0_4arch9wavefront6targetE1EEEvSM_
    .private_segment_fixed_size: 0
    .sgpr_count:     6
    .sgpr_spill_count: 0
    .symbol:         _ZN7rocprim17ROCPRIM_400000_NS6detail17trampoline_kernelINS0_14default_configENS1_22reduce_config_selectorIbEEZNS1_11reduce_implILb1ES3_N6hipcub16HIPCUB_304000_NS22TransformInputIteratorIb7NonZeroIiEPilEEPllNS8_6detail34convert_binary_result_type_wrapperINS8_3SumESD_lEEEE10hipError_tPvRmT1_T2_T3_mT4_P12ihipStream_tbEUlT_E1_NS1_11comp_targetILNS1_3genE8ELNS1_11target_archE1030ELNS1_3gpuE2ELNS1_3repE0EEENS1_30default_config_static_selectorELNS0_4arch9wavefront6targetE1EEEvSM_.kd
    .uniform_work_group_size: 1
    .uses_dynamic_stack: false
    .vgpr_count:     0
    .vgpr_spill_count: 0
    .wavefront_size: 64
  - .agpr_count:     0
    .args:
      - .offset:         0
        .size:           120
        .value_kind:     by_value
    .group_segment_fixed_size: 7184
    .kernarg_segment_align: 8
    .kernarg_segment_size: 120
    .language:       OpenCL C
    .language_version:
      - 2
      - 0
    .max_flat_workgroup_size: 128
    .name:           _ZN7rocprim17ROCPRIM_400000_NS6detail17trampoline_kernelINS0_14default_configENS1_25partition_config_selectorILNS1_17partition_subalgoE5ElNS0_10empty_typeEbEEZZNS1_14partition_implILS5_5ELb0ES3_mN6hipcub16HIPCUB_304000_NS21CountingInputIteratorIllEEPS6_NSA_22TransformInputIteratorIb7NonZeroIiEPilEENS0_5tupleIJPlS6_EEENSJ_IJSD_SD_EEES6_SK_JS6_EEE10hipError_tPvRmT3_T4_T5_T6_T7_T9_mT8_P12ihipStream_tbDpT10_ENKUlT_T0_E_clISt17integral_constantIbLb0EES16_EEDaS11_S12_EUlS11_E_NS1_11comp_targetILNS1_3genE0ELNS1_11target_archE4294967295ELNS1_3gpuE0ELNS1_3repE0EEENS1_30default_config_static_selectorELNS0_4arch9wavefront6targetE1EEEvT1_
    .private_segment_fixed_size: 0
    .sgpr_count:     34
    .sgpr_spill_count: 0
    .symbol:         _ZN7rocprim17ROCPRIM_400000_NS6detail17trampoline_kernelINS0_14default_configENS1_25partition_config_selectorILNS1_17partition_subalgoE5ElNS0_10empty_typeEbEEZZNS1_14partition_implILS5_5ELb0ES3_mN6hipcub16HIPCUB_304000_NS21CountingInputIteratorIllEEPS6_NSA_22TransformInputIteratorIb7NonZeroIiEPilEENS0_5tupleIJPlS6_EEENSJ_IJSD_SD_EEES6_SK_JS6_EEE10hipError_tPvRmT3_T4_T5_T6_T7_T9_mT8_P12ihipStream_tbDpT10_ENKUlT_T0_E_clISt17integral_constantIbLb0EES16_EEDaS11_S12_EUlS11_E_NS1_11comp_targetILNS1_3genE0ELNS1_11target_archE4294967295ELNS1_3gpuE0ELNS1_3repE0EEENS1_30default_config_static_selectorELNS0_4arch9wavefront6targetE1EEEvT1_.kd
    .uniform_work_group_size: 1
    .uses_dynamic_stack: false
    .vgpr_count:     70
    .vgpr_spill_count: 0
    .wavefront_size: 64
  - .agpr_count:     0
    .args:
      - .offset:         0
        .size:           120
        .value_kind:     by_value
    .group_segment_fixed_size: 0
    .kernarg_segment_align: 8
    .kernarg_segment_size: 120
    .language:       OpenCL C
    .language_version:
      - 2
      - 0
    .max_flat_workgroup_size: 512
    .name:           _ZN7rocprim17ROCPRIM_400000_NS6detail17trampoline_kernelINS0_14default_configENS1_25partition_config_selectorILNS1_17partition_subalgoE5ElNS0_10empty_typeEbEEZZNS1_14partition_implILS5_5ELb0ES3_mN6hipcub16HIPCUB_304000_NS21CountingInputIteratorIllEEPS6_NSA_22TransformInputIteratorIb7NonZeroIiEPilEENS0_5tupleIJPlS6_EEENSJ_IJSD_SD_EEES6_SK_JS6_EEE10hipError_tPvRmT3_T4_T5_T6_T7_T9_mT8_P12ihipStream_tbDpT10_ENKUlT_T0_E_clISt17integral_constantIbLb0EES16_EEDaS11_S12_EUlS11_E_NS1_11comp_targetILNS1_3genE5ELNS1_11target_archE942ELNS1_3gpuE9ELNS1_3repE0EEENS1_30default_config_static_selectorELNS0_4arch9wavefront6targetE1EEEvT1_
    .private_segment_fixed_size: 0
    .sgpr_count:     6
    .sgpr_spill_count: 0
    .symbol:         _ZN7rocprim17ROCPRIM_400000_NS6detail17trampoline_kernelINS0_14default_configENS1_25partition_config_selectorILNS1_17partition_subalgoE5ElNS0_10empty_typeEbEEZZNS1_14partition_implILS5_5ELb0ES3_mN6hipcub16HIPCUB_304000_NS21CountingInputIteratorIllEEPS6_NSA_22TransformInputIteratorIb7NonZeroIiEPilEENS0_5tupleIJPlS6_EEENSJ_IJSD_SD_EEES6_SK_JS6_EEE10hipError_tPvRmT3_T4_T5_T6_T7_T9_mT8_P12ihipStream_tbDpT10_ENKUlT_T0_E_clISt17integral_constantIbLb0EES16_EEDaS11_S12_EUlS11_E_NS1_11comp_targetILNS1_3genE5ELNS1_11target_archE942ELNS1_3gpuE9ELNS1_3repE0EEENS1_30default_config_static_selectorELNS0_4arch9wavefront6targetE1EEEvT1_.kd
    .uniform_work_group_size: 1
    .uses_dynamic_stack: false
    .vgpr_count:     0
    .vgpr_spill_count: 0
    .wavefront_size: 64
  - .agpr_count:     0
    .args:
      - .offset:         0
        .size:           120
        .value_kind:     by_value
    .group_segment_fixed_size: 0
    .kernarg_segment_align: 8
    .kernarg_segment_size: 120
    .language:       OpenCL C
    .language_version:
      - 2
      - 0
    .max_flat_workgroup_size: 192
    .name:           _ZN7rocprim17ROCPRIM_400000_NS6detail17trampoline_kernelINS0_14default_configENS1_25partition_config_selectorILNS1_17partition_subalgoE5ElNS0_10empty_typeEbEEZZNS1_14partition_implILS5_5ELb0ES3_mN6hipcub16HIPCUB_304000_NS21CountingInputIteratorIllEEPS6_NSA_22TransformInputIteratorIb7NonZeroIiEPilEENS0_5tupleIJPlS6_EEENSJ_IJSD_SD_EEES6_SK_JS6_EEE10hipError_tPvRmT3_T4_T5_T6_T7_T9_mT8_P12ihipStream_tbDpT10_ENKUlT_T0_E_clISt17integral_constantIbLb0EES16_EEDaS11_S12_EUlS11_E_NS1_11comp_targetILNS1_3genE4ELNS1_11target_archE910ELNS1_3gpuE8ELNS1_3repE0EEENS1_30default_config_static_selectorELNS0_4arch9wavefront6targetE1EEEvT1_
    .private_segment_fixed_size: 0
    .sgpr_count:     6
    .sgpr_spill_count: 0
    .symbol:         _ZN7rocprim17ROCPRIM_400000_NS6detail17trampoline_kernelINS0_14default_configENS1_25partition_config_selectorILNS1_17partition_subalgoE5ElNS0_10empty_typeEbEEZZNS1_14partition_implILS5_5ELb0ES3_mN6hipcub16HIPCUB_304000_NS21CountingInputIteratorIllEEPS6_NSA_22TransformInputIteratorIb7NonZeroIiEPilEENS0_5tupleIJPlS6_EEENSJ_IJSD_SD_EEES6_SK_JS6_EEE10hipError_tPvRmT3_T4_T5_T6_T7_T9_mT8_P12ihipStream_tbDpT10_ENKUlT_T0_E_clISt17integral_constantIbLb0EES16_EEDaS11_S12_EUlS11_E_NS1_11comp_targetILNS1_3genE4ELNS1_11target_archE910ELNS1_3gpuE8ELNS1_3repE0EEENS1_30default_config_static_selectorELNS0_4arch9wavefront6targetE1EEEvT1_.kd
    .uniform_work_group_size: 1
    .uses_dynamic_stack: false
    .vgpr_count:     0
    .vgpr_spill_count: 0
    .wavefront_size: 64
  - .agpr_count:     0
    .args:
      - .offset:         0
        .size:           120
        .value_kind:     by_value
    .group_segment_fixed_size: 0
    .kernarg_segment_align: 8
    .kernarg_segment_size: 120
    .language:       OpenCL C
    .language_version:
      - 2
      - 0
    .max_flat_workgroup_size: 128
    .name:           _ZN7rocprim17ROCPRIM_400000_NS6detail17trampoline_kernelINS0_14default_configENS1_25partition_config_selectorILNS1_17partition_subalgoE5ElNS0_10empty_typeEbEEZZNS1_14partition_implILS5_5ELb0ES3_mN6hipcub16HIPCUB_304000_NS21CountingInputIteratorIllEEPS6_NSA_22TransformInputIteratorIb7NonZeroIiEPilEENS0_5tupleIJPlS6_EEENSJ_IJSD_SD_EEES6_SK_JS6_EEE10hipError_tPvRmT3_T4_T5_T6_T7_T9_mT8_P12ihipStream_tbDpT10_ENKUlT_T0_E_clISt17integral_constantIbLb0EES16_EEDaS11_S12_EUlS11_E_NS1_11comp_targetILNS1_3genE3ELNS1_11target_archE908ELNS1_3gpuE7ELNS1_3repE0EEENS1_30default_config_static_selectorELNS0_4arch9wavefront6targetE1EEEvT1_
    .private_segment_fixed_size: 0
    .sgpr_count:     6
    .sgpr_spill_count: 0
    .symbol:         _ZN7rocprim17ROCPRIM_400000_NS6detail17trampoline_kernelINS0_14default_configENS1_25partition_config_selectorILNS1_17partition_subalgoE5ElNS0_10empty_typeEbEEZZNS1_14partition_implILS5_5ELb0ES3_mN6hipcub16HIPCUB_304000_NS21CountingInputIteratorIllEEPS6_NSA_22TransformInputIteratorIb7NonZeroIiEPilEENS0_5tupleIJPlS6_EEENSJ_IJSD_SD_EEES6_SK_JS6_EEE10hipError_tPvRmT3_T4_T5_T6_T7_T9_mT8_P12ihipStream_tbDpT10_ENKUlT_T0_E_clISt17integral_constantIbLb0EES16_EEDaS11_S12_EUlS11_E_NS1_11comp_targetILNS1_3genE3ELNS1_11target_archE908ELNS1_3gpuE7ELNS1_3repE0EEENS1_30default_config_static_selectorELNS0_4arch9wavefront6targetE1EEEvT1_.kd
    .uniform_work_group_size: 1
    .uses_dynamic_stack: false
    .vgpr_count:     0
    .vgpr_spill_count: 0
    .wavefront_size: 64
  - .agpr_count:     0
    .args:
      - .offset:         0
        .size:           120
        .value_kind:     by_value
    .group_segment_fixed_size: 0
    .kernarg_segment_align: 8
    .kernarg_segment_size: 120
    .language:       OpenCL C
    .language_version:
      - 2
      - 0
    .max_flat_workgroup_size: 256
    .name:           _ZN7rocprim17ROCPRIM_400000_NS6detail17trampoline_kernelINS0_14default_configENS1_25partition_config_selectorILNS1_17partition_subalgoE5ElNS0_10empty_typeEbEEZZNS1_14partition_implILS5_5ELb0ES3_mN6hipcub16HIPCUB_304000_NS21CountingInputIteratorIllEEPS6_NSA_22TransformInputIteratorIb7NonZeroIiEPilEENS0_5tupleIJPlS6_EEENSJ_IJSD_SD_EEES6_SK_JS6_EEE10hipError_tPvRmT3_T4_T5_T6_T7_T9_mT8_P12ihipStream_tbDpT10_ENKUlT_T0_E_clISt17integral_constantIbLb0EES16_EEDaS11_S12_EUlS11_E_NS1_11comp_targetILNS1_3genE2ELNS1_11target_archE906ELNS1_3gpuE6ELNS1_3repE0EEENS1_30default_config_static_selectorELNS0_4arch9wavefront6targetE1EEEvT1_
    .private_segment_fixed_size: 0
    .sgpr_count:     6
    .sgpr_spill_count: 0
    .symbol:         _ZN7rocprim17ROCPRIM_400000_NS6detail17trampoline_kernelINS0_14default_configENS1_25partition_config_selectorILNS1_17partition_subalgoE5ElNS0_10empty_typeEbEEZZNS1_14partition_implILS5_5ELb0ES3_mN6hipcub16HIPCUB_304000_NS21CountingInputIteratorIllEEPS6_NSA_22TransformInputIteratorIb7NonZeroIiEPilEENS0_5tupleIJPlS6_EEENSJ_IJSD_SD_EEES6_SK_JS6_EEE10hipError_tPvRmT3_T4_T5_T6_T7_T9_mT8_P12ihipStream_tbDpT10_ENKUlT_T0_E_clISt17integral_constantIbLb0EES16_EEDaS11_S12_EUlS11_E_NS1_11comp_targetILNS1_3genE2ELNS1_11target_archE906ELNS1_3gpuE6ELNS1_3repE0EEENS1_30default_config_static_selectorELNS0_4arch9wavefront6targetE1EEEvT1_.kd
    .uniform_work_group_size: 1
    .uses_dynamic_stack: false
    .vgpr_count:     0
    .vgpr_spill_count: 0
    .wavefront_size: 64
  - .agpr_count:     0
    .args:
      - .offset:         0
        .size:           120
        .value_kind:     by_value
    .group_segment_fixed_size: 0
    .kernarg_segment_align: 8
    .kernarg_segment_size: 120
    .language:       OpenCL C
    .language_version:
      - 2
      - 0
    .max_flat_workgroup_size: 256
    .name:           _ZN7rocprim17ROCPRIM_400000_NS6detail17trampoline_kernelINS0_14default_configENS1_25partition_config_selectorILNS1_17partition_subalgoE5ElNS0_10empty_typeEbEEZZNS1_14partition_implILS5_5ELb0ES3_mN6hipcub16HIPCUB_304000_NS21CountingInputIteratorIllEEPS6_NSA_22TransformInputIteratorIb7NonZeroIiEPilEENS0_5tupleIJPlS6_EEENSJ_IJSD_SD_EEES6_SK_JS6_EEE10hipError_tPvRmT3_T4_T5_T6_T7_T9_mT8_P12ihipStream_tbDpT10_ENKUlT_T0_E_clISt17integral_constantIbLb0EES16_EEDaS11_S12_EUlS11_E_NS1_11comp_targetILNS1_3genE10ELNS1_11target_archE1200ELNS1_3gpuE4ELNS1_3repE0EEENS1_30default_config_static_selectorELNS0_4arch9wavefront6targetE1EEEvT1_
    .private_segment_fixed_size: 0
    .sgpr_count:     6
    .sgpr_spill_count: 0
    .symbol:         _ZN7rocprim17ROCPRIM_400000_NS6detail17trampoline_kernelINS0_14default_configENS1_25partition_config_selectorILNS1_17partition_subalgoE5ElNS0_10empty_typeEbEEZZNS1_14partition_implILS5_5ELb0ES3_mN6hipcub16HIPCUB_304000_NS21CountingInputIteratorIllEEPS6_NSA_22TransformInputIteratorIb7NonZeroIiEPilEENS0_5tupleIJPlS6_EEENSJ_IJSD_SD_EEES6_SK_JS6_EEE10hipError_tPvRmT3_T4_T5_T6_T7_T9_mT8_P12ihipStream_tbDpT10_ENKUlT_T0_E_clISt17integral_constantIbLb0EES16_EEDaS11_S12_EUlS11_E_NS1_11comp_targetILNS1_3genE10ELNS1_11target_archE1200ELNS1_3gpuE4ELNS1_3repE0EEENS1_30default_config_static_selectorELNS0_4arch9wavefront6targetE1EEEvT1_.kd
    .uniform_work_group_size: 1
    .uses_dynamic_stack: false
    .vgpr_count:     0
    .vgpr_spill_count: 0
    .wavefront_size: 64
  - .agpr_count:     0
    .args:
      - .offset:         0
        .size:           120
        .value_kind:     by_value
    .group_segment_fixed_size: 0
    .kernarg_segment_align: 8
    .kernarg_segment_size: 120
    .language:       OpenCL C
    .language_version:
      - 2
      - 0
    .max_flat_workgroup_size: 128
    .name:           _ZN7rocprim17ROCPRIM_400000_NS6detail17trampoline_kernelINS0_14default_configENS1_25partition_config_selectorILNS1_17partition_subalgoE5ElNS0_10empty_typeEbEEZZNS1_14partition_implILS5_5ELb0ES3_mN6hipcub16HIPCUB_304000_NS21CountingInputIteratorIllEEPS6_NSA_22TransformInputIteratorIb7NonZeroIiEPilEENS0_5tupleIJPlS6_EEENSJ_IJSD_SD_EEES6_SK_JS6_EEE10hipError_tPvRmT3_T4_T5_T6_T7_T9_mT8_P12ihipStream_tbDpT10_ENKUlT_T0_E_clISt17integral_constantIbLb0EES16_EEDaS11_S12_EUlS11_E_NS1_11comp_targetILNS1_3genE9ELNS1_11target_archE1100ELNS1_3gpuE3ELNS1_3repE0EEENS1_30default_config_static_selectorELNS0_4arch9wavefront6targetE1EEEvT1_
    .private_segment_fixed_size: 0
    .sgpr_count:     6
    .sgpr_spill_count: 0
    .symbol:         _ZN7rocprim17ROCPRIM_400000_NS6detail17trampoline_kernelINS0_14default_configENS1_25partition_config_selectorILNS1_17partition_subalgoE5ElNS0_10empty_typeEbEEZZNS1_14partition_implILS5_5ELb0ES3_mN6hipcub16HIPCUB_304000_NS21CountingInputIteratorIllEEPS6_NSA_22TransformInputIteratorIb7NonZeroIiEPilEENS0_5tupleIJPlS6_EEENSJ_IJSD_SD_EEES6_SK_JS6_EEE10hipError_tPvRmT3_T4_T5_T6_T7_T9_mT8_P12ihipStream_tbDpT10_ENKUlT_T0_E_clISt17integral_constantIbLb0EES16_EEDaS11_S12_EUlS11_E_NS1_11comp_targetILNS1_3genE9ELNS1_11target_archE1100ELNS1_3gpuE3ELNS1_3repE0EEENS1_30default_config_static_selectorELNS0_4arch9wavefront6targetE1EEEvT1_.kd
    .uniform_work_group_size: 1
    .uses_dynamic_stack: false
    .vgpr_count:     0
    .vgpr_spill_count: 0
    .wavefront_size: 64
  - .agpr_count:     0
    .args:
      - .offset:         0
        .size:           120
        .value_kind:     by_value
    .group_segment_fixed_size: 0
    .kernarg_segment_align: 8
    .kernarg_segment_size: 120
    .language:       OpenCL C
    .language_version:
      - 2
      - 0
    .max_flat_workgroup_size: 512
    .name:           _ZN7rocprim17ROCPRIM_400000_NS6detail17trampoline_kernelINS0_14default_configENS1_25partition_config_selectorILNS1_17partition_subalgoE5ElNS0_10empty_typeEbEEZZNS1_14partition_implILS5_5ELb0ES3_mN6hipcub16HIPCUB_304000_NS21CountingInputIteratorIllEEPS6_NSA_22TransformInputIteratorIb7NonZeroIiEPilEENS0_5tupleIJPlS6_EEENSJ_IJSD_SD_EEES6_SK_JS6_EEE10hipError_tPvRmT3_T4_T5_T6_T7_T9_mT8_P12ihipStream_tbDpT10_ENKUlT_T0_E_clISt17integral_constantIbLb0EES16_EEDaS11_S12_EUlS11_E_NS1_11comp_targetILNS1_3genE8ELNS1_11target_archE1030ELNS1_3gpuE2ELNS1_3repE0EEENS1_30default_config_static_selectorELNS0_4arch9wavefront6targetE1EEEvT1_
    .private_segment_fixed_size: 0
    .sgpr_count:     6
    .sgpr_spill_count: 0
    .symbol:         _ZN7rocprim17ROCPRIM_400000_NS6detail17trampoline_kernelINS0_14default_configENS1_25partition_config_selectorILNS1_17partition_subalgoE5ElNS0_10empty_typeEbEEZZNS1_14partition_implILS5_5ELb0ES3_mN6hipcub16HIPCUB_304000_NS21CountingInputIteratorIllEEPS6_NSA_22TransformInputIteratorIb7NonZeroIiEPilEENS0_5tupleIJPlS6_EEENSJ_IJSD_SD_EEES6_SK_JS6_EEE10hipError_tPvRmT3_T4_T5_T6_T7_T9_mT8_P12ihipStream_tbDpT10_ENKUlT_T0_E_clISt17integral_constantIbLb0EES16_EEDaS11_S12_EUlS11_E_NS1_11comp_targetILNS1_3genE8ELNS1_11target_archE1030ELNS1_3gpuE2ELNS1_3repE0EEENS1_30default_config_static_selectorELNS0_4arch9wavefront6targetE1EEEvT1_.kd
    .uniform_work_group_size: 1
    .uses_dynamic_stack: false
    .vgpr_count:     0
    .vgpr_spill_count: 0
    .wavefront_size: 64
  - .agpr_count:     0
    .args:
      - .offset:         0
        .size:           136
        .value_kind:     by_value
    .group_segment_fixed_size: 0
    .kernarg_segment_align: 8
    .kernarg_segment_size: 136
    .language:       OpenCL C
    .language_version:
      - 2
      - 0
    .max_flat_workgroup_size: 128
    .name:           _ZN7rocprim17ROCPRIM_400000_NS6detail17trampoline_kernelINS0_14default_configENS1_25partition_config_selectorILNS1_17partition_subalgoE5ElNS0_10empty_typeEbEEZZNS1_14partition_implILS5_5ELb0ES3_mN6hipcub16HIPCUB_304000_NS21CountingInputIteratorIllEEPS6_NSA_22TransformInputIteratorIb7NonZeroIiEPilEENS0_5tupleIJPlS6_EEENSJ_IJSD_SD_EEES6_SK_JS6_EEE10hipError_tPvRmT3_T4_T5_T6_T7_T9_mT8_P12ihipStream_tbDpT10_ENKUlT_T0_E_clISt17integral_constantIbLb1EES16_EEDaS11_S12_EUlS11_E_NS1_11comp_targetILNS1_3genE0ELNS1_11target_archE4294967295ELNS1_3gpuE0ELNS1_3repE0EEENS1_30default_config_static_selectorELNS0_4arch9wavefront6targetE1EEEvT1_
    .private_segment_fixed_size: 0
    .sgpr_count:     6
    .sgpr_spill_count: 0
    .symbol:         _ZN7rocprim17ROCPRIM_400000_NS6detail17trampoline_kernelINS0_14default_configENS1_25partition_config_selectorILNS1_17partition_subalgoE5ElNS0_10empty_typeEbEEZZNS1_14partition_implILS5_5ELb0ES3_mN6hipcub16HIPCUB_304000_NS21CountingInputIteratorIllEEPS6_NSA_22TransformInputIteratorIb7NonZeroIiEPilEENS0_5tupleIJPlS6_EEENSJ_IJSD_SD_EEES6_SK_JS6_EEE10hipError_tPvRmT3_T4_T5_T6_T7_T9_mT8_P12ihipStream_tbDpT10_ENKUlT_T0_E_clISt17integral_constantIbLb1EES16_EEDaS11_S12_EUlS11_E_NS1_11comp_targetILNS1_3genE0ELNS1_11target_archE4294967295ELNS1_3gpuE0ELNS1_3repE0EEENS1_30default_config_static_selectorELNS0_4arch9wavefront6targetE1EEEvT1_.kd
    .uniform_work_group_size: 1
    .uses_dynamic_stack: false
    .vgpr_count:     0
    .vgpr_spill_count: 0
    .wavefront_size: 64
  - .agpr_count:     0
    .args:
      - .offset:         0
        .size:           136
        .value_kind:     by_value
    .group_segment_fixed_size: 0
    .kernarg_segment_align: 8
    .kernarg_segment_size: 136
    .language:       OpenCL C
    .language_version:
      - 2
      - 0
    .max_flat_workgroup_size: 512
    .name:           _ZN7rocprim17ROCPRIM_400000_NS6detail17trampoline_kernelINS0_14default_configENS1_25partition_config_selectorILNS1_17partition_subalgoE5ElNS0_10empty_typeEbEEZZNS1_14partition_implILS5_5ELb0ES3_mN6hipcub16HIPCUB_304000_NS21CountingInputIteratorIllEEPS6_NSA_22TransformInputIteratorIb7NonZeroIiEPilEENS0_5tupleIJPlS6_EEENSJ_IJSD_SD_EEES6_SK_JS6_EEE10hipError_tPvRmT3_T4_T5_T6_T7_T9_mT8_P12ihipStream_tbDpT10_ENKUlT_T0_E_clISt17integral_constantIbLb1EES16_EEDaS11_S12_EUlS11_E_NS1_11comp_targetILNS1_3genE5ELNS1_11target_archE942ELNS1_3gpuE9ELNS1_3repE0EEENS1_30default_config_static_selectorELNS0_4arch9wavefront6targetE1EEEvT1_
    .private_segment_fixed_size: 0
    .sgpr_count:     6
    .sgpr_spill_count: 0
    .symbol:         _ZN7rocprim17ROCPRIM_400000_NS6detail17trampoline_kernelINS0_14default_configENS1_25partition_config_selectorILNS1_17partition_subalgoE5ElNS0_10empty_typeEbEEZZNS1_14partition_implILS5_5ELb0ES3_mN6hipcub16HIPCUB_304000_NS21CountingInputIteratorIllEEPS6_NSA_22TransformInputIteratorIb7NonZeroIiEPilEENS0_5tupleIJPlS6_EEENSJ_IJSD_SD_EEES6_SK_JS6_EEE10hipError_tPvRmT3_T4_T5_T6_T7_T9_mT8_P12ihipStream_tbDpT10_ENKUlT_T0_E_clISt17integral_constantIbLb1EES16_EEDaS11_S12_EUlS11_E_NS1_11comp_targetILNS1_3genE5ELNS1_11target_archE942ELNS1_3gpuE9ELNS1_3repE0EEENS1_30default_config_static_selectorELNS0_4arch9wavefront6targetE1EEEvT1_.kd
    .uniform_work_group_size: 1
    .uses_dynamic_stack: false
    .vgpr_count:     0
    .vgpr_spill_count: 0
    .wavefront_size: 64
  - .agpr_count:     0
    .args:
      - .offset:         0
        .size:           136
        .value_kind:     by_value
    .group_segment_fixed_size: 0
    .kernarg_segment_align: 8
    .kernarg_segment_size: 136
    .language:       OpenCL C
    .language_version:
      - 2
      - 0
    .max_flat_workgroup_size: 192
    .name:           _ZN7rocprim17ROCPRIM_400000_NS6detail17trampoline_kernelINS0_14default_configENS1_25partition_config_selectorILNS1_17partition_subalgoE5ElNS0_10empty_typeEbEEZZNS1_14partition_implILS5_5ELb0ES3_mN6hipcub16HIPCUB_304000_NS21CountingInputIteratorIllEEPS6_NSA_22TransformInputIteratorIb7NonZeroIiEPilEENS0_5tupleIJPlS6_EEENSJ_IJSD_SD_EEES6_SK_JS6_EEE10hipError_tPvRmT3_T4_T5_T6_T7_T9_mT8_P12ihipStream_tbDpT10_ENKUlT_T0_E_clISt17integral_constantIbLb1EES16_EEDaS11_S12_EUlS11_E_NS1_11comp_targetILNS1_3genE4ELNS1_11target_archE910ELNS1_3gpuE8ELNS1_3repE0EEENS1_30default_config_static_selectorELNS0_4arch9wavefront6targetE1EEEvT1_
    .private_segment_fixed_size: 0
    .sgpr_count:     6
    .sgpr_spill_count: 0
    .symbol:         _ZN7rocprim17ROCPRIM_400000_NS6detail17trampoline_kernelINS0_14default_configENS1_25partition_config_selectorILNS1_17partition_subalgoE5ElNS0_10empty_typeEbEEZZNS1_14partition_implILS5_5ELb0ES3_mN6hipcub16HIPCUB_304000_NS21CountingInputIteratorIllEEPS6_NSA_22TransformInputIteratorIb7NonZeroIiEPilEENS0_5tupleIJPlS6_EEENSJ_IJSD_SD_EEES6_SK_JS6_EEE10hipError_tPvRmT3_T4_T5_T6_T7_T9_mT8_P12ihipStream_tbDpT10_ENKUlT_T0_E_clISt17integral_constantIbLb1EES16_EEDaS11_S12_EUlS11_E_NS1_11comp_targetILNS1_3genE4ELNS1_11target_archE910ELNS1_3gpuE8ELNS1_3repE0EEENS1_30default_config_static_selectorELNS0_4arch9wavefront6targetE1EEEvT1_.kd
    .uniform_work_group_size: 1
    .uses_dynamic_stack: false
    .vgpr_count:     0
    .vgpr_spill_count: 0
    .wavefront_size: 64
  - .agpr_count:     0
    .args:
      - .offset:         0
        .size:           136
        .value_kind:     by_value
    .group_segment_fixed_size: 0
    .kernarg_segment_align: 8
    .kernarg_segment_size: 136
    .language:       OpenCL C
    .language_version:
      - 2
      - 0
    .max_flat_workgroup_size: 128
    .name:           _ZN7rocprim17ROCPRIM_400000_NS6detail17trampoline_kernelINS0_14default_configENS1_25partition_config_selectorILNS1_17partition_subalgoE5ElNS0_10empty_typeEbEEZZNS1_14partition_implILS5_5ELb0ES3_mN6hipcub16HIPCUB_304000_NS21CountingInputIteratorIllEEPS6_NSA_22TransformInputIteratorIb7NonZeroIiEPilEENS0_5tupleIJPlS6_EEENSJ_IJSD_SD_EEES6_SK_JS6_EEE10hipError_tPvRmT3_T4_T5_T6_T7_T9_mT8_P12ihipStream_tbDpT10_ENKUlT_T0_E_clISt17integral_constantIbLb1EES16_EEDaS11_S12_EUlS11_E_NS1_11comp_targetILNS1_3genE3ELNS1_11target_archE908ELNS1_3gpuE7ELNS1_3repE0EEENS1_30default_config_static_selectorELNS0_4arch9wavefront6targetE1EEEvT1_
    .private_segment_fixed_size: 0
    .sgpr_count:     6
    .sgpr_spill_count: 0
    .symbol:         _ZN7rocprim17ROCPRIM_400000_NS6detail17trampoline_kernelINS0_14default_configENS1_25partition_config_selectorILNS1_17partition_subalgoE5ElNS0_10empty_typeEbEEZZNS1_14partition_implILS5_5ELb0ES3_mN6hipcub16HIPCUB_304000_NS21CountingInputIteratorIllEEPS6_NSA_22TransformInputIteratorIb7NonZeroIiEPilEENS0_5tupleIJPlS6_EEENSJ_IJSD_SD_EEES6_SK_JS6_EEE10hipError_tPvRmT3_T4_T5_T6_T7_T9_mT8_P12ihipStream_tbDpT10_ENKUlT_T0_E_clISt17integral_constantIbLb1EES16_EEDaS11_S12_EUlS11_E_NS1_11comp_targetILNS1_3genE3ELNS1_11target_archE908ELNS1_3gpuE7ELNS1_3repE0EEENS1_30default_config_static_selectorELNS0_4arch9wavefront6targetE1EEEvT1_.kd
    .uniform_work_group_size: 1
    .uses_dynamic_stack: false
    .vgpr_count:     0
    .vgpr_spill_count: 0
    .wavefront_size: 64
  - .agpr_count:     0
    .args:
      - .offset:         0
        .size:           136
        .value_kind:     by_value
    .group_segment_fixed_size: 0
    .kernarg_segment_align: 8
    .kernarg_segment_size: 136
    .language:       OpenCL C
    .language_version:
      - 2
      - 0
    .max_flat_workgroup_size: 256
    .name:           _ZN7rocprim17ROCPRIM_400000_NS6detail17trampoline_kernelINS0_14default_configENS1_25partition_config_selectorILNS1_17partition_subalgoE5ElNS0_10empty_typeEbEEZZNS1_14partition_implILS5_5ELb0ES3_mN6hipcub16HIPCUB_304000_NS21CountingInputIteratorIllEEPS6_NSA_22TransformInputIteratorIb7NonZeroIiEPilEENS0_5tupleIJPlS6_EEENSJ_IJSD_SD_EEES6_SK_JS6_EEE10hipError_tPvRmT3_T4_T5_T6_T7_T9_mT8_P12ihipStream_tbDpT10_ENKUlT_T0_E_clISt17integral_constantIbLb1EES16_EEDaS11_S12_EUlS11_E_NS1_11comp_targetILNS1_3genE2ELNS1_11target_archE906ELNS1_3gpuE6ELNS1_3repE0EEENS1_30default_config_static_selectorELNS0_4arch9wavefront6targetE1EEEvT1_
    .private_segment_fixed_size: 0
    .sgpr_count:     6
    .sgpr_spill_count: 0
    .symbol:         _ZN7rocprim17ROCPRIM_400000_NS6detail17trampoline_kernelINS0_14default_configENS1_25partition_config_selectorILNS1_17partition_subalgoE5ElNS0_10empty_typeEbEEZZNS1_14partition_implILS5_5ELb0ES3_mN6hipcub16HIPCUB_304000_NS21CountingInputIteratorIllEEPS6_NSA_22TransformInputIteratorIb7NonZeroIiEPilEENS0_5tupleIJPlS6_EEENSJ_IJSD_SD_EEES6_SK_JS6_EEE10hipError_tPvRmT3_T4_T5_T6_T7_T9_mT8_P12ihipStream_tbDpT10_ENKUlT_T0_E_clISt17integral_constantIbLb1EES16_EEDaS11_S12_EUlS11_E_NS1_11comp_targetILNS1_3genE2ELNS1_11target_archE906ELNS1_3gpuE6ELNS1_3repE0EEENS1_30default_config_static_selectorELNS0_4arch9wavefront6targetE1EEEvT1_.kd
    .uniform_work_group_size: 1
    .uses_dynamic_stack: false
    .vgpr_count:     0
    .vgpr_spill_count: 0
    .wavefront_size: 64
  - .agpr_count:     0
    .args:
      - .offset:         0
        .size:           136
        .value_kind:     by_value
    .group_segment_fixed_size: 0
    .kernarg_segment_align: 8
    .kernarg_segment_size: 136
    .language:       OpenCL C
    .language_version:
      - 2
      - 0
    .max_flat_workgroup_size: 256
    .name:           _ZN7rocprim17ROCPRIM_400000_NS6detail17trampoline_kernelINS0_14default_configENS1_25partition_config_selectorILNS1_17partition_subalgoE5ElNS0_10empty_typeEbEEZZNS1_14partition_implILS5_5ELb0ES3_mN6hipcub16HIPCUB_304000_NS21CountingInputIteratorIllEEPS6_NSA_22TransformInputIteratorIb7NonZeroIiEPilEENS0_5tupleIJPlS6_EEENSJ_IJSD_SD_EEES6_SK_JS6_EEE10hipError_tPvRmT3_T4_T5_T6_T7_T9_mT8_P12ihipStream_tbDpT10_ENKUlT_T0_E_clISt17integral_constantIbLb1EES16_EEDaS11_S12_EUlS11_E_NS1_11comp_targetILNS1_3genE10ELNS1_11target_archE1200ELNS1_3gpuE4ELNS1_3repE0EEENS1_30default_config_static_selectorELNS0_4arch9wavefront6targetE1EEEvT1_
    .private_segment_fixed_size: 0
    .sgpr_count:     6
    .sgpr_spill_count: 0
    .symbol:         _ZN7rocprim17ROCPRIM_400000_NS6detail17trampoline_kernelINS0_14default_configENS1_25partition_config_selectorILNS1_17partition_subalgoE5ElNS0_10empty_typeEbEEZZNS1_14partition_implILS5_5ELb0ES3_mN6hipcub16HIPCUB_304000_NS21CountingInputIteratorIllEEPS6_NSA_22TransformInputIteratorIb7NonZeroIiEPilEENS0_5tupleIJPlS6_EEENSJ_IJSD_SD_EEES6_SK_JS6_EEE10hipError_tPvRmT3_T4_T5_T6_T7_T9_mT8_P12ihipStream_tbDpT10_ENKUlT_T0_E_clISt17integral_constantIbLb1EES16_EEDaS11_S12_EUlS11_E_NS1_11comp_targetILNS1_3genE10ELNS1_11target_archE1200ELNS1_3gpuE4ELNS1_3repE0EEENS1_30default_config_static_selectorELNS0_4arch9wavefront6targetE1EEEvT1_.kd
    .uniform_work_group_size: 1
    .uses_dynamic_stack: false
    .vgpr_count:     0
    .vgpr_spill_count: 0
    .wavefront_size: 64
  - .agpr_count:     0
    .args:
      - .offset:         0
        .size:           136
        .value_kind:     by_value
    .group_segment_fixed_size: 0
    .kernarg_segment_align: 8
    .kernarg_segment_size: 136
    .language:       OpenCL C
    .language_version:
      - 2
      - 0
    .max_flat_workgroup_size: 128
    .name:           _ZN7rocprim17ROCPRIM_400000_NS6detail17trampoline_kernelINS0_14default_configENS1_25partition_config_selectorILNS1_17partition_subalgoE5ElNS0_10empty_typeEbEEZZNS1_14partition_implILS5_5ELb0ES3_mN6hipcub16HIPCUB_304000_NS21CountingInputIteratorIllEEPS6_NSA_22TransformInputIteratorIb7NonZeroIiEPilEENS0_5tupleIJPlS6_EEENSJ_IJSD_SD_EEES6_SK_JS6_EEE10hipError_tPvRmT3_T4_T5_T6_T7_T9_mT8_P12ihipStream_tbDpT10_ENKUlT_T0_E_clISt17integral_constantIbLb1EES16_EEDaS11_S12_EUlS11_E_NS1_11comp_targetILNS1_3genE9ELNS1_11target_archE1100ELNS1_3gpuE3ELNS1_3repE0EEENS1_30default_config_static_selectorELNS0_4arch9wavefront6targetE1EEEvT1_
    .private_segment_fixed_size: 0
    .sgpr_count:     6
    .sgpr_spill_count: 0
    .symbol:         _ZN7rocprim17ROCPRIM_400000_NS6detail17trampoline_kernelINS0_14default_configENS1_25partition_config_selectorILNS1_17partition_subalgoE5ElNS0_10empty_typeEbEEZZNS1_14partition_implILS5_5ELb0ES3_mN6hipcub16HIPCUB_304000_NS21CountingInputIteratorIllEEPS6_NSA_22TransformInputIteratorIb7NonZeroIiEPilEENS0_5tupleIJPlS6_EEENSJ_IJSD_SD_EEES6_SK_JS6_EEE10hipError_tPvRmT3_T4_T5_T6_T7_T9_mT8_P12ihipStream_tbDpT10_ENKUlT_T0_E_clISt17integral_constantIbLb1EES16_EEDaS11_S12_EUlS11_E_NS1_11comp_targetILNS1_3genE9ELNS1_11target_archE1100ELNS1_3gpuE3ELNS1_3repE0EEENS1_30default_config_static_selectorELNS0_4arch9wavefront6targetE1EEEvT1_.kd
    .uniform_work_group_size: 1
    .uses_dynamic_stack: false
    .vgpr_count:     0
    .vgpr_spill_count: 0
    .wavefront_size: 64
  - .agpr_count:     0
    .args:
      - .offset:         0
        .size:           136
        .value_kind:     by_value
    .group_segment_fixed_size: 0
    .kernarg_segment_align: 8
    .kernarg_segment_size: 136
    .language:       OpenCL C
    .language_version:
      - 2
      - 0
    .max_flat_workgroup_size: 512
    .name:           _ZN7rocprim17ROCPRIM_400000_NS6detail17trampoline_kernelINS0_14default_configENS1_25partition_config_selectorILNS1_17partition_subalgoE5ElNS0_10empty_typeEbEEZZNS1_14partition_implILS5_5ELb0ES3_mN6hipcub16HIPCUB_304000_NS21CountingInputIteratorIllEEPS6_NSA_22TransformInputIteratorIb7NonZeroIiEPilEENS0_5tupleIJPlS6_EEENSJ_IJSD_SD_EEES6_SK_JS6_EEE10hipError_tPvRmT3_T4_T5_T6_T7_T9_mT8_P12ihipStream_tbDpT10_ENKUlT_T0_E_clISt17integral_constantIbLb1EES16_EEDaS11_S12_EUlS11_E_NS1_11comp_targetILNS1_3genE8ELNS1_11target_archE1030ELNS1_3gpuE2ELNS1_3repE0EEENS1_30default_config_static_selectorELNS0_4arch9wavefront6targetE1EEEvT1_
    .private_segment_fixed_size: 0
    .sgpr_count:     6
    .sgpr_spill_count: 0
    .symbol:         _ZN7rocprim17ROCPRIM_400000_NS6detail17trampoline_kernelINS0_14default_configENS1_25partition_config_selectorILNS1_17partition_subalgoE5ElNS0_10empty_typeEbEEZZNS1_14partition_implILS5_5ELb0ES3_mN6hipcub16HIPCUB_304000_NS21CountingInputIteratorIllEEPS6_NSA_22TransformInputIteratorIb7NonZeroIiEPilEENS0_5tupleIJPlS6_EEENSJ_IJSD_SD_EEES6_SK_JS6_EEE10hipError_tPvRmT3_T4_T5_T6_T7_T9_mT8_P12ihipStream_tbDpT10_ENKUlT_T0_E_clISt17integral_constantIbLb1EES16_EEDaS11_S12_EUlS11_E_NS1_11comp_targetILNS1_3genE8ELNS1_11target_archE1030ELNS1_3gpuE2ELNS1_3repE0EEENS1_30default_config_static_selectorELNS0_4arch9wavefront6targetE1EEEvT1_.kd
    .uniform_work_group_size: 1
    .uses_dynamic_stack: false
    .vgpr_count:     0
    .vgpr_spill_count: 0
    .wavefront_size: 64
  - .agpr_count:     0
    .args:
      - .offset:         0
        .size:           120
        .value_kind:     by_value
    .group_segment_fixed_size: 0
    .kernarg_segment_align: 8
    .kernarg_segment_size: 120
    .language:       OpenCL C
    .language_version:
      - 2
      - 0
    .max_flat_workgroup_size: 128
    .name:           _ZN7rocprim17ROCPRIM_400000_NS6detail17trampoline_kernelINS0_14default_configENS1_25partition_config_selectorILNS1_17partition_subalgoE5ElNS0_10empty_typeEbEEZZNS1_14partition_implILS5_5ELb0ES3_mN6hipcub16HIPCUB_304000_NS21CountingInputIteratorIllEEPS6_NSA_22TransformInputIteratorIb7NonZeroIiEPilEENS0_5tupleIJPlS6_EEENSJ_IJSD_SD_EEES6_SK_JS6_EEE10hipError_tPvRmT3_T4_T5_T6_T7_T9_mT8_P12ihipStream_tbDpT10_ENKUlT_T0_E_clISt17integral_constantIbLb1EES15_IbLb0EEEEDaS11_S12_EUlS11_E_NS1_11comp_targetILNS1_3genE0ELNS1_11target_archE4294967295ELNS1_3gpuE0ELNS1_3repE0EEENS1_30default_config_static_selectorELNS0_4arch9wavefront6targetE1EEEvT1_
    .private_segment_fixed_size: 0
    .sgpr_count:     6
    .sgpr_spill_count: 0
    .symbol:         _ZN7rocprim17ROCPRIM_400000_NS6detail17trampoline_kernelINS0_14default_configENS1_25partition_config_selectorILNS1_17partition_subalgoE5ElNS0_10empty_typeEbEEZZNS1_14partition_implILS5_5ELb0ES3_mN6hipcub16HIPCUB_304000_NS21CountingInputIteratorIllEEPS6_NSA_22TransformInputIteratorIb7NonZeroIiEPilEENS0_5tupleIJPlS6_EEENSJ_IJSD_SD_EEES6_SK_JS6_EEE10hipError_tPvRmT3_T4_T5_T6_T7_T9_mT8_P12ihipStream_tbDpT10_ENKUlT_T0_E_clISt17integral_constantIbLb1EES15_IbLb0EEEEDaS11_S12_EUlS11_E_NS1_11comp_targetILNS1_3genE0ELNS1_11target_archE4294967295ELNS1_3gpuE0ELNS1_3repE0EEENS1_30default_config_static_selectorELNS0_4arch9wavefront6targetE1EEEvT1_.kd
    .uniform_work_group_size: 1
    .uses_dynamic_stack: false
    .vgpr_count:     0
    .vgpr_spill_count: 0
    .wavefront_size: 64
  - .agpr_count:     0
    .args:
      - .offset:         0
        .size:           120
        .value_kind:     by_value
    .group_segment_fixed_size: 0
    .kernarg_segment_align: 8
    .kernarg_segment_size: 120
    .language:       OpenCL C
    .language_version:
      - 2
      - 0
    .max_flat_workgroup_size: 512
    .name:           _ZN7rocprim17ROCPRIM_400000_NS6detail17trampoline_kernelINS0_14default_configENS1_25partition_config_selectorILNS1_17partition_subalgoE5ElNS0_10empty_typeEbEEZZNS1_14partition_implILS5_5ELb0ES3_mN6hipcub16HIPCUB_304000_NS21CountingInputIteratorIllEEPS6_NSA_22TransformInputIteratorIb7NonZeroIiEPilEENS0_5tupleIJPlS6_EEENSJ_IJSD_SD_EEES6_SK_JS6_EEE10hipError_tPvRmT3_T4_T5_T6_T7_T9_mT8_P12ihipStream_tbDpT10_ENKUlT_T0_E_clISt17integral_constantIbLb1EES15_IbLb0EEEEDaS11_S12_EUlS11_E_NS1_11comp_targetILNS1_3genE5ELNS1_11target_archE942ELNS1_3gpuE9ELNS1_3repE0EEENS1_30default_config_static_selectorELNS0_4arch9wavefront6targetE1EEEvT1_
    .private_segment_fixed_size: 0
    .sgpr_count:     6
    .sgpr_spill_count: 0
    .symbol:         _ZN7rocprim17ROCPRIM_400000_NS6detail17trampoline_kernelINS0_14default_configENS1_25partition_config_selectorILNS1_17partition_subalgoE5ElNS0_10empty_typeEbEEZZNS1_14partition_implILS5_5ELb0ES3_mN6hipcub16HIPCUB_304000_NS21CountingInputIteratorIllEEPS6_NSA_22TransformInputIteratorIb7NonZeroIiEPilEENS0_5tupleIJPlS6_EEENSJ_IJSD_SD_EEES6_SK_JS6_EEE10hipError_tPvRmT3_T4_T5_T6_T7_T9_mT8_P12ihipStream_tbDpT10_ENKUlT_T0_E_clISt17integral_constantIbLb1EES15_IbLb0EEEEDaS11_S12_EUlS11_E_NS1_11comp_targetILNS1_3genE5ELNS1_11target_archE942ELNS1_3gpuE9ELNS1_3repE0EEENS1_30default_config_static_selectorELNS0_4arch9wavefront6targetE1EEEvT1_.kd
    .uniform_work_group_size: 1
    .uses_dynamic_stack: false
    .vgpr_count:     0
    .vgpr_spill_count: 0
    .wavefront_size: 64
  - .agpr_count:     0
    .args:
      - .offset:         0
        .size:           120
        .value_kind:     by_value
    .group_segment_fixed_size: 0
    .kernarg_segment_align: 8
    .kernarg_segment_size: 120
    .language:       OpenCL C
    .language_version:
      - 2
      - 0
    .max_flat_workgroup_size: 192
    .name:           _ZN7rocprim17ROCPRIM_400000_NS6detail17trampoline_kernelINS0_14default_configENS1_25partition_config_selectorILNS1_17partition_subalgoE5ElNS0_10empty_typeEbEEZZNS1_14partition_implILS5_5ELb0ES3_mN6hipcub16HIPCUB_304000_NS21CountingInputIteratorIllEEPS6_NSA_22TransformInputIteratorIb7NonZeroIiEPilEENS0_5tupleIJPlS6_EEENSJ_IJSD_SD_EEES6_SK_JS6_EEE10hipError_tPvRmT3_T4_T5_T6_T7_T9_mT8_P12ihipStream_tbDpT10_ENKUlT_T0_E_clISt17integral_constantIbLb1EES15_IbLb0EEEEDaS11_S12_EUlS11_E_NS1_11comp_targetILNS1_3genE4ELNS1_11target_archE910ELNS1_3gpuE8ELNS1_3repE0EEENS1_30default_config_static_selectorELNS0_4arch9wavefront6targetE1EEEvT1_
    .private_segment_fixed_size: 0
    .sgpr_count:     6
    .sgpr_spill_count: 0
    .symbol:         _ZN7rocprim17ROCPRIM_400000_NS6detail17trampoline_kernelINS0_14default_configENS1_25partition_config_selectorILNS1_17partition_subalgoE5ElNS0_10empty_typeEbEEZZNS1_14partition_implILS5_5ELb0ES3_mN6hipcub16HIPCUB_304000_NS21CountingInputIteratorIllEEPS6_NSA_22TransformInputIteratorIb7NonZeroIiEPilEENS0_5tupleIJPlS6_EEENSJ_IJSD_SD_EEES6_SK_JS6_EEE10hipError_tPvRmT3_T4_T5_T6_T7_T9_mT8_P12ihipStream_tbDpT10_ENKUlT_T0_E_clISt17integral_constantIbLb1EES15_IbLb0EEEEDaS11_S12_EUlS11_E_NS1_11comp_targetILNS1_3genE4ELNS1_11target_archE910ELNS1_3gpuE8ELNS1_3repE0EEENS1_30default_config_static_selectorELNS0_4arch9wavefront6targetE1EEEvT1_.kd
    .uniform_work_group_size: 1
    .uses_dynamic_stack: false
    .vgpr_count:     0
    .vgpr_spill_count: 0
    .wavefront_size: 64
  - .agpr_count:     0
    .args:
      - .offset:         0
        .size:           120
        .value_kind:     by_value
    .group_segment_fixed_size: 0
    .kernarg_segment_align: 8
    .kernarg_segment_size: 120
    .language:       OpenCL C
    .language_version:
      - 2
      - 0
    .max_flat_workgroup_size: 128
    .name:           _ZN7rocprim17ROCPRIM_400000_NS6detail17trampoline_kernelINS0_14default_configENS1_25partition_config_selectorILNS1_17partition_subalgoE5ElNS0_10empty_typeEbEEZZNS1_14partition_implILS5_5ELb0ES3_mN6hipcub16HIPCUB_304000_NS21CountingInputIteratorIllEEPS6_NSA_22TransformInputIteratorIb7NonZeroIiEPilEENS0_5tupleIJPlS6_EEENSJ_IJSD_SD_EEES6_SK_JS6_EEE10hipError_tPvRmT3_T4_T5_T6_T7_T9_mT8_P12ihipStream_tbDpT10_ENKUlT_T0_E_clISt17integral_constantIbLb1EES15_IbLb0EEEEDaS11_S12_EUlS11_E_NS1_11comp_targetILNS1_3genE3ELNS1_11target_archE908ELNS1_3gpuE7ELNS1_3repE0EEENS1_30default_config_static_selectorELNS0_4arch9wavefront6targetE1EEEvT1_
    .private_segment_fixed_size: 0
    .sgpr_count:     6
    .sgpr_spill_count: 0
    .symbol:         _ZN7rocprim17ROCPRIM_400000_NS6detail17trampoline_kernelINS0_14default_configENS1_25partition_config_selectorILNS1_17partition_subalgoE5ElNS0_10empty_typeEbEEZZNS1_14partition_implILS5_5ELb0ES3_mN6hipcub16HIPCUB_304000_NS21CountingInputIteratorIllEEPS6_NSA_22TransformInputIteratorIb7NonZeroIiEPilEENS0_5tupleIJPlS6_EEENSJ_IJSD_SD_EEES6_SK_JS6_EEE10hipError_tPvRmT3_T4_T5_T6_T7_T9_mT8_P12ihipStream_tbDpT10_ENKUlT_T0_E_clISt17integral_constantIbLb1EES15_IbLb0EEEEDaS11_S12_EUlS11_E_NS1_11comp_targetILNS1_3genE3ELNS1_11target_archE908ELNS1_3gpuE7ELNS1_3repE0EEENS1_30default_config_static_selectorELNS0_4arch9wavefront6targetE1EEEvT1_.kd
    .uniform_work_group_size: 1
    .uses_dynamic_stack: false
    .vgpr_count:     0
    .vgpr_spill_count: 0
    .wavefront_size: 64
  - .agpr_count:     0
    .args:
      - .offset:         0
        .size:           120
        .value_kind:     by_value
    .group_segment_fixed_size: 0
    .kernarg_segment_align: 8
    .kernarg_segment_size: 120
    .language:       OpenCL C
    .language_version:
      - 2
      - 0
    .max_flat_workgroup_size: 256
    .name:           _ZN7rocprim17ROCPRIM_400000_NS6detail17trampoline_kernelINS0_14default_configENS1_25partition_config_selectorILNS1_17partition_subalgoE5ElNS0_10empty_typeEbEEZZNS1_14partition_implILS5_5ELb0ES3_mN6hipcub16HIPCUB_304000_NS21CountingInputIteratorIllEEPS6_NSA_22TransformInputIteratorIb7NonZeroIiEPilEENS0_5tupleIJPlS6_EEENSJ_IJSD_SD_EEES6_SK_JS6_EEE10hipError_tPvRmT3_T4_T5_T6_T7_T9_mT8_P12ihipStream_tbDpT10_ENKUlT_T0_E_clISt17integral_constantIbLb1EES15_IbLb0EEEEDaS11_S12_EUlS11_E_NS1_11comp_targetILNS1_3genE2ELNS1_11target_archE906ELNS1_3gpuE6ELNS1_3repE0EEENS1_30default_config_static_selectorELNS0_4arch9wavefront6targetE1EEEvT1_
    .private_segment_fixed_size: 0
    .sgpr_count:     6
    .sgpr_spill_count: 0
    .symbol:         _ZN7rocprim17ROCPRIM_400000_NS6detail17trampoline_kernelINS0_14default_configENS1_25partition_config_selectorILNS1_17partition_subalgoE5ElNS0_10empty_typeEbEEZZNS1_14partition_implILS5_5ELb0ES3_mN6hipcub16HIPCUB_304000_NS21CountingInputIteratorIllEEPS6_NSA_22TransformInputIteratorIb7NonZeroIiEPilEENS0_5tupleIJPlS6_EEENSJ_IJSD_SD_EEES6_SK_JS6_EEE10hipError_tPvRmT3_T4_T5_T6_T7_T9_mT8_P12ihipStream_tbDpT10_ENKUlT_T0_E_clISt17integral_constantIbLb1EES15_IbLb0EEEEDaS11_S12_EUlS11_E_NS1_11comp_targetILNS1_3genE2ELNS1_11target_archE906ELNS1_3gpuE6ELNS1_3repE0EEENS1_30default_config_static_selectorELNS0_4arch9wavefront6targetE1EEEvT1_.kd
    .uniform_work_group_size: 1
    .uses_dynamic_stack: false
    .vgpr_count:     0
    .vgpr_spill_count: 0
    .wavefront_size: 64
  - .agpr_count:     0
    .args:
      - .offset:         0
        .size:           120
        .value_kind:     by_value
    .group_segment_fixed_size: 0
    .kernarg_segment_align: 8
    .kernarg_segment_size: 120
    .language:       OpenCL C
    .language_version:
      - 2
      - 0
    .max_flat_workgroup_size: 256
    .name:           _ZN7rocprim17ROCPRIM_400000_NS6detail17trampoline_kernelINS0_14default_configENS1_25partition_config_selectorILNS1_17partition_subalgoE5ElNS0_10empty_typeEbEEZZNS1_14partition_implILS5_5ELb0ES3_mN6hipcub16HIPCUB_304000_NS21CountingInputIteratorIllEEPS6_NSA_22TransformInputIteratorIb7NonZeroIiEPilEENS0_5tupleIJPlS6_EEENSJ_IJSD_SD_EEES6_SK_JS6_EEE10hipError_tPvRmT3_T4_T5_T6_T7_T9_mT8_P12ihipStream_tbDpT10_ENKUlT_T0_E_clISt17integral_constantIbLb1EES15_IbLb0EEEEDaS11_S12_EUlS11_E_NS1_11comp_targetILNS1_3genE10ELNS1_11target_archE1200ELNS1_3gpuE4ELNS1_3repE0EEENS1_30default_config_static_selectorELNS0_4arch9wavefront6targetE1EEEvT1_
    .private_segment_fixed_size: 0
    .sgpr_count:     6
    .sgpr_spill_count: 0
    .symbol:         _ZN7rocprim17ROCPRIM_400000_NS6detail17trampoline_kernelINS0_14default_configENS1_25partition_config_selectorILNS1_17partition_subalgoE5ElNS0_10empty_typeEbEEZZNS1_14partition_implILS5_5ELb0ES3_mN6hipcub16HIPCUB_304000_NS21CountingInputIteratorIllEEPS6_NSA_22TransformInputIteratorIb7NonZeroIiEPilEENS0_5tupleIJPlS6_EEENSJ_IJSD_SD_EEES6_SK_JS6_EEE10hipError_tPvRmT3_T4_T5_T6_T7_T9_mT8_P12ihipStream_tbDpT10_ENKUlT_T0_E_clISt17integral_constantIbLb1EES15_IbLb0EEEEDaS11_S12_EUlS11_E_NS1_11comp_targetILNS1_3genE10ELNS1_11target_archE1200ELNS1_3gpuE4ELNS1_3repE0EEENS1_30default_config_static_selectorELNS0_4arch9wavefront6targetE1EEEvT1_.kd
    .uniform_work_group_size: 1
    .uses_dynamic_stack: false
    .vgpr_count:     0
    .vgpr_spill_count: 0
    .wavefront_size: 64
  - .agpr_count:     0
    .args:
      - .offset:         0
        .size:           120
        .value_kind:     by_value
    .group_segment_fixed_size: 0
    .kernarg_segment_align: 8
    .kernarg_segment_size: 120
    .language:       OpenCL C
    .language_version:
      - 2
      - 0
    .max_flat_workgroup_size: 128
    .name:           _ZN7rocprim17ROCPRIM_400000_NS6detail17trampoline_kernelINS0_14default_configENS1_25partition_config_selectorILNS1_17partition_subalgoE5ElNS0_10empty_typeEbEEZZNS1_14partition_implILS5_5ELb0ES3_mN6hipcub16HIPCUB_304000_NS21CountingInputIteratorIllEEPS6_NSA_22TransformInputIteratorIb7NonZeroIiEPilEENS0_5tupleIJPlS6_EEENSJ_IJSD_SD_EEES6_SK_JS6_EEE10hipError_tPvRmT3_T4_T5_T6_T7_T9_mT8_P12ihipStream_tbDpT10_ENKUlT_T0_E_clISt17integral_constantIbLb1EES15_IbLb0EEEEDaS11_S12_EUlS11_E_NS1_11comp_targetILNS1_3genE9ELNS1_11target_archE1100ELNS1_3gpuE3ELNS1_3repE0EEENS1_30default_config_static_selectorELNS0_4arch9wavefront6targetE1EEEvT1_
    .private_segment_fixed_size: 0
    .sgpr_count:     6
    .sgpr_spill_count: 0
    .symbol:         _ZN7rocprim17ROCPRIM_400000_NS6detail17trampoline_kernelINS0_14default_configENS1_25partition_config_selectorILNS1_17partition_subalgoE5ElNS0_10empty_typeEbEEZZNS1_14partition_implILS5_5ELb0ES3_mN6hipcub16HIPCUB_304000_NS21CountingInputIteratorIllEEPS6_NSA_22TransformInputIteratorIb7NonZeroIiEPilEENS0_5tupleIJPlS6_EEENSJ_IJSD_SD_EEES6_SK_JS6_EEE10hipError_tPvRmT3_T4_T5_T6_T7_T9_mT8_P12ihipStream_tbDpT10_ENKUlT_T0_E_clISt17integral_constantIbLb1EES15_IbLb0EEEEDaS11_S12_EUlS11_E_NS1_11comp_targetILNS1_3genE9ELNS1_11target_archE1100ELNS1_3gpuE3ELNS1_3repE0EEENS1_30default_config_static_selectorELNS0_4arch9wavefront6targetE1EEEvT1_.kd
    .uniform_work_group_size: 1
    .uses_dynamic_stack: false
    .vgpr_count:     0
    .vgpr_spill_count: 0
    .wavefront_size: 64
  - .agpr_count:     0
    .args:
      - .offset:         0
        .size:           120
        .value_kind:     by_value
    .group_segment_fixed_size: 0
    .kernarg_segment_align: 8
    .kernarg_segment_size: 120
    .language:       OpenCL C
    .language_version:
      - 2
      - 0
    .max_flat_workgroup_size: 512
    .name:           _ZN7rocprim17ROCPRIM_400000_NS6detail17trampoline_kernelINS0_14default_configENS1_25partition_config_selectorILNS1_17partition_subalgoE5ElNS0_10empty_typeEbEEZZNS1_14partition_implILS5_5ELb0ES3_mN6hipcub16HIPCUB_304000_NS21CountingInputIteratorIllEEPS6_NSA_22TransformInputIteratorIb7NonZeroIiEPilEENS0_5tupleIJPlS6_EEENSJ_IJSD_SD_EEES6_SK_JS6_EEE10hipError_tPvRmT3_T4_T5_T6_T7_T9_mT8_P12ihipStream_tbDpT10_ENKUlT_T0_E_clISt17integral_constantIbLb1EES15_IbLb0EEEEDaS11_S12_EUlS11_E_NS1_11comp_targetILNS1_3genE8ELNS1_11target_archE1030ELNS1_3gpuE2ELNS1_3repE0EEENS1_30default_config_static_selectorELNS0_4arch9wavefront6targetE1EEEvT1_
    .private_segment_fixed_size: 0
    .sgpr_count:     6
    .sgpr_spill_count: 0
    .symbol:         _ZN7rocprim17ROCPRIM_400000_NS6detail17trampoline_kernelINS0_14default_configENS1_25partition_config_selectorILNS1_17partition_subalgoE5ElNS0_10empty_typeEbEEZZNS1_14partition_implILS5_5ELb0ES3_mN6hipcub16HIPCUB_304000_NS21CountingInputIteratorIllEEPS6_NSA_22TransformInputIteratorIb7NonZeroIiEPilEENS0_5tupleIJPlS6_EEENSJ_IJSD_SD_EEES6_SK_JS6_EEE10hipError_tPvRmT3_T4_T5_T6_T7_T9_mT8_P12ihipStream_tbDpT10_ENKUlT_T0_E_clISt17integral_constantIbLb1EES15_IbLb0EEEEDaS11_S12_EUlS11_E_NS1_11comp_targetILNS1_3genE8ELNS1_11target_archE1030ELNS1_3gpuE2ELNS1_3repE0EEENS1_30default_config_static_selectorELNS0_4arch9wavefront6targetE1EEEvT1_.kd
    .uniform_work_group_size: 1
    .uses_dynamic_stack: false
    .vgpr_count:     0
    .vgpr_spill_count: 0
    .wavefront_size: 64
  - .agpr_count:     0
    .args:
      - .offset:         0
        .size:           136
        .value_kind:     by_value
    .group_segment_fixed_size: 7184
    .kernarg_segment_align: 8
    .kernarg_segment_size: 136
    .language:       OpenCL C
    .language_version:
      - 2
      - 0
    .max_flat_workgroup_size: 128
    .name:           _ZN7rocprim17ROCPRIM_400000_NS6detail17trampoline_kernelINS0_14default_configENS1_25partition_config_selectorILNS1_17partition_subalgoE5ElNS0_10empty_typeEbEEZZNS1_14partition_implILS5_5ELb0ES3_mN6hipcub16HIPCUB_304000_NS21CountingInputIteratorIllEEPS6_NSA_22TransformInputIteratorIb7NonZeroIiEPilEENS0_5tupleIJPlS6_EEENSJ_IJSD_SD_EEES6_SK_JS6_EEE10hipError_tPvRmT3_T4_T5_T6_T7_T9_mT8_P12ihipStream_tbDpT10_ENKUlT_T0_E_clISt17integral_constantIbLb0EES15_IbLb1EEEEDaS11_S12_EUlS11_E_NS1_11comp_targetILNS1_3genE0ELNS1_11target_archE4294967295ELNS1_3gpuE0ELNS1_3repE0EEENS1_30default_config_static_selectorELNS0_4arch9wavefront6targetE1EEEvT1_
    .private_segment_fixed_size: 0
    .sgpr_count:     34
    .sgpr_spill_count: 0
    .symbol:         _ZN7rocprim17ROCPRIM_400000_NS6detail17trampoline_kernelINS0_14default_configENS1_25partition_config_selectorILNS1_17partition_subalgoE5ElNS0_10empty_typeEbEEZZNS1_14partition_implILS5_5ELb0ES3_mN6hipcub16HIPCUB_304000_NS21CountingInputIteratorIllEEPS6_NSA_22TransformInputIteratorIb7NonZeroIiEPilEENS0_5tupleIJPlS6_EEENSJ_IJSD_SD_EEES6_SK_JS6_EEE10hipError_tPvRmT3_T4_T5_T6_T7_T9_mT8_P12ihipStream_tbDpT10_ENKUlT_T0_E_clISt17integral_constantIbLb0EES15_IbLb1EEEEDaS11_S12_EUlS11_E_NS1_11comp_targetILNS1_3genE0ELNS1_11target_archE4294967295ELNS1_3gpuE0ELNS1_3repE0EEENS1_30default_config_static_selectorELNS0_4arch9wavefront6targetE1EEEvT1_.kd
    .uniform_work_group_size: 1
    .uses_dynamic_stack: false
    .vgpr_count:     72
    .vgpr_spill_count: 0
    .wavefront_size: 64
  - .agpr_count:     0
    .args:
      - .offset:         0
        .size:           136
        .value_kind:     by_value
    .group_segment_fixed_size: 0
    .kernarg_segment_align: 8
    .kernarg_segment_size: 136
    .language:       OpenCL C
    .language_version:
      - 2
      - 0
    .max_flat_workgroup_size: 512
    .name:           _ZN7rocprim17ROCPRIM_400000_NS6detail17trampoline_kernelINS0_14default_configENS1_25partition_config_selectorILNS1_17partition_subalgoE5ElNS0_10empty_typeEbEEZZNS1_14partition_implILS5_5ELb0ES3_mN6hipcub16HIPCUB_304000_NS21CountingInputIteratorIllEEPS6_NSA_22TransformInputIteratorIb7NonZeroIiEPilEENS0_5tupleIJPlS6_EEENSJ_IJSD_SD_EEES6_SK_JS6_EEE10hipError_tPvRmT3_T4_T5_T6_T7_T9_mT8_P12ihipStream_tbDpT10_ENKUlT_T0_E_clISt17integral_constantIbLb0EES15_IbLb1EEEEDaS11_S12_EUlS11_E_NS1_11comp_targetILNS1_3genE5ELNS1_11target_archE942ELNS1_3gpuE9ELNS1_3repE0EEENS1_30default_config_static_selectorELNS0_4arch9wavefront6targetE1EEEvT1_
    .private_segment_fixed_size: 0
    .sgpr_count:     6
    .sgpr_spill_count: 0
    .symbol:         _ZN7rocprim17ROCPRIM_400000_NS6detail17trampoline_kernelINS0_14default_configENS1_25partition_config_selectorILNS1_17partition_subalgoE5ElNS0_10empty_typeEbEEZZNS1_14partition_implILS5_5ELb0ES3_mN6hipcub16HIPCUB_304000_NS21CountingInputIteratorIllEEPS6_NSA_22TransformInputIteratorIb7NonZeroIiEPilEENS0_5tupleIJPlS6_EEENSJ_IJSD_SD_EEES6_SK_JS6_EEE10hipError_tPvRmT3_T4_T5_T6_T7_T9_mT8_P12ihipStream_tbDpT10_ENKUlT_T0_E_clISt17integral_constantIbLb0EES15_IbLb1EEEEDaS11_S12_EUlS11_E_NS1_11comp_targetILNS1_3genE5ELNS1_11target_archE942ELNS1_3gpuE9ELNS1_3repE0EEENS1_30default_config_static_selectorELNS0_4arch9wavefront6targetE1EEEvT1_.kd
    .uniform_work_group_size: 1
    .uses_dynamic_stack: false
    .vgpr_count:     0
    .vgpr_spill_count: 0
    .wavefront_size: 64
  - .agpr_count:     0
    .args:
      - .offset:         0
        .size:           136
        .value_kind:     by_value
    .group_segment_fixed_size: 0
    .kernarg_segment_align: 8
    .kernarg_segment_size: 136
    .language:       OpenCL C
    .language_version:
      - 2
      - 0
    .max_flat_workgroup_size: 192
    .name:           _ZN7rocprim17ROCPRIM_400000_NS6detail17trampoline_kernelINS0_14default_configENS1_25partition_config_selectorILNS1_17partition_subalgoE5ElNS0_10empty_typeEbEEZZNS1_14partition_implILS5_5ELb0ES3_mN6hipcub16HIPCUB_304000_NS21CountingInputIteratorIllEEPS6_NSA_22TransformInputIteratorIb7NonZeroIiEPilEENS0_5tupleIJPlS6_EEENSJ_IJSD_SD_EEES6_SK_JS6_EEE10hipError_tPvRmT3_T4_T5_T6_T7_T9_mT8_P12ihipStream_tbDpT10_ENKUlT_T0_E_clISt17integral_constantIbLb0EES15_IbLb1EEEEDaS11_S12_EUlS11_E_NS1_11comp_targetILNS1_3genE4ELNS1_11target_archE910ELNS1_3gpuE8ELNS1_3repE0EEENS1_30default_config_static_selectorELNS0_4arch9wavefront6targetE1EEEvT1_
    .private_segment_fixed_size: 0
    .sgpr_count:     6
    .sgpr_spill_count: 0
    .symbol:         _ZN7rocprim17ROCPRIM_400000_NS6detail17trampoline_kernelINS0_14default_configENS1_25partition_config_selectorILNS1_17partition_subalgoE5ElNS0_10empty_typeEbEEZZNS1_14partition_implILS5_5ELb0ES3_mN6hipcub16HIPCUB_304000_NS21CountingInputIteratorIllEEPS6_NSA_22TransformInputIteratorIb7NonZeroIiEPilEENS0_5tupleIJPlS6_EEENSJ_IJSD_SD_EEES6_SK_JS6_EEE10hipError_tPvRmT3_T4_T5_T6_T7_T9_mT8_P12ihipStream_tbDpT10_ENKUlT_T0_E_clISt17integral_constantIbLb0EES15_IbLb1EEEEDaS11_S12_EUlS11_E_NS1_11comp_targetILNS1_3genE4ELNS1_11target_archE910ELNS1_3gpuE8ELNS1_3repE0EEENS1_30default_config_static_selectorELNS0_4arch9wavefront6targetE1EEEvT1_.kd
    .uniform_work_group_size: 1
    .uses_dynamic_stack: false
    .vgpr_count:     0
    .vgpr_spill_count: 0
    .wavefront_size: 64
  - .agpr_count:     0
    .args:
      - .offset:         0
        .size:           136
        .value_kind:     by_value
    .group_segment_fixed_size: 0
    .kernarg_segment_align: 8
    .kernarg_segment_size: 136
    .language:       OpenCL C
    .language_version:
      - 2
      - 0
    .max_flat_workgroup_size: 128
    .name:           _ZN7rocprim17ROCPRIM_400000_NS6detail17trampoline_kernelINS0_14default_configENS1_25partition_config_selectorILNS1_17partition_subalgoE5ElNS0_10empty_typeEbEEZZNS1_14partition_implILS5_5ELb0ES3_mN6hipcub16HIPCUB_304000_NS21CountingInputIteratorIllEEPS6_NSA_22TransformInputIteratorIb7NonZeroIiEPilEENS0_5tupleIJPlS6_EEENSJ_IJSD_SD_EEES6_SK_JS6_EEE10hipError_tPvRmT3_T4_T5_T6_T7_T9_mT8_P12ihipStream_tbDpT10_ENKUlT_T0_E_clISt17integral_constantIbLb0EES15_IbLb1EEEEDaS11_S12_EUlS11_E_NS1_11comp_targetILNS1_3genE3ELNS1_11target_archE908ELNS1_3gpuE7ELNS1_3repE0EEENS1_30default_config_static_selectorELNS0_4arch9wavefront6targetE1EEEvT1_
    .private_segment_fixed_size: 0
    .sgpr_count:     6
    .sgpr_spill_count: 0
    .symbol:         _ZN7rocprim17ROCPRIM_400000_NS6detail17trampoline_kernelINS0_14default_configENS1_25partition_config_selectorILNS1_17partition_subalgoE5ElNS0_10empty_typeEbEEZZNS1_14partition_implILS5_5ELb0ES3_mN6hipcub16HIPCUB_304000_NS21CountingInputIteratorIllEEPS6_NSA_22TransformInputIteratorIb7NonZeroIiEPilEENS0_5tupleIJPlS6_EEENSJ_IJSD_SD_EEES6_SK_JS6_EEE10hipError_tPvRmT3_T4_T5_T6_T7_T9_mT8_P12ihipStream_tbDpT10_ENKUlT_T0_E_clISt17integral_constantIbLb0EES15_IbLb1EEEEDaS11_S12_EUlS11_E_NS1_11comp_targetILNS1_3genE3ELNS1_11target_archE908ELNS1_3gpuE7ELNS1_3repE0EEENS1_30default_config_static_selectorELNS0_4arch9wavefront6targetE1EEEvT1_.kd
    .uniform_work_group_size: 1
    .uses_dynamic_stack: false
    .vgpr_count:     0
    .vgpr_spill_count: 0
    .wavefront_size: 64
  - .agpr_count:     0
    .args:
      - .offset:         0
        .size:           136
        .value_kind:     by_value
    .group_segment_fixed_size: 0
    .kernarg_segment_align: 8
    .kernarg_segment_size: 136
    .language:       OpenCL C
    .language_version:
      - 2
      - 0
    .max_flat_workgroup_size: 256
    .name:           _ZN7rocprim17ROCPRIM_400000_NS6detail17trampoline_kernelINS0_14default_configENS1_25partition_config_selectorILNS1_17partition_subalgoE5ElNS0_10empty_typeEbEEZZNS1_14partition_implILS5_5ELb0ES3_mN6hipcub16HIPCUB_304000_NS21CountingInputIteratorIllEEPS6_NSA_22TransformInputIteratorIb7NonZeroIiEPilEENS0_5tupleIJPlS6_EEENSJ_IJSD_SD_EEES6_SK_JS6_EEE10hipError_tPvRmT3_T4_T5_T6_T7_T9_mT8_P12ihipStream_tbDpT10_ENKUlT_T0_E_clISt17integral_constantIbLb0EES15_IbLb1EEEEDaS11_S12_EUlS11_E_NS1_11comp_targetILNS1_3genE2ELNS1_11target_archE906ELNS1_3gpuE6ELNS1_3repE0EEENS1_30default_config_static_selectorELNS0_4arch9wavefront6targetE1EEEvT1_
    .private_segment_fixed_size: 0
    .sgpr_count:     6
    .sgpr_spill_count: 0
    .symbol:         _ZN7rocprim17ROCPRIM_400000_NS6detail17trampoline_kernelINS0_14default_configENS1_25partition_config_selectorILNS1_17partition_subalgoE5ElNS0_10empty_typeEbEEZZNS1_14partition_implILS5_5ELb0ES3_mN6hipcub16HIPCUB_304000_NS21CountingInputIteratorIllEEPS6_NSA_22TransformInputIteratorIb7NonZeroIiEPilEENS0_5tupleIJPlS6_EEENSJ_IJSD_SD_EEES6_SK_JS6_EEE10hipError_tPvRmT3_T4_T5_T6_T7_T9_mT8_P12ihipStream_tbDpT10_ENKUlT_T0_E_clISt17integral_constantIbLb0EES15_IbLb1EEEEDaS11_S12_EUlS11_E_NS1_11comp_targetILNS1_3genE2ELNS1_11target_archE906ELNS1_3gpuE6ELNS1_3repE0EEENS1_30default_config_static_selectorELNS0_4arch9wavefront6targetE1EEEvT1_.kd
    .uniform_work_group_size: 1
    .uses_dynamic_stack: false
    .vgpr_count:     0
    .vgpr_spill_count: 0
    .wavefront_size: 64
  - .agpr_count:     0
    .args:
      - .offset:         0
        .size:           136
        .value_kind:     by_value
    .group_segment_fixed_size: 0
    .kernarg_segment_align: 8
    .kernarg_segment_size: 136
    .language:       OpenCL C
    .language_version:
      - 2
      - 0
    .max_flat_workgroup_size: 256
    .name:           _ZN7rocprim17ROCPRIM_400000_NS6detail17trampoline_kernelINS0_14default_configENS1_25partition_config_selectorILNS1_17partition_subalgoE5ElNS0_10empty_typeEbEEZZNS1_14partition_implILS5_5ELb0ES3_mN6hipcub16HIPCUB_304000_NS21CountingInputIteratorIllEEPS6_NSA_22TransformInputIteratorIb7NonZeroIiEPilEENS0_5tupleIJPlS6_EEENSJ_IJSD_SD_EEES6_SK_JS6_EEE10hipError_tPvRmT3_T4_T5_T6_T7_T9_mT8_P12ihipStream_tbDpT10_ENKUlT_T0_E_clISt17integral_constantIbLb0EES15_IbLb1EEEEDaS11_S12_EUlS11_E_NS1_11comp_targetILNS1_3genE10ELNS1_11target_archE1200ELNS1_3gpuE4ELNS1_3repE0EEENS1_30default_config_static_selectorELNS0_4arch9wavefront6targetE1EEEvT1_
    .private_segment_fixed_size: 0
    .sgpr_count:     6
    .sgpr_spill_count: 0
    .symbol:         _ZN7rocprim17ROCPRIM_400000_NS6detail17trampoline_kernelINS0_14default_configENS1_25partition_config_selectorILNS1_17partition_subalgoE5ElNS0_10empty_typeEbEEZZNS1_14partition_implILS5_5ELb0ES3_mN6hipcub16HIPCUB_304000_NS21CountingInputIteratorIllEEPS6_NSA_22TransformInputIteratorIb7NonZeroIiEPilEENS0_5tupleIJPlS6_EEENSJ_IJSD_SD_EEES6_SK_JS6_EEE10hipError_tPvRmT3_T4_T5_T6_T7_T9_mT8_P12ihipStream_tbDpT10_ENKUlT_T0_E_clISt17integral_constantIbLb0EES15_IbLb1EEEEDaS11_S12_EUlS11_E_NS1_11comp_targetILNS1_3genE10ELNS1_11target_archE1200ELNS1_3gpuE4ELNS1_3repE0EEENS1_30default_config_static_selectorELNS0_4arch9wavefront6targetE1EEEvT1_.kd
    .uniform_work_group_size: 1
    .uses_dynamic_stack: false
    .vgpr_count:     0
    .vgpr_spill_count: 0
    .wavefront_size: 64
  - .agpr_count:     0
    .args:
      - .offset:         0
        .size:           136
        .value_kind:     by_value
    .group_segment_fixed_size: 0
    .kernarg_segment_align: 8
    .kernarg_segment_size: 136
    .language:       OpenCL C
    .language_version:
      - 2
      - 0
    .max_flat_workgroup_size: 128
    .name:           _ZN7rocprim17ROCPRIM_400000_NS6detail17trampoline_kernelINS0_14default_configENS1_25partition_config_selectorILNS1_17partition_subalgoE5ElNS0_10empty_typeEbEEZZNS1_14partition_implILS5_5ELb0ES3_mN6hipcub16HIPCUB_304000_NS21CountingInputIteratorIllEEPS6_NSA_22TransformInputIteratorIb7NonZeroIiEPilEENS0_5tupleIJPlS6_EEENSJ_IJSD_SD_EEES6_SK_JS6_EEE10hipError_tPvRmT3_T4_T5_T6_T7_T9_mT8_P12ihipStream_tbDpT10_ENKUlT_T0_E_clISt17integral_constantIbLb0EES15_IbLb1EEEEDaS11_S12_EUlS11_E_NS1_11comp_targetILNS1_3genE9ELNS1_11target_archE1100ELNS1_3gpuE3ELNS1_3repE0EEENS1_30default_config_static_selectorELNS0_4arch9wavefront6targetE1EEEvT1_
    .private_segment_fixed_size: 0
    .sgpr_count:     6
    .sgpr_spill_count: 0
    .symbol:         _ZN7rocprim17ROCPRIM_400000_NS6detail17trampoline_kernelINS0_14default_configENS1_25partition_config_selectorILNS1_17partition_subalgoE5ElNS0_10empty_typeEbEEZZNS1_14partition_implILS5_5ELb0ES3_mN6hipcub16HIPCUB_304000_NS21CountingInputIteratorIllEEPS6_NSA_22TransformInputIteratorIb7NonZeroIiEPilEENS0_5tupleIJPlS6_EEENSJ_IJSD_SD_EEES6_SK_JS6_EEE10hipError_tPvRmT3_T4_T5_T6_T7_T9_mT8_P12ihipStream_tbDpT10_ENKUlT_T0_E_clISt17integral_constantIbLb0EES15_IbLb1EEEEDaS11_S12_EUlS11_E_NS1_11comp_targetILNS1_3genE9ELNS1_11target_archE1100ELNS1_3gpuE3ELNS1_3repE0EEENS1_30default_config_static_selectorELNS0_4arch9wavefront6targetE1EEEvT1_.kd
    .uniform_work_group_size: 1
    .uses_dynamic_stack: false
    .vgpr_count:     0
    .vgpr_spill_count: 0
    .wavefront_size: 64
  - .agpr_count:     0
    .args:
      - .offset:         0
        .size:           136
        .value_kind:     by_value
    .group_segment_fixed_size: 0
    .kernarg_segment_align: 8
    .kernarg_segment_size: 136
    .language:       OpenCL C
    .language_version:
      - 2
      - 0
    .max_flat_workgroup_size: 512
    .name:           _ZN7rocprim17ROCPRIM_400000_NS6detail17trampoline_kernelINS0_14default_configENS1_25partition_config_selectorILNS1_17partition_subalgoE5ElNS0_10empty_typeEbEEZZNS1_14partition_implILS5_5ELb0ES3_mN6hipcub16HIPCUB_304000_NS21CountingInputIteratorIllEEPS6_NSA_22TransformInputIteratorIb7NonZeroIiEPilEENS0_5tupleIJPlS6_EEENSJ_IJSD_SD_EEES6_SK_JS6_EEE10hipError_tPvRmT3_T4_T5_T6_T7_T9_mT8_P12ihipStream_tbDpT10_ENKUlT_T0_E_clISt17integral_constantIbLb0EES15_IbLb1EEEEDaS11_S12_EUlS11_E_NS1_11comp_targetILNS1_3genE8ELNS1_11target_archE1030ELNS1_3gpuE2ELNS1_3repE0EEENS1_30default_config_static_selectorELNS0_4arch9wavefront6targetE1EEEvT1_
    .private_segment_fixed_size: 0
    .sgpr_count:     6
    .sgpr_spill_count: 0
    .symbol:         _ZN7rocprim17ROCPRIM_400000_NS6detail17trampoline_kernelINS0_14default_configENS1_25partition_config_selectorILNS1_17partition_subalgoE5ElNS0_10empty_typeEbEEZZNS1_14partition_implILS5_5ELb0ES3_mN6hipcub16HIPCUB_304000_NS21CountingInputIteratorIllEEPS6_NSA_22TransformInputIteratorIb7NonZeroIiEPilEENS0_5tupleIJPlS6_EEENSJ_IJSD_SD_EEES6_SK_JS6_EEE10hipError_tPvRmT3_T4_T5_T6_T7_T9_mT8_P12ihipStream_tbDpT10_ENKUlT_T0_E_clISt17integral_constantIbLb0EES15_IbLb1EEEEDaS11_S12_EUlS11_E_NS1_11comp_targetILNS1_3genE8ELNS1_11target_archE1030ELNS1_3gpuE2ELNS1_3repE0EEENS1_30default_config_static_selectorELNS0_4arch9wavefront6targetE1EEEvT1_.kd
    .uniform_work_group_size: 1
    .uses_dynamic_stack: false
    .vgpr_count:     0
    .vgpr_spill_count: 0
    .wavefront_size: 64
  - .agpr_count:     0
    .args:
      - .offset:         0
        .size:           64
        .value_kind:     by_value
    .group_segment_fixed_size: 64
    .kernarg_segment_align: 8
    .kernarg_segment_size: 64
    .language:       OpenCL C
    .language_version:
      - 2
      - 0
    .max_flat_workgroup_size: 256
    .name:           _ZN7rocprim17ROCPRIM_400000_NS6detail17trampoline_kernelINS0_14default_configENS1_22reduce_config_selectorIlEEZNS1_11reduce_implILb1ES3_PlS7_lN6hipcub16HIPCUB_304000_NS6detail34convert_binary_result_type_wrapperINS9_3SumENS9_22TransformInputIteratorIb7NonZeroIfEPflEElEEEE10hipError_tPvRmT1_T2_T3_mT4_P12ihipStream_tbEUlT_E0_NS1_11comp_targetILNS1_3genE0ELNS1_11target_archE4294967295ELNS1_3gpuE0ELNS1_3repE0EEENS1_30default_config_static_selectorELNS0_4arch9wavefront6targetE1EEEvSM_
    .private_segment_fixed_size: 0
    .sgpr_count:     54
    .sgpr_spill_count: 0
    .symbol:         _ZN7rocprim17ROCPRIM_400000_NS6detail17trampoline_kernelINS0_14default_configENS1_22reduce_config_selectorIlEEZNS1_11reduce_implILb1ES3_PlS7_lN6hipcub16HIPCUB_304000_NS6detail34convert_binary_result_type_wrapperINS9_3SumENS9_22TransformInputIteratorIb7NonZeroIfEPflEElEEEE10hipError_tPvRmT1_T2_T3_mT4_P12ihipStream_tbEUlT_E0_NS1_11comp_targetILNS1_3genE0ELNS1_11target_archE4294967295ELNS1_3gpuE0ELNS1_3repE0EEENS1_30default_config_static_selectorELNS0_4arch9wavefront6targetE1EEEvSM_.kd
    .uniform_work_group_size: 1
    .uses_dynamic_stack: false
    .vgpr_count:     68
    .vgpr_spill_count: 0
    .wavefront_size: 64
  - .agpr_count:     0
    .args:
      - .offset:         0
        .size:           64
        .value_kind:     by_value
    .group_segment_fixed_size: 0
    .kernarg_segment_align: 8
    .kernarg_segment_size: 64
    .language:       OpenCL C
    .language_version:
      - 2
      - 0
    .max_flat_workgroup_size: 256
    .name:           _ZN7rocprim17ROCPRIM_400000_NS6detail17trampoline_kernelINS0_14default_configENS1_22reduce_config_selectorIlEEZNS1_11reduce_implILb1ES3_PlS7_lN6hipcub16HIPCUB_304000_NS6detail34convert_binary_result_type_wrapperINS9_3SumENS9_22TransformInputIteratorIb7NonZeroIfEPflEElEEEE10hipError_tPvRmT1_T2_T3_mT4_P12ihipStream_tbEUlT_E0_NS1_11comp_targetILNS1_3genE5ELNS1_11target_archE942ELNS1_3gpuE9ELNS1_3repE0EEENS1_30default_config_static_selectorELNS0_4arch9wavefront6targetE1EEEvSM_
    .private_segment_fixed_size: 0
    .sgpr_count:     6
    .sgpr_spill_count: 0
    .symbol:         _ZN7rocprim17ROCPRIM_400000_NS6detail17trampoline_kernelINS0_14default_configENS1_22reduce_config_selectorIlEEZNS1_11reduce_implILb1ES3_PlS7_lN6hipcub16HIPCUB_304000_NS6detail34convert_binary_result_type_wrapperINS9_3SumENS9_22TransformInputIteratorIb7NonZeroIfEPflEElEEEE10hipError_tPvRmT1_T2_T3_mT4_P12ihipStream_tbEUlT_E0_NS1_11comp_targetILNS1_3genE5ELNS1_11target_archE942ELNS1_3gpuE9ELNS1_3repE0EEENS1_30default_config_static_selectorELNS0_4arch9wavefront6targetE1EEEvSM_.kd
    .uniform_work_group_size: 1
    .uses_dynamic_stack: false
    .vgpr_count:     0
    .vgpr_spill_count: 0
    .wavefront_size: 64
  - .agpr_count:     0
    .args:
      - .offset:         0
        .size:           64
        .value_kind:     by_value
    .group_segment_fixed_size: 0
    .kernarg_segment_align: 8
    .kernarg_segment_size: 64
    .language:       OpenCL C
    .language_version:
      - 2
      - 0
    .max_flat_workgroup_size: 256
    .name:           _ZN7rocprim17ROCPRIM_400000_NS6detail17trampoline_kernelINS0_14default_configENS1_22reduce_config_selectorIlEEZNS1_11reduce_implILb1ES3_PlS7_lN6hipcub16HIPCUB_304000_NS6detail34convert_binary_result_type_wrapperINS9_3SumENS9_22TransformInputIteratorIb7NonZeroIfEPflEElEEEE10hipError_tPvRmT1_T2_T3_mT4_P12ihipStream_tbEUlT_E0_NS1_11comp_targetILNS1_3genE4ELNS1_11target_archE910ELNS1_3gpuE8ELNS1_3repE0EEENS1_30default_config_static_selectorELNS0_4arch9wavefront6targetE1EEEvSM_
    .private_segment_fixed_size: 0
    .sgpr_count:     6
    .sgpr_spill_count: 0
    .symbol:         _ZN7rocprim17ROCPRIM_400000_NS6detail17trampoline_kernelINS0_14default_configENS1_22reduce_config_selectorIlEEZNS1_11reduce_implILb1ES3_PlS7_lN6hipcub16HIPCUB_304000_NS6detail34convert_binary_result_type_wrapperINS9_3SumENS9_22TransformInputIteratorIb7NonZeroIfEPflEElEEEE10hipError_tPvRmT1_T2_T3_mT4_P12ihipStream_tbEUlT_E0_NS1_11comp_targetILNS1_3genE4ELNS1_11target_archE910ELNS1_3gpuE8ELNS1_3repE0EEENS1_30default_config_static_selectorELNS0_4arch9wavefront6targetE1EEEvSM_.kd
    .uniform_work_group_size: 1
    .uses_dynamic_stack: false
    .vgpr_count:     0
    .vgpr_spill_count: 0
    .wavefront_size: 64
  - .agpr_count:     0
    .args:
      - .offset:         0
        .size:           64
        .value_kind:     by_value
    .group_segment_fixed_size: 0
    .kernarg_segment_align: 8
    .kernarg_segment_size: 64
    .language:       OpenCL C
    .language_version:
      - 2
      - 0
    .max_flat_workgroup_size: 256
    .name:           _ZN7rocprim17ROCPRIM_400000_NS6detail17trampoline_kernelINS0_14default_configENS1_22reduce_config_selectorIlEEZNS1_11reduce_implILb1ES3_PlS7_lN6hipcub16HIPCUB_304000_NS6detail34convert_binary_result_type_wrapperINS9_3SumENS9_22TransformInputIteratorIb7NonZeroIfEPflEElEEEE10hipError_tPvRmT1_T2_T3_mT4_P12ihipStream_tbEUlT_E0_NS1_11comp_targetILNS1_3genE3ELNS1_11target_archE908ELNS1_3gpuE7ELNS1_3repE0EEENS1_30default_config_static_selectorELNS0_4arch9wavefront6targetE1EEEvSM_
    .private_segment_fixed_size: 0
    .sgpr_count:     6
    .sgpr_spill_count: 0
    .symbol:         _ZN7rocprim17ROCPRIM_400000_NS6detail17trampoline_kernelINS0_14default_configENS1_22reduce_config_selectorIlEEZNS1_11reduce_implILb1ES3_PlS7_lN6hipcub16HIPCUB_304000_NS6detail34convert_binary_result_type_wrapperINS9_3SumENS9_22TransformInputIteratorIb7NonZeroIfEPflEElEEEE10hipError_tPvRmT1_T2_T3_mT4_P12ihipStream_tbEUlT_E0_NS1_11comp_targetILNS1_3genE3ELNS1_11target_archE908ELNS1_3gpuE7ELNS1_3repE0EEENS1_30default_config_static_selectorELNS0_4arch9wavefront6targetE1EEEvSM_.kd
    .uniform_work_group_size: 1
    .uses_dynamic_stack: false
    .vgpr_count:     0
    .vgpr_spill_count: 0
    .wavefront_size: 64
  - .agpr_count:     0
    .args:
      - .offset:         0
        .size:           64
        .value_kind:     by_value
    .group_segment_fixed_size: 0
    .kernarg_segment_align: 8
    .kernarg_segment_size: 64
    .language:       OpenCL C
    .language_version:
      - 2
      - 0
    .max_flat_workgroup_size: 256
    .name:           _ZN7rocprim17ROCPRIM_400000_NS6detail17trampoline_kernelINS0_14default_configENS1_22reduce_config_selectorIlEEZNS1_11reduce_implILb1ES3_PlS7_lN6hipcub16HIPCUB_304000_NS6detail34convert_binary_result_type_wrapperINS9_3SumENS9_22TransformInputIteratorIb7NonZeroIfEPflEElEEEE10hipError_tPvRmT1_T2_T3_mT4_P12ihipStream_tbEUlT_E0_NS1_11comp_targetILNS1_3genE2ELNS1_11target_archE906ELNS1_3gpuE6ELNS1_3repE0EEENS1_30default_config_static_selectorELNS0_4arch9wavefront6targetE1EEEvSM_
    .private_segment_fixed_size: 0
    .sgpr_count:     6
    .sgpr_spill_count: 0
    .symbol:         _ZN7rocprim17ROCPRIM_400000_NS6detail17trampoline_kernelINS0_14default_configENS1_22reduce_config_selectorIlEEZNS1_11reduce_implILb1ES3_PlS7_lN6hipcub16HIPCUB_304000_NS6detail34convert_binary_result_type_wrapperINS9_3SumENS9_22TransformInputIteratorIb7NonZeroIfEPflEElEEEE10hipError_tPvRmT1_T2_T3_mT4_P12ihipStream_tbEUlT_E0_NS1_11comp_targetILNS1_3genE2ELNS1_11target_archE906ELNS1_3gpuE6ELNS1_3repE0EEENS1_30default_config_static_selectorELNS0_4arch9wavefront6targetE1EEEvSM_.kd
    .uniform_work_group_size: 1
    .uses_dynamic_stack: false
    .vgpr_count:     0
    .vgpr_spill_count: 0
    .wavefront_size: 64
  - .agpr_count:     0
    .args:
      - .offset:         0
        .size:           64
        .value_kind:     by_value
    .group_segment_fixed_size: 0
    .kernarg_segment_align: 8
    .kernarg_segment_size: 64
    .language:       OpenCL C
    .language_version:
      - 2
      - 0
    .max_flat_workgroup_size: 256
    .name:           _ZN7rocprim17ROCPRIM_400000_NS6detail17trampoline_kernelINS0_14default_configENS1_22reduce_config_selectorIlEEZNS1_11reduce_implILb1ES3_PlS7_lN6hipcub16HIPCUB_304000_NS6detail34convert_binary_result_type_wrapperINS9_3SumENS9_22TransformInputIteratorIb7NonZeroIfEPflEElEEEE10hipError_tPvRmT1_T2_T3_mT4_P12ihipStream_tbEUlT_E0_NS1_11comp_targetILNS1_3genE10ELNS1_11target_archE1201ELNS1_3gpuE5ELNS1_3repE0EEENS1_30default_config_static_selectorELNS0_4arch9wavefront6targetE1EEEvSM_
    .private_segment_fixed_size: 0
    .sgpr_count:     6
    .sgpr_spill_count: 0
    .symbol:         _ZN7rocprim17ROCPRIM_400000_NS6detail17trampoline_kernelINS0_14default_configENS1_22reduce_config_selectorIlEEZNS1_11reduce_implILb1ES3_PlS7_lN6hipcub16HIPCUB_304000_NS6detail34convert_binary_result_type_wrapperINS9_3SumENS9_22TransformInputIteratorIb7NonZeroIfEPflEElEEEE10hipError_tPvRmT1_T2_T3_mT4_P12ihipStream_tbEUlT_E0_NS1_11comp_targetILNS1_3genE10ELNS1_11target_archE1201ELNS1_3gpuE5ELNS1_3repE0EEENS1_30default_config_static_selectorELNS0_4arch9wavefront6targetE1EEEvSM_.kd
    .uniform_work_group_size: 1
    .uses_dynamic_stack: false
    .vgpr_count:     0
    .vgpr_spill_count: 0
    .wavefront_size: 64
  - .agpr_count:     0
    .args:
      - .offset:         0
        .size:           64
        .value_kind:     by_value
    .group_segment_fixed_size: 0
    .kernarg_segment_align: 8
    .kernarg_segment_size: 64
    .language:       OpenCL C
    .language_version:
      - 2
      - 0
    .max_flat_workgroup_size: 256
    .name:           _ZN7rocprim17ROCPRIM_400000_NS6detail17trampoline_kernelINS0_14default_configENS1_22reduce_config_selectorIlEEZNS1_11reduce_implILb1ES3_PlS7_lN6hipcub16HIPCUB_304000_NS6detail34convert_binary_result_type_wrapperINS9_3SumENS9_22TransformInputIteratorIb7NonZeroIfEPflEElEEEE10hipError_tPvRmT1_T2_T3_mT4_P12ihipStream_tbEUlT_E0_NS1_11comp_targetILNS1_3genE10ELNS1_11target_archE1200ELNS1_3gpuE4ELNS1_3repE0EEENS1_30default_config_static_selectorELNS0_4arch9wavefront6targetE1EEEvSM_
    .private_segment_fixed_size: 0
    .sgpr_count:     6
    .sgpr_spill_count: 0
    .symbol:         _ZN7rocprim17ROCPRIM_400000_NS6detail17trampoline_kernelINS0_14default_configENS1_22reduce_config_selectorIlEEZNS1_11reduce_implILb1ES3_PlS7_lN6hipcub16HIPCUB_304000_NS6detail34convert_binary_result_type_wrapperINS9_3SumENS9_22TransformInputIteratorIb7NonZeroIfEPflEElEEEE10hipError_tPvRmT1_T2_T3_mT4_P12ihipStream_tbEUlT_E0_NS1_11comp_targetILNS1_3genE10ELNS1_11target_archE1200ELNS1_3gpuE4ELNS1_3repE0EEENS1_30default_config_static_selectorELNS0_4arch9wavefront6targetE1EEEvSM_.kd
    .uniform_work_group_size: 1
    .uses_dynamic_stack: false
    .vgpr_count:     0
    .vgpr_spill_count: 0
    .wavefront_size: 64
  - .agpr_count:     0
    .args:
      - .offset:         0
        .size:           64
        .value_kind:     by_value
    .group_segment_fixed_size: 0
    .kernarg_segment_align: 8
    .kernarg_segment_size: 64
    .language:       OpenCL C
    .language_version:
      - 2
      - 0
    .max_flat_workgroup_size: 256
    .name:           _ZN7rocprim17ROCPRIM_400000_NS6detail17trampoline_kernelINS0_14default_configENS1_22reduce_config_selectorIlEEZNS1_11reduce_implILb1ES3_PlS7_lN6hipcub16HIPCUB_304000_NS6detail34convert_binary_result_type_wrapperINS9_3SumENS9_22TransformInputIteratorIb7NonZeroIfEPflEElEEEE10hipError_tPvRmT1_T2_T3_mT4_P12ihipStream_tbEUlT_E0_NS1_11comp_targetILNS1_3genE9ELNS1_11target_archE1100ELNS1_3gpuE3ELNS1_3repE0EEENS1_30default_config_static_selectorELNS0_4arch9wavefront6targetE1EEEvSM_
    .private_segment_fixed_size: 0
    .sgpr_count:     6
    .sgpr_spill_count: 0
    .symbol:         _ZN7rocprim17ROCPRIM_400000_NS6detail17trampoline_kernelINS0_14default_configENS1_22reduce_config_selectorIlEEZNS1_11reduce_implILb1ES3_PlS7_lN6hipcub16HIPCUB_304000_NS6detail34convert_binary_result_type_wrapperINS9_3SumENS9_22TransformInputIteratorIb7NonZeroIfEPflEElEEEE10hipError_tPvRmT1_T2_T3_mT4_P12ihipStream_tbEUlT_E0_NS1_11comp_targetILNS1_3genE9ELNS1_11target_archE1100ELNS1_3gpuE3ELNS1_3repE0EEENS1_30default_config_static_selectorELNS0_4arch9wavefront6targetE1EEEvSM_.kd
    .uniform_work_group_size: 1
    .uses_dynamic_stack: false
    .vgpr_count:     0
    .vgpr_spill_count: 0
    .wavefront_size: 64
  - .agpr_count:     0
    .args:
      - .offset:         0
        .size:           64
        .value_kind:     by_value
    .group_segment_fixed_size: 0
    .kernarg_segment_align: 8
    .kernarg_segment_size: 64
    .language:       OpenCL C
    .language_version:
      - 2
      - 0
    .max_flat_workgroup_size: 256
    .name:           _ZN7rocprim17ROCPRIM_400000_NS6detail17trampoline_kernelINS0_14default_configENS1_22reduce_config_selectorIlEEZNS1_11reduce_implILb1ES3_PlS7_lN6hipcub16HIPCUB_304000_NS6detail34convert_binary_result_type_wrapperINS9_3SumENS9_22TransformInputIteratorIb7NonZeroIfEPflEElEEEE10hipError_tPvRmT1_T2_T3_mT4_P12ihipStream_tbEUlT_E0_NS1_11comp_targetILNS1_3genE8ELNS1_11target_archE1030ELNS1_3gpuE2ELNS1_3repE0EEENS1_30default_config_static_selectorELNS0_4arch9wavefront6targetE1EEEvSM_
    .private_segment_fixed_size: 0
    .sgpr_count:     6
    .sgpr_spill_count: 0
    .symbol:         _ZN7rocprim17ROCPRIM_400000_NS6detail17trampoline_kernelINS0_14default_configENS1_22reduce_config_selectorIlEEZNS1_11reduce_implILb1ES3_PlS7_lN6hipcub16HIPCUB_304000_NS6detail34convert_binary_result_type_wrapperINS9_3SumENS9_22TransformInputIteratorIb7NonZeroIfEPflEElEEEE10hipError_tPvRmT1_T2_T3_mT4_P12ihipStream_tbEUlT_E0_NS1_11comp_targetILNS1_3genE8ELNS1_11target_archE1030ELNS1_3gpuE2ELNS1_3repE0EEENS1_30default_config_static_selectorELNS0_4arch9wavefront6targetE1EEEvSM_.kd
    .uniform_work_group_size: 1
    .uses_dynamic_stack: false
    .vgpr_count:     0
    .vgpr_spill_count: 0
    .wavefront_size: 64
  - .agpr_count:     0
    .args:
      - .offset:         0
        .size:           48
        .value_kind:     by_value
    .group_segment_fixed_size: 192
    .kernarg_segment_align: 8
    .kernarg_segment_size: 48
    .language:       OpenCL C
    .language_version:
      - 2
      - 0
    .max_flat_workgroup_size: 256
    .name:           _ZN7rocprim17ROCPRIM_400000_NS6detail17trampoline_kernelINS0_14default_configENS1_22reduce_config_selectorIlEEZNS1_11reduce_implILb1ES3_PlS7_lN6hipcub16HIPCUB_304000_NS6detail34convert_binary_result_type_wrapperINS9_3SumENS9_22TransformInputIteratorIb7NonZeroIfEPflEElEEEE10hipError_tPvRmT1_T2_T3_mT4_P12ihipStream_tbEUlT_E1_NS1_11comp_targetILNS1_3genE0ELNS1_11target_archE4294967295ELNS1_3gpuE0ELNS1_3repE0EEENS1_30default_config_static_selectorELNS0_4arch9wavefront6targetE1EEEvSM_
    .private_segment_fixed_size: 0
    .sgpr_count:     53
    .sgpr_spill_count: 0
    .symbol:         _ZN7rocprim17ROCPRIM_400000_NS6detail17trampoline_kernelINS0_14default_configENS1_22reduce_config_selectorIlEEZNS1_11reduce_implILb1ES3_PlS7_lN6hipcub16HIPCUB_304000_NS6detail34convert_binary_result_type_wrapperINS9_3SumENS9_22TransformInputIteratorIb7NonZeroIfEPflEElEEEE10hipError_tPvRmT1_T2_T3_mT4_P12ihipStream_tbEUlT_E1_NS1_11comp_targetILNS1_3genE0ELNS1_11target_archE4294967295ELNS1_3gpuE0ELNS1_3repE0EEENS1_30default_config_static_selectorELNS0_4arch9wavefront6targetE1EEEvSM_.kd
    .uniform_work_group_size: 1
    .uses_dynamic_stack: false
    .vgpr_count:     48
    .vgpr_spill_count: 0
    .wavefront_size: 64
  - .agpr_count:     0
    .args:
      - .offset:         0
        .size:           48
        .value_kind:     by_value
    .group_segment_fixed_size: 0
    .kernarg_segment_align: 8
    .kernarg_segment_size: 48
    .language:       OpenCL C
    .language_version:
      - 2
      - 0
    .max_flat_workgroup_size: 256
    .name:           _ZN7rocprim17ROCPRIM_400000_NS6detail17trampoline_kernelINS0_14default_configENS1_22reduce_config_selectorIlEEZNS1_11reduce_implILb1ES3_PlS7_lN6hipcub16HIPCUB_304000_NS6detail34convert_binary_result_type_wrapperINS9_3SumENS9_22TransformInputIteratorIb7NonZeroIfEPflEElEEEE10hipError_tPvRmT1_T2_T3_mT4_P12ihipStream_tbEUlT_E1_NS1_11comp_targetILNS1_3genE5ELNS1_11target_archE942ELNS1_3gpuE9ELNS1_3repE0EEENS1_30default_config_static_selectorELNS0_4arch9wavefront6targetE1EEEvSM_
    .private_segment_fixed_size: 0
    .sgpr_count:     6
    .sgpr_spill_count: 0
    .symbol:         _ZN7rocprim17ROCPRIM_400000_NS6detail17trampoline_kernelINS0_14default_configENS1_22reduce_config_selectorIlEEZNS1_11reduce_implILb1ES3_PlS7_lN6hipcub16HIPCUB_304000_NS6detail34convert_binary_result_type_wrapperINS9_3SumENS9_22TransformInputIteratorIb7NonZeroIfEPflEElEEEE10hipError_tPvRmT1_T2_T3_mT4_P12ihipStream_tbEUlT_E1_NS1_11comp_targetILNS1_3genE5ELNS1_11target_archE942ELNS1_3gpuE9ELNS1_3repE0EEENS1_30default_config_static_selectorELNS0_4arch9wavefront6targetE1EEEvSM_.kd
    .uniform_work_group_size: 1
    .uses_dynamic_stack: false
    .vgpr_count:     0
    .vgpr_spill_count: 0
    .wavefront_size: 64
  - .agpr_count:     0
    .args:
      - .offset:         0
        .size:           48
        .value_kind:     by_value
    .group_segment_fixed_size: 0
    .kernarg_segment_align: 8
    .kernarg_segment_size: 48
    .language:       OpenCL C
    .language_version:
      - 2
      - 0
    .max_flat_workgroup_size: 256
    .name:           _ZN7rocprim17ROCPRIM_400000_NS6detail17trampoline_kernelINS0_14default_configENS1_22reduce_config_selectorIlEEZNS1_11reduce_implILb1ES3_PlS7_lN6hipcub16HIPCUB_304000_NS6detail34convert_binary_result_type_wrapperINS9_3SumENS9_22TransformInputIteratorIb7NonZeroIfEPflEElEEEE10hipError_tPvRmT1_T2_T3_mT4_P12ihipStream_tbEUlT_E1_NS1_11comp_targetILNS1_3genE4ELNS1_11target_archE910ELNS1_3gpuE8ELNS1_3repE0EEENS1_30default_config_static_selectorELNS0_4arch9wavefront6targetE1EEEvSM_
    .private_segment_fixed_size: 0
    .sgpr_count:     6
    .sgpr_spill_count: 0
    .symbol:         _ZN7rocprim17ROCPRIM_400000_NS6detail17trampoline_kernelINS0_14default_configENS1_22reduce_config_selectorIlEEZNS1_11reduce_implILb1ES3_PlS7_lN6hipcub16HIPCUB_304000_NS6detail34convert_binary_result_type_wrapperINS9_3SumENS9_22TransformInputIteratorIb7NonZeroIfEPflEElEEEE10hipError_tPvRmT1_T2_T3_mT4_P12ihipStream_tbEUlT_E1_NS1_11comp_targetILNS1_3genE4ELNS1_11target_archE910ELNS1_3gpuE8ELNS1_3repE0EEENS1_30default_config_static_selectorELNS0_4arch9wavefront6targetE1EEEvSM_.kd
    .uniform_work_group_size: 1
    .uses_dynamic_stack: false
    .vgpr_count:     0
    .vgpr_spill_count: 0
    .wavefront_size: 64
  - .agpr_count:     0
    .args:
      - .offset:         0
        .size:           48
        .value_kind:     by_value
    .group_segment_fixed_size: 0
    .kernarg_segment_align: 8
    .kernarg_segment_size: 48
    .language:       OpenCL C
    .language_version:
      - 2
      - 0
    .max_flat_workgroup_size: 256
    .name:           _ZN7rocprim17ROCPRIM_400000_NS6detail17trampoline_kernelINS0_14default_configENS1_22reduce_config_selectorIlEEZNS1_11reduce_implILb1ES3_PlS7_lN6hipcub16HIPCUB_304000_NS6detail34convert_binary_result_type_wrapperINS9_3SumENS9_22TransformInputIteratorIb7NonZeroIfEPflEElEEEE10hipError_tPvRmT1_T2_T3_mT4_P12ihipStream_tbEUlT_E1_NS1_11comp_targetILNS1_3genE3ELNS1_11target_archE908ELNS1_3gpuE7ELNS1_3repE0EEENS1_30default_config_static_selectorELNS0_4arch9wavefront6targetE1EEEvSM_
    .private_segment_fixed_size: 0
    .sgpr_count:     6
    .sgpr_spill_count: 0
    .symbol:         _ZN7rocprim17ROCPRIM_400000_NS6detail17trampoline_kernelINS0_14default_configENS1_22reduce_config_selectorIlEEZNS1_11reduce_implILb1ES3_PlS7_lN6hipcub16HIPCUB_304000_NS6detail34convert_binary_result_type_wrapperINS9_3SumENS9_22TransformInputIteratorIb7NonZeroIfEPflEElEEEE10hipError_tPvRmT1_T2_T3_mT4_P12ihipStream_tbEUlT_E1_NS1_11comp_targetILNS1_3genE3ELNS1_11target_archE908ELNS1_3gpuE7ELNS1_3repE0EEENS1_30default_config_static_selectorELNS0_4arch9wavefront6targetE1EEEvSM_.kd
    .uniform_work_group_size: 1
    .uses_dynamic_stack: false
    .vgpr_count:     0
    .vgpr_spill_count: 0
    .wavefront_size: 64
  - .agpr_count:     0
    .args:
      - .offset:         0
        .size:           48
        .value_kind:     by_value
    .group_segment_fixed_size: 0
    .kernarg_segment_align: 8
    .kernarg_segment_size: 48
    .language:       OpenCL C
    .language_version:
      - 2
      - 0
    .max_flat_workgroup_size: 256
    .name:           _ZN7rocprim17ROCPRIM_400000_NS6detail17trampoline_kernelINS0_14default_configENS1_22reduce_config_selectorIlEEZNS1_11reduce_implILb1ES3_PlS7_lN6hipcub16HIPCUB_304000_NS6detail34convert_binary_result_type_wrapperINS9_3SumENS9_22TransformInputIteratorIb7NonZeroIfEPflEElEEEE10hipError_tPvRmT1_T2_T3_mT4_P12ihipStream_tbEUlT_E1_NS1_11comp_targetILNS1_3genE2ELNS1_11target_archE906ELNS1_3gpuE6ELNS1_3repE0EEENS1_30default_config_static_selectorELNS0_4arch9wavefront6targetE1EEEvSM_
    .private_segment_fixed_size: 0
    .sgpr_count:     6
    .sgpr_spill_count: 0
    .symbol:         _ZN7rocprim17ROCPRIM_400000_NS6detail17trampoline_kernelINS0_14default_configENS1_22reduce_config_selectorIlEEZNS1_11reduce_implILb1ES3_PlS7_lN6hipcub16HIPCUB_304000_NS6detail34convert_binary_result_type_wrapperINS9_3SumENS9_22TransformInputIteratorIb7NonZeroIfEPflEElEEEE10hipError_tPvRmT1_T2_T3_mT4_P12ihipStream_tbEUlT_E1_NS1_11comp_targetILNS1_3genE2ELNS1_11target_archE906ELNS1_3gpuE6ELNS1_3repE0EEENS1_30default_config_static_selectorELNS0_4arch9wavefront6targetE1EEEvSM_.kd
    .uniform_work_group_size: 1
    .uses_dynamic_stack: false
    .vgpr_count:     0
    .vgpr_spill_count: 0
    .wavefront_size: 64
  - .agpr_count:     0
    .args:
      - .offset:         0
        .size:           48
        .value_kind:     by_value
    .group_segment_fixed_size: 0
    .kernarg_segment_align: 8
    .kernarg_segment_size: 48
    .language:       OpenCL C
    .language_version:
      - 2
      - 0
    .max_flat_workgroup_size: 256
    .name:           _ZN7rocprim17ROCPRIM_400000_NS6detail17trampoline_kernelINS0_14default_configENS1_22reduce_config_selectorIlEEZNS1_11reduce_implILb1ES3_PlS7_lN6hipcub16HIPCUB_304000_NS6detail34convert_binary_result_type_wrapperINS9_3SumENS9_22TransformInputIteratorIb7NonZeroIfEPflEElEEEE10hipError_tPvRmT1_T2_T3_mT4_P12ihipStream_tbEUlT_E1_NS1_11comp_targetILNS1_3genE10ELNS1_11target_archE1201ELNS1_3gpuE5ELNS1_3repE0EEENS1_30default_config_static_selectorELNS0_4arch9wavefront6targetE1EEEvSM_
    .private_segment_fixed_size: 0
    .sgpr_count:     6
    .sgpr_spill_count: 0
    .symbol:         _ZN7rocprim17ROCPRIM_400000_NS6detail17trampoline_kernelINS0_14default_configENS1_22reduce_config_selectorIlEEZNS1_11reduce_implILb1ES3_PlS7_lN6hipcub16HIPCUB_304000_NS6detail34convert_binary_result_type_wrapperINS9_3SumENS9_22TransformInputIteratorIb7NonZeroIfEPflEElEEEE10hipError_tPvRmT1_T2_T3_mT4_P12ihipStream_tbEUlT_E1_NS1_11comp_targetILNS1_3genE10ELNS1_11target_archE1201ELNS1_3gpuE5ELNS1_3repE0EEENS1_30default_config_static_selectorELNS0_4arch9wavefront6targetE1EEEvSM_.kd
    .uniform_work_group_size: 1
    .uses_dynamic_stack: false
    .vgpr_count:     0
    .vgpr_spill_count: 0
    .wavefront_size: 64
  - .agpr_count:     0
    .args:
      - .offset:         0
        .size:           48
        .value_kind:     by_value
    .group_segment_fixed_size: 0
    .kernarg_segment_align: 8
    .kernarg_segment_size: 48
    .language:       OpenCL C
    .language_version:
      - 2
      - 0
    .max_flat_workgroup_size: 256
    .name:           _ZN7rocprim17ROCPRIM_400000_NS6detail17trampoline_kernelINS0_14default_configENS1_22reduce_config_selectorIlEEZNS1_11reduce_implILb1ES3_PlS7_lN6hipcub16HIPCUB_304000_NS6detail34convert_binary_result_type_wrapperINS9_3SumENS9_22TransformInputIteratorIb7NonZeroIfEPflEElEEEE10hipError_tPvRmT1_T2_T3_mT4_P12ihipStream_tbEUlT_E1_NS1_11comp_targetILNS1_3genE10ELNS1_11target_archE1200ELNS1_3gpuE4ELNS1_3repE0EEENS1_30default_config_static_selectorELNS0_4arch9wavefront6targetE1EEEvSM_
    .private_segment_fixed_size: 0
    .sgpr_count:     6
    .sgpr_spill_count: 0
    .symbol:         _ZN7rocprim17ROCPRIM_400000_NS6detail17trampoline_kernelINS0_14default_configENS1_22reduce_config_selectorIlEEZNS1_11reduce_implILb1ES3_PlS7_lN6hipcub16HIPCUB_304000_NS6detail34convert_binary_result_type_wrapperINS9_3SumENS9_22TransformInputIteratorIb7NonZeroIfEPflEElEEEE10hipError_tPvRmT1_T2_T3_mT4_P12ihipStream_tbEUlT_E1_NS1_11comp_targetILNS1_3genE10ELNS1_11target_archE1200ELNS1_3gpuE4ELNS1_3repE0EEENS1_30default_config_static_selectorELNS0_4arch9wavefront6targetE1EEEvSM_.kd
    .uniform_work_group_size: 1
    .uses_dynamic_stack: false
    .vgpr_count:     0
    .vgpr_spill_count: 0
    .wavefront_size: 64
  - .agpr_count:     0
    .args:
      - .offset:         0
        .size:           48
        .value_kind:     by_value
    .group_segment_fixed_size: 0
    .kernarg_segment_align: 8
    .kernarg_segment_size: 48
    .language:       OpenCL C
    .language_version:
      - 2
      - 0
    .max_flat_workgroup_size: 256
    .name:           _ZN7rocprim17ROCPRIM_400000_NS6detail17trampoline_kernelINS0_14default_configENS1_22reduce_config_selectorIlEEZNS1_11reduce_implILb1ES3_PlS7_lN6hipcub16HIPCUB_304000_NS6detail34convert_binary_result_type_wrapperINS9_3SumENS9_22TransformInputIteratorIb7NonZeroIfEPflEElEEEE10hipError_tPvRmT1_T2_T3_mT4_P12ihipStream_tbEUlT_E1_NS1_11comp_targetILNS1_3genE9ELNS1_11target_archE1100ELNS1_3gpuE3ELNS1_3repE0EEENS1_30default_config_static_selectorELNS0_4arch9wavefront6targetE1EEEvSM_
    .private_segment_fixed_size: 0
    .sgpr_count:     6
    .sgpr_spill_count: 0
    .symbol:         _ZN7rocprim17ROCPRIM_400000_NS6detail17trampoline_kernelINS0_14default_configENS1_22reduce_config_selectorIlEEZNS1_11reduce_implILb1ES3_PlS7_lN6hipcub16HIPCUB_304000_NS6detail34convert_binary_result_type_wrapperINS9_3SumENS9_22TransformInputIteratorIb7NonZeroIfEPflEElEEEE10hipError_tPvRmT1_T2_T3_mT4_P12ihipStream_tbEUlT_E1_NS1_11comp_targetILNS1_3genE9ELNS1_11target_archE1100ELNS1_3gpuE3ELNS1_3repE0EEENS1_30default_config_static_selectorELNS0_4arch9wavefront6targetE1EEEvSM_.kd
    .uniform_work_group_size: 1
    .uses_dynamic_stack: false
    .vgpr_count:     0
    .vgpr_spill_count: 0
    .wavefront_size: 64
  - .agpr_count:     0
    .args:
      - .offset:         0
        .size:           48
        .value_kind:     by_value
    .group_segment_fixed_size: 0
    .kernarg_segment_align: 8
    .kernarg_segment_size: 48
    .language:       OpenCL C
    .language_version:
      - 2
      - 0
    .max_flat_workgroup_size: 256
    .name:           _ZN7rocprim17ROCPRIM_400000_NS6detail17trampoline_kernelINS0_14default_configENS1_22reduce_config_selectorIlEEZNS1_11reduce_implILb1ES3_PlS7_lN6hipcub16HIPCUB_304000_NS6detail34convert_binary_result_type_wrapperINS9_3SumENS9_22TransformInputIteratorIb7NonZeroIfEPflEElEEEE10hipError_tPvRmT1_T2_T3_mT4_P12ihipStream_tbEUlT_E1_NS1_11comp_targetILNS1_3genE8ELNS1_11target_archE1030ELNS1_3gpuE2ELNS1_3repE0EEENS1_30default_config_static_selectorELNS0_4arch9wavefront6targetE1EEEvSM_
    .private_segment_fixed_size: 0
    .sgpr_count:     6
    .sgpr_spill_count: 0
    .symbol:         _ZN7rocprim17ROCPRIM_400000_NS6detail17trampoline_kernelINS0_14default_configENS1_22reduce_config_selectorIlEEZNS1_11reduce_implILb1ES3_PlS7_lN6hipcub16HIPCUB_304000_NS6detail34convert_binary_result_type_wrapperINS9_3SumENS9_22TransformInputIteratorIb7NonZeroIfEPflEElEEEE10hipError_tPvRmT1_T2_T3_mT4_P12ihipStream_tbEUlT_E1_NS1_11comp_targetILNS1_3genE8ELNS1_11target_archE1030ELNS1_3gpuE2ELNS1_3repE0EEENS1_30default_config_static_selectorELNS0_4arch9wavefront6targetE1EEEvSM_.kd
    .uniform_work_group_size: 1
    .uses_dynamic_stack: false
    .vgpr_count:     0
    .vgpr_spill_count: 0
    .wavefront_size: 64
  - .agpr_count:     0
    .args:
      - .offset:         0
        .size:           72
        .value_kind:     by_value
    .group_segment_fixed_size: 64
    .kernarg_segment_align: 8
    .kernarg_segment_size: 72
    .language:       OpenCL C
    .language_version:
      - 2
      - 0
    .max_flat_workgroup_size: 256
    .name:           _ZN7rocprim17ROCPRIM_400000_NS6detail17trampoline_kernelINS0_14default_configENS1_22reduce_config_selectorIbEEZNS1_11reduce_implILb1ES3_N6hipcub16HIPCUB_304000_NS22TransformInputIteratorIb7NonZeroIfEPflEEPllNS8_6detail34convert_binary_result_type_wrapperINS8_3SumESD_lEEEE10hipError_tPvRmT1_T2_T3_mT4_P12ihipStream_tbEUlT_E0_NS1_11comp_targetILNS1_3genE0ELNS1_11target_archE4294967295ELNS1_3gpuE0ELNS1_3repE0EEENS1_30default_config_static_selectorELNS0_4arch9wavefront6targetE1EEEvSM_
    .private_segment_fixed_size: 0
    .sgpr_count:     54
    .sgpr_spill_count: 0
    .symbol:         _ZN7rocprim17ROCPRIM_400000_NS6detail17trampoline_kernelINS0_14default_configENS1_22reduce_config_selectorIbEEZNS1_11reduce_implILb1ES3_N6hipcub16HIPCUB_304000_NS22TransformInputIteratorIb7NonZeroIfEPflEEPllNS8_6detail34convert_binary_result_type_wrapperINS8_3SumESD_lEEEE10hipError_tPvRmT1_T2_T3_mT4_P12ihipStream_tbEUlT_E0_NS1_11comp_targetILNS1_3genE0ELNS1_11target_archE4294967295ELNS1_3gpuE0ELNS1_3repE0EEENS1_30default_config_static_selectorELNS0_4arch9wavefront6targetE1EEEvSM_.kd
    .uniform_work_group_size: 1
    .uses_dynamic_stack: false
    .vgpr_count:     43
    .vgpr_spill_count: 0
    .wavefront_size: 64
  - .agpr_count:     0
    .args:
      - .offset:         0
        .size:           72
        .value_kind:     by_value
    .group_segment_fixed_size: 0
    .kernarg_segment_align: 8
    .kernarg_segment_size: 72
    .language:       OpenCL C
    .language_version:
      - 2
      - 0
    .max_flat_workgroup_size: 256
    .name:           _ZN7rocprim17ROCPRIM_400000_NS6detail17trampoline_kernelINS0_14default_configENS1_22reduce_config_selectorIbEEZNS1_11reduce_implILb1ES3_N6hipcub16HIPCUB_304000_NS22TransformInputIteratorIb7NonZeroIfEPflEEPllNS8_6detail34convert_binary_result_type_wrapperINS8_3SumESD_lEEEE10hipError_tPvRmT1_T2_T3_mT4_P12ihipStream_tbEUlT_E0_NS1_11comp_targetILNS1_3genE5ELNS1_11target_archE942ELNS1_3gpuE9ELNS1_3repE0EEENS1_30default_config_static_selectorELNS0_4arch9wavefront6targetE1EEEvSM_
    .private_segment_fixed_size: 0
    .sgpr_count:     6
    .sgpr_spill_count: 0
    .symbol:         _ZN7rocprim17ROCPRIM_400000_NS6detail17trampoline_kernelINS0_14default_configENS1_22reduce_config_selectorIbEEZNS1_11reduce_implILb1ES3_N6hipcub16HIPCUB_304000_NS22TransformInputIteratorIb7NonZeroIfEPflEEPllNS8_6detail34convert_binary_result_type_wrapperINS8_3SumESD_lEEEE10hipError_tPvRmT1_T2_T3_mT4_P12ihipStream_tbEUlT_E0_NS1_11comp_targetILNS1_3genE5ELNS1_11target_archE942ELNS1_3gpuE9ELNS1_3repE0EEENS1_30default_config_static_selectorELNS0_4arch9wavefront6targetE1EEEvSM_.kd
    .uniform_work_group_size: 1
    .uses_dynamic_stack: false
    .vgpr_count:     0
    .vgpr_spill_count: 0
    .wavefront_size: 64
  - .agpr_count:     0
    .args:
      - .offset:         0
        .size:           72
        .value_kind:     by_value
    .group_segment_fixed_size: 0
    .kernarg_segment_align: 8
    .kernarg_segment_size: 72
    .language:       OpenCL C
    .language_version:
      - 2
      - 0
    .max_flat_workgroup_size: 128
    .name:           _ZN7rocprim17ROCPRIM_400000_NS6detail17trampoline_kernelINS0_14default_configENS1_22reduce_config_selectorIbEEZNS1_11reduce_implILb1ES3_N6hipcub16HIPCUB_304000_NS22TransformInputIteratorIb7NonZeroIfEPflEEPllNS8_6detail34convert_binary_result_type_wrapperINS8_3SumESD_lEEEE10hipError_tPvRmT1_T2_T3_mT4_P12ihipStream_tbEUlT_E0_NS1_11comp_targetILNS1_3genE4ELNS1_11target_archE910ELNS1_3gpuE8ELNS1_3repE0EEENS1_30default_config_static_selectorELNS0_4arch9wavefront6targetE1EEEvSM_
    .private_segment_fixed_size: 0
    .sgpr_count:     6
    .sgpr_spill_count: 0
    .symbol:         _ZN7rocprim17ROCPRIM_400000_NS6detail17trampoline_kernelINS0_14default_configENS1_22reduce_config_selectorIbEEZNS1_11reduce_implILb1ES3_N6hipcub16HIPCUB_304000_NS22TransformInputIteratorIb7NonZeroIfEPflEEPllNS8_6detail34convert_binary_result_type_wrapperINS8_3SumESD_lEEEE10hipError_tPvRmT1_T2_T3_mT4_P12ihipStream_tbEUlT_E0_NS1_11comp_targetILNS1_3genE4ELNS1_11target_archE910ELNS1_3gpuE8ELNS1_3repE0EEENS1_30default_config_static_selectorELNS0_4arch9wavefront6targetE1EEEvSM_.kd
    .uniform_work_group_size: 1
    .uses_dynamic_stack: false
    .vgpr_count:     0
    .vgpr_spill_count: 0
    .wavefront_size: 64
  - .agpr_count:     0
    .args:
      - .offset:         0
        .size:           72
        .value_kind:     by_value
    .group_segment_fixed_size: 0
    .kernarg_segment_align: 8
    .kernarg_segment_size: 72
    .language:       OpenCL C
    .language_version:
      - 2
      - 0
    .max_flat_workgroup_size: 256
    .name:           _ZN7rocprim17ROCPRIM_400000_NS6detail17trampoline_kernelINS0_14default_configENS1_22reduce_config_selectorIbEEZNS1_11reduce_implILb1ES3_N6hipcub16HIPCUB_304000_NS22TransformInputIteratorIb7NonZeroIfEPflEEPllNS8_6detail34convert_binary_result_type_wrapperINS8_3SumESD_lEEEE10hipError_tPvRmT1_T2_T3_mT4_P12ihipStream_tbEUlT_E0_NS1_11comp_targetILNS1_3genE3ELNS1_11target_archE908ELNS1_3gpuE7ELNS1_3repE0EEENS1_30default_config_static_selectorELNS0_4arch9wavefront6targetE1EEEvSM_
    .private_segment_fixed_size: 0
    .sgpr_count:     6
    .sgpr_spill_count: 0
    .symbol:         _ZN7rocprim17ROCPRIM_400000_NS6detail17trampoline_kernelINS0_14default_configENS1_22reduce_config_selectorIbEEZNS1_11reduce_implILb1ES3_N6hipcub16HIPCUB_304000_NS22TransformInputIteratorIb7NonZeroIfEPflEEPllNS8_6detail34convert_binary_result_type_wrapperINS8_3SumESD_lEEEE10hipError_tPvRmT1_T2_T3_mT4_P12ihipStream_tbEUlT_E0_NS1_11comp_targetILNS1_3genE3ELNS1_11target_archE908ELNS1_3gpuE7ELNS1_3repE0EEENS1_30default_config_static_selectorELNS0_4arch9wavefront6targetE1EEEvSM_.kd
    .uniform_work_group_size: 1
    .uses_dynamic_stack: false
    .vgpr_count:     0
    .vgpr_spill_count: 0
    .wavefront_size: 64
  - .agpr_count:     0
    .args:
      - .offset:         0
        .size:           72
        .value_kind:     by_value
    .group_segment_fixed_size: 0
    .kernarg_segment_align: 8
    .kernarg_segment_size: 72
    .language:       OpenCL C
    .language_version:
      - 2
      - 0
    .max_flat_workgroup_size: 128
    .name:           _ZN7rocprim17ROCPRIM_400000_NS6detail17trampoline_kernelINS0_14default_configENS1_22reduce_config_selectorIbEEZNS1_11reduce_implILb1ES3_N6hipcub16HIPCUB_304000_NS22TransformInputIteratorIb7NonZeroIfEPflEEPllNS8_6detail34convert_binary_result_type_wrapperINS8_3SumESD_lEEEE10hipError_tPvRmT1_T2_T3_mT4_P12ihipStream_tbEUlT_E0_NS1_11comp_targetILNS1_3genE2ELNS1_11target_archE906ELNS1_3gpuE6ELNS1_3repE0EEENS1_30default_config_static_selectorELNS0_4arch9wavefront6targetE1EEEvSM_
    .private_segment_fixed_size: 0
    .sgpr_count:     6
    .sgpr_spill_count: 0
    .symbol:         _ZN7rocprim17ROCPRIM_400000_NS6detail17trampoline_kernelINS0_14default_configENS1_22reduce_config_selectorIbEEZNS1_11reduce_implILb1ES3_N6hipcub16HIPCUB_304000_NS22TransformInputIteratorIb7NonZeroIfEPflEEPllNS8_6detail34convert_binary_result_type_wrapperINS8_3SumESD_lEEEE10hipError_tPvRmT1_T2_T3_mT4_P12ihipStream_tbEUlT_E0_NS1_11comp_targetILNS1_3genE2ELNS1_11target_archE906ELNS1_3gpuE6ELNS1_3repE0EEENS1_30default_config_static_selectorELNS0_4arch9wavefront6targetE1EEEvSM_.kd
    .uniform_work_group_size: 1
    .uses_dynamic_stack: false
    .vgpr_count:     0
    .vgpr_spill_count: 0
    .wavefront_size: 64
  - .agpr_count:     0
    .args:
      - .offset:         0
        .size:           72
        .value_kind:     by_value
    .group_segment_fixed_size: 0
    .kernarg_segment_align: 8
    .kernarg_segment_size: 72
    .language:       OpenCL C
    .language_version:
      - 2
      - 0
    .max_flat_workgroup_size: 256
    .name:           _ZN7rocprim17ROCPRIM_400000_NS6detail17trampoline_kernelINS0_14default_configENS1_22reduce_config_selectorIbEEZNS1_11reduce_implILb1ES3_N6hipcub16HIPCUB_304000_NS22TransformInputIteratorIb7NonZeroIfEPflEEPllNS8_6detail34convert_binary_result_type_wrapperINS8_3SumESD_lEEEE10hipError_tPvRmT1_T2_T3_mT4_P12ihipStream_tbEUlT_E0_NS1_11comp_targetILNS1_3genE10ELNS1_11target_archE1201ELNS1_3gpuE5ELNS1_3repE0EEENS1_30default_config_static_selectorELNS0_4arch9wavefront6targetE1EEEvSM_
    .private_segment_fixed_size: 0
    .sgpr_count:     6
    .sgpr_spill_count: 0
    .symbol:         _ZN7rocprim17ROCPRIM_400000_NS6detail17trampoline_kernelINS0_14default_configENS1_22reduce_config_selectorIbEEZNS1_11reduce_implILb1ES3_N6hipcub16HIPCUB_304000_NS22TransformInputIteratorIb7NonZeroIfEPflEEPllNS8_6detail34convert_binary_result_type_wrapperINS8_3SumESD_lEEEE10hipError_tPvRmT1_T2_T3_mT4_P12ihipStream_tbEUlT_E0_NS1_11comp_targetILNS1_3genE10ELNS1_11target_archE1201ELNS1_3gpuE5ELNS1_3repE0EEENS1_30default_config_static_selectorELNS0_4arch9wavefront6targetE1EEEvSM_.kd
    .uniform_work_group_size: 1
    .uses_dynamic_stack: false
    .vgpr_count:     0
    .vgpr_spill_count: 0
    .wavefront_size: 64
  - .agpr_count:     0
    .args:
      - .offset:         0
        .size:           72
        .value_kind:     by_value
    .group_segment_fixed_size: 0
    .kernarg_segment_align: 8
    .kernarg_segment_size: 72
    .language:       OpenCL C
    .language_version:
      - 2
      - 0
    .max_flat_workgroup_size: 256
    .name:           _ZN7rocprim17ROCPRIM_400000_NS6detail17trampoline_kernelINS0_14default_configENS1_22reduce_config_selectorIbEEZNS1_11reduce_implILb1ES3_N6hipcub16HIPCUB_304000_NS22TransformInputIteratorIb7NonZeroIfEPflEEPllNS8_6detail34convert_binary_result_type_wrapperINS8_3SumESD_lEEEE10hipError_tPvRmT1_T2_T3_mT4_P12ihipStream_tbEUlT_E0_NS1_11comp_targetILNS1_3genE10ELNS1_11target_archE1200ELNS1_3gpuE4ELNS1_3repE0EEENS1_30default_config_static_selectorELNS0_4arch9wavefront6targetE1EEEvSM_
    .private_segment_fixed_size: 0
    .sgpr_count:     6
    .sgpr_spill_count: 0
    .symbol:         _ZN7rocprim17ROCPRIM_400000_NS6detail17trampoline_kernelINS0_14default_configENS1_22reduce_config_selectorIbEEZNS1_11reduce_implILb1ES3_N6hipcub16HIPCUB_304000_NS22TransformInputIteratorIb7NonZeroIfEPflEEPllNS8_6detail34convert_binary_result_type_wrapperINS8_3SumESD_lEEEE10hipError_tPvRmT1_T2_T3_mT4_P12ihipStream_tbEUlT_E0_NS1_11comp_targetILNS1_3genE10ELNS1_11target_archE1200ELNS1_3gpuE4ELNS1_3repE0EEENS1_30default_config_static_selectorELNS0_4arch9wavefront6targetE1EEEvSM_.kd
    .uniform_work_group_size: 1
    .uses_dynamic_stack: false
    .vgpr_count:     0
    .vgpr_spill_count: 0
    .wavefront_size: 64
  - .agpr_count:     0
    .args:
      - .offset:         0
        .size:           72
        .value_kind:     by_value
    .group_segment_fixed_size: 0
    .kernarg_segment_align: 8
    .kernarg_segment_size: 72
    .language:       OpenCL C
    .language_version:
      - 2
      - 0
    .max_flat_workgroup_size: 128
    .name:           _ZN7rocprim17ROCPRIM_400000_NS6detail17trampoline_kernelINS0_14default_configENS1_22reduce_config_selectorIbEEZNS1_11reduce_implILb1ES3_N6hipcub16HIPCUB_304000_NS22TransformInputIteratorIb7NonZeroIfEPflEEPllNS8_6detail34convert_binary_result_type_wrapperINS8_3SumESD_lEEEE10hipError_tPvRmT1_T2_T3_mT4_P12ihipStream_tbEUlT_E0_NS1_11comp_targetILNS1_3genE9ELNS1_11target_archE1100ELNS1_3gpuE3ELNS1_3repE0EEENS1_30default_config_static_selectorELNS0_4arch9wavefront6targetE1EEEvSM_
    .private_segment_fixed_size: 0
    .sgpr_count:     6
    .sgpr_spill_count: 0
    .symbol:         _ZN7rocprim17ROCPRIM_400000_NS6detail17trampoline_kernelINS0_14default_configENS1_22reduce_config_selectorIbEEZNS1_11reduce_implILb1ES3_N6hipcub16HIPCUB_304000_NS22TransformInputIteratorIb7NonZeroIfEPflEEPllNS8_6detail34convert_binary_result_type_wrapperINS8_3SumESD_lEEEE10hipError_tPvRmT1_T2_T3_mT4_P12ihipStream_tbEUlT_E0_NS1_11comp_targetILNS1_3genE9ELNS1_11target_archE1100ELNS1_3gpuE3ELNS1_3repE0EEENS1_30default_config_static_selectorELNS0_4arch9wavefront6targetE1EEEvSM_.kd
    .uniform_work_group_size: 1
    .uses_dynamic_stack: false
    .vgpr_count:     0
    .vgpr_spill_count: 0
    .wavefront_size: 64
  - .agpr_count:     0
    .args:
      - .offset:         0
        .size:           72
        .value_kind:     by_value
    .group_segment_fixed_size: 0
    .kernarg_segment_align: 8
    .kernarg_segment_size: 72
    .language:       OpenCL C
    .language_version:
      - 2
      - 0
    .max_flat_workgroup_size: 256
    .name:           _ZN7rocprim17ROCPRIM_400000_NS6detail17trampoline_kernelINS0_14default_configENS1_22reduce_config_selectorIbEEZNS1_11reduce_implILb1ES3_N6hipcub16HIPCUB_304000_NS22TransformInputIteratorIb7NonZeroIfEPflEEPllNS8_6detail34convert_binary_result_type_wrapperINS8_3SumESD_lEEEE10hipError_tPvRmT1_T2_T3_mT4_P12ihipStream_tbEUlT_E0_NS1_11comp_targetILNS1_3genE8ELNS1_11target_archE1030ELNS1_3gpuE2ELNS1_3repE0EEENS1_30default_config_static_selectorELNS0_4arch9wavefront6targetE1EEEvSM_
    .private_segment_fixed_size: 0
    .sgpr_count:     6
    .sgpr_spill_count: 0
    .symbol:         _ZN7rocprim17ROCPRIM_400000_NS6detail17trampoline_kernelINS0_14default_configENS1_22reduce_config_selectorIbEEZNS1_11reduce_implILb1ES3_N6hipcub16HIPCUB_304000_NS22TransformInputIteratorIb7NonZeroIfEPflEEPllNS8_6detail34convert_binary_result_type_wrapperINS8_3SumESD_lEEEE10hipError_tPvRmT1_T2_T3_mT4_P12ihipStream_tbEUlT_E0_NS1_11comp_targetILNS1_3genE8ELNS1_11target_archE1030ELNS1_3gpuE2ELNS1_3repE0EEENS1_30default_config_static_selectorELNS0_4arch9wavefront6targetE1EEEvSM_.kd
    .uniform_work_group_size: 1
    .uses_dynamic_stack: false
    .vgpr_count:     0
    .vgpr_spill_count: 0
    .wavefront_size: 64
  - .agpr_count:     4
    .args:
      - .offset:         0
        .size:           56
        .value_kind:     by_value
    .group_segment_fixed_size: 288
    .kernarg_segment_align: 8
    .kernarg_segment_size: 56
    .language:       OpenCL C
    .language_version:
      - 2
      - 0
    .max_flat_workgroup_size: 256
    .name:           _ZN7rocprim17ROCPRIM_400000_NS6detail17trampoline_kernelINS0_14default_configENS1_22reduce_config_selectorIbEEZNS1_11reduce_implILb1ES3_N6hipcub16HIPCUB_304000_NS22TransformInputIteratorIb7NonZeroIfEPflEEPllNS8_6detail34convert_binary_result_type_wrapperINS8_3SumESD_lEEEE10hipError_tPvRmT1_T2_T3_mT4_P12ihipStream_tbEUlT_E1_NS1_11comp_targetILNS1_3genE0ELNS1_11target_archE4294967295ELNS1_3gpuE0ELNS1_3repE0EEENS1_30default_config_static_selectorELNS0_4arch9wavefront6targetE1EEEvSM_
    .private_segment_fixed_size: 0
    .sgpr_count:     52
    .sgpr_spill_count: 0
    .symbol:         _ZN7rocprim17ROCPRIM_400000_NS6detail17trampoline_kernelINS0_14default_configENS1_22reduce_config_selectorIbEEZNS1_11reduce_implILb1ES3_N6hipcub16HIPCUB_304000_NS22TransformInputIteratorIb7NonZeroIfEPflEEPllNS8_6detail34convert_binary_result_type_wrapperINS8_3SumESD_lEEEE10hipError_tPvRmT1_T2_T3_mT4_P12ihipStream_tbEUlT_E1_NS1_11comp_targetILNS1_3genE0ELNS1_11target_archE4294967295ELNS1_3gpuE0ELNS1_3repE0EEENS1_30default_config_static_selectorELNS0_4arch9wavefront6targetE1EEEvSM_.kd
    .uniform_work_group_size: 1
    .uses_dynamic_stack: false
    .vgpr_count:     260
    .vgpr_spill_count: 0
    .wavefront_size: 64
  - .agpr_count:     0
    .args:
      - .offset:         0
        .size:           56
        .value_kind:     by_value
    .group_segment_fixed_size: 0
    .kernarg_segment_align: 8
    .kernarg_segment_size: 56
    .language:       OpenCL C
    .language_version:
      - 2
      - 0
    .max_flat_workgroup_size: 256
    .name:           _ZN7rocprim17ROCPRIM_400000_NS6detail17trampoline_kernelINS0_14default_configENS1_22reduce_config_selectorIbEEZNS1_11reduce_implILb1ES3_N6hipcub16HIPCUB_304000_NS22TransformInputIteratorIb7NonZeroIfEPflEEPllNS8_6detail34convert_binary_result_type_wrapperINS8_3SumESD_lEEEE10hipError_tPvRmT1_T2_T3_mT4_P12ihipStream_tbEUlT_E1_NS1_11comp_targetILNS1_3genE5ELNS1_11target_archE942ELNS1_3gpuE9ELNS1_3repE0EEENS1_30default_config_static_selectorELNS0_4arch9wavefront6targetE1EEEvSM_
    .private_segment_fixed_size: 0
    .sgpr_count:     6
    .sgpr_spill_count: 0
    .symbol:         _ZN7rocprim17ROCPRIM_400000_NS6detail17trampoline_kernelINS0_14default_configENS1_22reduce_config_selectorIbEEZNS1_11reduce_implILb1ES3_N6hipcub16HIPCUB_304000_NS22TransformInputIteratorIb7NonZeroIfEPflEEPllNS8_6detail34convert_binary_result_type_wrapperINS8_3SumESD_lEEEE10hipError_tPvRmT1_T2_T3_mT4_P12ihipStream_tbEUlT_E1_NS1_11comp_targetILNS1_3genE5ELNS1_11target_archE942ELNS1_3gpuE9ELNS1_3repE0EEENS1_30default_config_static_selectorELNS0_4arch9wavefront6targetE1EEEvSM_.kd
    .uniform_work_group_size: 1
    .uses_dynamic_stack: false
    .vgpr_count:     0
    .vgpr_spill_count: 0
    .wavefront_size: 64
  - .agpr_count:     0
    .args:
      - .offset:         0
        .size:           56
        .value_kind:     by_value
    .group_segment_fixed_size: 0
    .kernarg_segment_align: 8
    .kernarg_segment_size: 56
    .language:       OpenCL C
    .language_version:
      - 2
      - 0
    .max_flat_workgroup_size: 128
    .name:           _ZN7rocprim17ROCPRIM_400000_NS6detail17trampoline_kernelINS0_14default_configENS1_22reduce_config_selectorIbEEZNS1_11reduce_implILb1ES3_N6hipcub16HIPCUB_304000_NS22TransformInputIteratorIb7NonZeroIfEPflEEPllNS8_6detail34convert_binary_result_type_wrapperINS8_3SumESD_lEEEE10hipError_tPvRmT1_T2_T3_mT4_P12ihipStream_tbEUlT_E1_NS1_11comp_targetILNS1_3genE4ELNS1_11target_archE910ELNS1_3gpuE8ELNS1_3repE0EEENS1_30default_config_static_selectorELNS0_4arch9wavefront6targetE1EEEvSM_
    .private_segment_fixed_size: 0
    .sgpr_count:     6
    .sgpr_spill_count: 0
    .symbol:         _ZN7rocprim17ROCPRIM_400000_NS6detail17trampoline_kernelINS0_14default_configENS1_22reduce_config_selectorIbEEZNS1_11reduce_implILb1ES3_N6hipcub16HIPCUB_304000_NS22TransformInputIteratorIb7NonZeroIfEPflEEPllNS8_6detail34convert_binary_result_type_wrapperINS8_3SumESD_lEEEE10hipError_tPvRmT1_T2_T3_mT4_P12ihipStream_tbEUlT_E1_NS1_11comp_targetILNS1_3genE4ELNS1_11target_archE910ELNS1_3gpuE8ELNS1_3repE0EEENS1_30default_config_static_selectorELNS0_4arch9wavefront6targetE1EEEvSM_.kd
    .uniform_work_group_size: 1
    .uses_dynamic_stack: false
    .vgpr_count:     0
    .vgpr_spill_count: 0
    .wavefront_size: 64
  - .agpr_count:     0
    .args:
      - .offset:         0
        .size:           56
        .value_kind:     by_value
    .group_segment_fixed_size: 0
    .kernarg_segment_align: 8
    .kernarg_segment_size: 56
    .language:       OpenCL C
    .language_version:
      - 2
      - 0
    .max_flat_workgroup_size: 256
    .name:           _ZN7rocprim17ROCPRIM_400000_NS6detail17trampoline_kernelINS0_14default_configENS1_22reduce_config_selectorIbEEZNS1_11reduce_implILb1ES3_N6hipcub16HIPCUB_304000_NS22TransformInputIteratorIb7NonZeroIfEPflEEPllNS8_6detail34convert_binary_result_type_wrapperINS8_3SumESD_lEEEE10hipError_tPvRmT1_T2_T3_mT4_P12ihipStream_tbEUlT_E1_NS1_11comp_targetILNS1_3genE3ELNS1_11target_archE908ELNS1_3gpuE7ELNS1_3repE0EEENS1_30default_config_static_selectorELNS0_4arch9wavefront6targetE1EEEvSM_
    .private_segment_fixed_size: 0
    .sgpr_count:     6
    .sgpr_spill_count: 0
    .symbol:         _ZN7rocprim17ROCPRIM_400000_NS6detail17trampoline_kernelINS0_14default_configENS1_22reduce_config_selectorIbEEZNS1_11reduce_implILb1ES3_N6hipcub16HIPCUB_304000_NS22TransformInputIteratorIb7NonZeroIfEPflEEPllNS8_6detail34convert_binary_result_type_wrapperINS8_3SumESD_lEEEE10hipError_tPvRmT1_T2_T3_mT4_P12ihipStream_tbEUlT_E1_NS1_11comp_targetILNS1_3genE3ELNS1_11target_archE908ELNS1_3gpuE7ELNS1_3repE0EEENS1_30default_config_static_selectorELNS0_4arch9wavefront6targetE1EEEvSM_.kd
    .uniform_work_group_size: 1
    .uses_dynamic_stack: false
    .vgpr_count:     0
    .vgpr_spill_count: 0
    .wavefront_size: 64
  - .agpr_count:     0
    .args:
      - .offset:         0
        .size:           56
        .value_kind:     by_value
    .group_segment_fixed_size: 0
    .kernarg_segment_align: 8
    .kernarg_segment_size: 56
    .language:       OpenCL C
    .language_version:
      - 2
      - 0
    .max_flat_workgroup_size: 128
    .name:           _ZN7rocprim17ROCPRIM_400000_NS6detail17trampoline_kernelINS0_14default_configENS1_22reduce_config_selectorIbEEZNS1_11reduce_implILb1ES3_N6hipcub16HIPCUB_304000_NS22TransformInputIteratorIb7NonZeroIfEPflEEPllNS8_6detail34convert_binary_result_type_wrapperINS8_3SumESD_lEEEE10hipError_tPvRmT1_T2_T3_mT4_P12ihipStream_tbEUlT_E1_NS1_11comp_targetILNS1_3genE2ELNS1_11target_archE906ELNS1_3gpuE6ELNS1_3repE0EEENS1_30default_config_static_selectorELNS0_4arch9wavefront6targetE1EEEvSM_
    .private_segment_fixed_size: 0
    .sgpr_count:     6
    .sgpr_spill_count: 0
    .symbol:         _ZN7rocprim17ROCPRIM_400000_NS6detail17trampoline_kernelINS0_14default_configENS1_22reduce_config_selectorIbEEZNS1_11reduce_implILb1ES3_N6hipcub16HIPCUB_304000_NS22TransformInputIteratorIb7NonZeroIfEPflEEPllNS8_6detail34convert_binary_result_type_wrapperINS8_3SumESD_lEEEE10hipError_tPvRmT1_T2_T3_mT4_P12ihipStream_tbEUlT_E1_NS1_11comp_targetILNS1_3genE2ELNS1_11target_archE906ELNS1_3gpuE6ELNS1_3repE0EEENS1_30default_config_static_selectorELNS0_4arch9wavefront6targetE1EEEvSM_.kd
    .uniform_work_group_size: 1
    .uses_dynamic_stack: false
    .vgpr_count:     0
    .vgpr_spill_count: 0
    .wavefront_size: 64
  - .agpr_count:     0
    .args:
      - .offset:         0
        .size:           56
        .value_kind:     by_value
    .group_segment_fixed_size: 0
    .kernarg_segment_align: 8
    .kernarg_segment_size: 56
    .language:       OpenCL C
    .language_version:
      - 2
      - 0
    .max_flat_workgroup_size: 256
    .name:           _ZN7rocprim17ROCPRIM_400000_NS6detail17trampoline_kernelINS0_14default_configENS1_22reduce_config_selectorIbEEZNS1_11reduce_implILb1ES3_N6hipcub16HIPCUB_304000_NS22TransformInputIteratorIb7NonZeroIfEPflEEPllNS8_6detail34convert_binary_result_type_wrapperINS8_3SumESD_lEEEE10hipError_tPvRmT1_T2_T3_mT4_P12ihipStream_tbEUlT_E1_NS1_11comp_targetILNS1_3genE10ELNS1_11target_archE1201ELNS1_3gpuE5ELNS1_3repE0EEENS1_30default_config_static_selectorELNS0_4arch9wavefront6targetE1EEEvSM_
    .private_segment_fixed_size: 0
    .sgpr_count:     6
    .sgpr_spill_count: 0
    .symbol:         _ZN7rocprim17ROCPRIM_400000_NS6detail17trampoline_kernelINS0_14default_configENS1_22reduce_config_selectorIbEEZNS1_11reduce_implILb1ES3_N6hipcub16HIPCUB_304000_NS22TransformInputIteratorIb7NonZeroIfEPflEEPllNS8_6detail34convert_binary_result_type_wrapperINS8_3SumESD_lEEEE10hipError_tPvRmT1_T2_T3_mT4_P12ihipStream_tbEUlT_E1_NS1_11comp_targetILNS1_3genE10ELNS1_11target_archE1201ELNS1_3gpuE5ELNS1_3repE0EEENS1_30default_config_static_selectorELNS0_4arch9wavefront6targetE1EEEvSM_.kd
    .uniform_work_group_size: 1
    .uses_dynamic_stack: false
    .vgpr_count:     0
    .vgpr_spill_count: 0
    .wavefront_size: 64
  - .agpr_count:     0
    .args:
      - .offset:         0
        .size:           56
        .value_kind:     by_value
    .group_segment_fixed_size: 0
    .kernarg_segment_align: 8
    .kernarg_segment_size: 56
    .language:       OpenCL C
    .language_version:
      - 2
      - 0
    .max_flat_workgroup_size: 256
    .name:           _ZN7rocprim17ROCPRIM_400000_NS6detail17trampoline_kernelINS0_14default_configENS1_22reduce_config_selectorIbEEZNS1_11reduce_implILb1ES3_N6hipcub16HIPCUB_304000_NS22TransformInputIteratorIb7NonZeroIfEPflEEPllNS8_6detail34convert_binary_result_type_wrapperINS8_3SumESD_lEEEE10hipError_tPvRmT1_T2_T3_mT4_P12ihipStream_tbEUlT_E1_NS1_11comp_targetILNS1_3genE10ELNS1_11target_archE1200ELNS1_3gpuE4ELNS1_3repE0EEENS1_30default_config_static_selectorELNS0_4arch9wavefront6targetE1EEEvSM_
    .private_segment_fixed_size: 0
    .sgpr_count:     6
    .sgpr_spill_count: 0
    .symbol:         _ZN7rocprim17ROCPRIM_400000_NS6detail17trampoline_kernelINS0_14default_configENS1_22reduce_config_selectorIbEEZNS1_11reduce_implILb1ES3_N6hipcub16HIPCUB_304000_NS22TransformInputIteratorIb7NonZeroIfEPflEEPllNS8_6detail34convert_binary_result_type_wrapperINS8_3SumESD_lEEEE10hipError_tPvRmT1_T2_T3_mT4_P12ihipStream_tbEUlT_E1_NS1_11comp_targetILNS1_3genE10ELNS1_11target_archE1200ELNS1_3gpuE4ELNS1_3repE0EEENS1_30default_config_static_selectorELNS0_4arch9wavefront6targetE1EEEvSM_.kd
    .uniform_work_group_size: 1
    .uses_dynamic_stack: false
    .vgpr_count:     0
    .vgpr_spill_count: 0
    .wavefront_size: 64
  - .agpr_count:     0
    .args:
      - .offset:         0
        .size:           56
        .value_kind:     by_value
    .group_segment_fixed_size: 0
    .kernarg_segment_align: 8
    .kernarg_segment_size: 56
    .language:       OpenCL C
    .language_version:
      - 2
      - 0
    .max_flat_workgroup_size: 128
    .name:           _ZN7rocprim17ROCPRIM_400000_NS6detail17trampoline_kernelINS0_14default_configENS1_22reduce_config_selectorIbEEZNS1_11reduce_implILb1ES3_N6hipcub16HIPCUB_304000_NS22TransformInputIteratorIb7NonZeroIfEPflEEPllNS8_6detail34convert_binary_result_type_wrapperINS8_3SumESD_lEEEE10hipError_tPvRmT1_T2_T3_mT4_P12ihipStream_tbEUlT_E1_NS1_11comp_targetILNS1_3genE9ELNS1_11target_archE1100ELNS1_3gpuE3ELNS1_3repE0EEENS1_30default_config_static_selectorELNS0_4arch9wavefront6targetE1EEEvSM_
    .private_segment_fixed_size: 0
    .sgpr_count:     6
    .sgpr_spill_count: 0
    .symbol:         _ZN7rocprim17ROCPRIM_400000_NS6detail17trampoline_kernelINS0_14default_configENS1_22reduce_config_selectorIbEEZNS1_11reduce_implILb1ES3_N6hipcub16HIPCUB_304000_NS22TransformInputIteratorIb7NonZeroIfEPflEEPllNS8_6detail34convert_binary_result_type_wrapperINS8_3SumESD_lEEEE10hipError_tPvRmT1_T2_T3_mT4_P12ihipStream_tbEUlT_E1_NS1_11comp_targetILNS1_3genE9ELNS1_11target_archE1100ELNS1_3gpuE3ELNS1_3repE0EEENS1_30default_config_static_selectorELNS0_4arch9wavefront6targetE1EEEvSM_.kd
    .uniform_work_group_size: 1
    .uses_dynamic_stack: false
    .vgpr_count:     0
    .vgpr_spill_count: 0
    .wavefront_size: 64
  - .agpr_count:     0
    .args:
      - .offset:         0
        .size:           56
        .value_kind:     by_value
    .group_segment_fixed_size: 0
    .kernarg_segment_align: 8
    .kernarg_segment_size: 56
    .language:       OpenCL C
    .language_version:
      - 2
      - 0
    .max_flat_workgroup_size: 256
    .name:           _ZN7rocprim17ROCPRIM_400000_NS6detail17trampoline_kernelINS0_14default_configENS1_22reduce_config_selectorIbEEZNS1_11reduce_implILb1ES3_N6hipcub16HIPCUB_304000_NS22TransformInputIteratorIb7NonZeroIfEPflEEPllNS8_6detail34convert_binary_result_type_wrapperINS8_3SumESD_lEEEE10hipError_tPvRmT1_T2_T3_mT4_P12ihipStream_tbEUlT_E1_NS1_11comp_targetILNS1_3genE8ELNS1_11target_archE1030ELNS1_3gpuE2ELNS1_3repE0EEENS1_30default_config_static_selectorELNS0_4arch9wavefront6targetE1EEEvSM_
    .private_segment_fixed_size: 0
    .sgpr_count:     6
    .sgpr_spill_count: 0
    .symbol:         _ZN7rocprim17ROCPRIM_400000_NS6detail17trampoline_kernelINS0_14default_configENS1_22reduce_config_selectorIbEEZNS1_11reduce_implILb1ES3_N6hipcub16HIPCUB_304000_NS22TransformInputIteratorIb7NonZeroIfEPflEEPllNS8_6detail34convert_binary_result_type_wrapperINS8_3SumESD_lEEEE10hipError_tPvRmT1_T2_T3_mT4_P12ihipStream_tbEUlT_E1_NS1_11comp_targetILNS1_3genE8ELNS1_11target_archE1030ELNS1_3gpuE2ELNS1_3repE0EEENS1_30default_config_static_selectorELNS0_4arch9wavefront6targetE1EEEvSM_.kd
    .uniform_work_group_size: 1
    .uses_dynamic_stack: false
    .vgpr_count:     0
    .vgpr_spill_count: 0
    .wavefront_size: 64
  - .agpr_count:     0
    .args:
      - .offset:         0
        .size:           120
        .value_kind:     by_value
    .group_segment_fixed_size: 7184
    .kernarg_segment_align: 8
    .kernarg_segment_size: 120
    .language:       OpenCL C
    .language_version:
      - 2
      - 0
    .max_flat_workgroup_size: 128
    .name:           _ZN7rocprim17ROCPRIM_400000_NS6detail17trampoline_kernelINS0_14default_configENS1_25partition_config_selectorILNS1_17partition_subalgoE5ElNS0_10empty_typeEbEEZZNS1_14partition_implILS5_5ELb0ES3_mN6hipcub16HIPCUB_304000_NS21CountingInputIteratorIllEEPS6_NSA_22TransformInputIteratorIb7NonZeroIfEPflEENS0_5tupleIJPlS6_EEENSJ_IJSD_SD_EEES6_SK_JS6_EEE10hipError_tPvRmT3_T4_T5_T6_T7_T9_mT8_P12ihipStream_tbDpT10_ENKUlT_T0_E_clISt17integral_constantIbLb0EES16_EEDaS11_S12_EUlS11_E_NS1_11comp_targetILNS1_3genE0ELNS1_11target_archE4294967295ELNS1_3gpuE0ELNS1_3repE0EEENS1_30default_config_static_selectorELNS0_4arch9wavefront6targetE1EEEvT1_
    .private_segment_fixed_size: 0
    .sgpr_count:     34
    .sgpr_spill_count: 0
    .symbol:         _ZN7rocprim17ROCPRIM_400000_NS6detail17trampoline_kernelINS0_14default_configENS1_25partition_config_selectorILNS1_17partition_subalgoE5ElNS0_10empty_typeEbEEZZNS1_14partition_implILS5_5ELb0ES3_mN6hipcub16HIPCUB_304000_NS21CountingInputIteratorIllEEPS6_NSA_22TransformInputIteratorIb7NonZeroIfEPflEENS0_5tupleIJPlS6_EEENSJ_IJSD_SD_EEES6_SK_JS6_EEE10hipError_tPvRmT3_T4_T5_T6_T7_T9_mT8_P12ihipStream_tbDpT10_ENKUlT_T0_E_clISt17integral_constantIbLb0EES16_EEDaS11_S12_EUlS11_E_NS1_11comp_targetILNS1_3genE0ELNS1_11target_archE4294967295ELNS1_3gpuE0ELNS1_3repE0EEENS1_30default_config_static_selectorELNS0_4arch9wavefront6targetE1EEEvT1_.kd
    .uniform_work_group_size: 1
    .uses_dynamic_stack: false
    .vgpr_count:     70
    .vgpr_spill_count: 0
    .wavefront_size: 64
  - .agpr_count:     0
    .args:
      - .offset:         0
        .size:           120
        .value_kind:     by_value
    .group_segment_fixed_size: 0
    .kernarg_segment_align: 8
    .kernarg_segment_size: 120
    .language:       OpenCL C
    .language_version:
      - 2
      - 0
    .max_flat_workgroup_size: 512
    .name:           _ZN7rocprim17ROCPRIM_400000_NS6detail17trampoline_kernelINS0_14default_configENS1_25partition_config_selectorILNS1_17partition_subalgoE5ElNS0_10empty_typeEbEEZZNS1_14partition_implILS5_5ELb0ES3_mN6hipcub16HIPCUB_304000_NS21CountingInputIteratorIllEEPS6_NSA_22TransformInputIteratorIb7NonZeroIfEPflEENS0_5tupleIJPlS6_EEENSJ_IJSD_SD_EEES6_SK_JS6_EEE10hipError_tPvRmT3_T4_T5_T6_T7_T9_mT8_P12ihipStream_tbDpT10_ENKUlT_T0_E_clISt17integral_constantIbLb0EES16_EEDaS11_S12_EUlS11_E_NS1_11comp_targetILNS1_3genE5ELNS1_11target_archE942ELNS1_3gpuE9ELNS1_3repE0EEENS1_30default_config_static_selectorELNS0_4arch9wavefront6targetE1EEEvT1_
    .private_segment_fixed_size: 0
    .sgpr_count:     6
    .sgpr_spill_count: 0
    .symbol:         _ZN7rocprim17ROCPRIM_400000_NS6detail17trampoline_kernelINS0_14default_configENS1_25partition_config_selectorILNS1_17partition_subalgoE5ElNS0_10empty_typeEbEEZZNS1_14partition_implILS5_5ELb0ES3_mN6hipcub16HIPCUB_304000_NS21CountingInputIteratorIllEEPS6_NSA_22TransformInputIteratorIb7NonZeroIfEPflEENS0_5tupleIJPlS6_EEENSJ_IJSD_SD_EEES6_SK_JS6_EEE10hipError_tPvRmT3_T4_T5_T6_T7_T9_mT8_P12ihipStream_tbDpT10_ENKUlT_T0_E_clISt17integral_constantIbLb0EES16_EEDaS11_S12_EUlS11_E_NS1_11comp_targetILNS1_3genE5ELNS1_11target_archE942ELNS1_3gpuE9ELNS1_3repE0EEENS1_30default_config_static_selectorELNS0_4arch9wavefront6targetE1EEEvT1_.kd
    .uniform_work_group_size: 1
    .uses_dynamic_stack: false
    .vgpr_count:     0
    .vgpr_spill_count: 0
    .wavefront_size: 64
  - .agpr_count:     0
    .args:
      - .offset:         0
        .size:           120
        .value_kind:     by_value
    .group_segment_fixed_size: 0
    .kernarg_segment_align: 8
    .kernarg_segment_size: 120
    .language:       OpenCL C
    .language_version:
      - 2
      - 0
    .max_flat_workgroup_size: 192
    .name:           _ZN7rocprim17ROCPRIM_400000_NS6detail17trampoline_kernelINS0_14default_configENS1_25partition_config_selectorILNS1_17partition_subalgoE5ElNS0_10empty_typeEbEEZZNS1_14partition_implILS5_5ELb0ES3_mN6hipcub16HIPCUB_304000_NS21CountingInputIteratorIllEEPS6_NSA_22TransformInputIteratorIb7NonZeroIfEPflEENS0_5tupleIJPlS6_EEENSJ_IJSD_SD_EEES6_SK_JS6_EEE10hipError_tPvRmT3_T4_T5_T6_T7_T9_mT8_P12ihipStream_tbDpT10_ENKUlT_T0_E_clISt17integral_constantIbLb0EES16_EEDaS11_S12_EUlS11_E_NS1_11comp_targetILNS1_3genE4ELNS1_11target_archE910ELNS1_3gpuE8ELNS1_3repE0EEENS1_30default_config_static_selectorELNS0_4arch9wavefront6targetE1EEEvT1_
    .private_segment_fixed_size: 0
    .sgpr_count:     6
    .sgpr_spill_count: 0
    .symbol:         _ZN7rocprim17ROCPRIM_400000_NS6detail17trampoline_kernelINS0_14default_configENS1_25partition_config_selectorILNS1_17partition_subalgoE5ElNS0_10empty_typeEbEEZZNS1_14partition_implILS5_5ELb0ES3_mN6hipcub16HIPCUB_304000_NS21CountingInputIteratorIllEEPS6_NSA_22TransformInputIteratorIb7NonZeroIfEPflEENS0_5tupleIJPlS6_EEENSJ_IJSD_SD_EEES6_SK_JS6_EEE10hipError_tPvRmT3_T4_T5_T6_T7_T9_mT8_P12ihipStream_tbDpT10_ENKUlT_T0_E_clISt17integral_constantIbLb0EES16_EEDaS11_S12_EUlS11_E_NS1_11comp_targetILNS1_3genE4ELNS1_11target_archE910ELNS1_3gpuE8ELNS1_3repE0EEENS1_30default_config_static_selectorELNS0_4arch9wavefront6targetE1EEEvT1_.kd
    .uniform_work_group_size: 1
    .uses_dynamic_stack: false
    .vgpr_count:     0
    .vgpr_spill_count: 0
    .wavefront_size: 64
  - .agpr_count:     0
    .args:
      - .offset:         0
        .size:           120
        .value_kind:     by_value
    .group_segment_fixed_size: 0
    .kernarg_segment_align: 8
    .kernarg_segment_size: 120
    .language:       OpenCL C
    .language_version:
      - 2
      - 0
    .max_flat_workgroup_size: 128
    .name:           _ZN7rocprim17ROCPRIM_400000_NS6detail17trampoline_kernelINS0_14default_configENS1_25partition_config_selectorILNS1_17partition_subalgoE5ElNS0_10empty_typeEbEEZZNS1_14partition_implILS5_5ELb0ES3_mN6hipcub16HIPCUB_304000_NS21CountingInputIteratorIllEEPS6_NSA_22TransformInputIteratorIb7NonZeroIfEPflEENS0_5tupleIJPlS6_EEENSJ_IJSD_SD_EEES6_SK_JS6_EEE10hipError_tPvRmT3_T4_T5_T6_T7_T9_mT8_P12ihipStream_tbDpT10_ENKUlT_T0_E_clISt17integral_constantIbLb0EES16_EEDaS11_S12_EUlS11_E_NS1_11comp_targetILNS1_3genE3ELNS1_11target_archE908ELNS1_3gpuE7ELNS1_3repE0EEENS1_30default_config_static_selectorELNS0_4arch9wavefront6targetE1EEEvT1_
    .private_segment_fixed_size: 0
    .sgpr_count:     6
    .sgpr_spill_count: 0
    .symbol:         _ZN7rocprim17ROCPRIM_400000_NS6detail17trampoline_kernelINS0_14default_configENS1_25partition_config_selectorILNS1_17partition_subalgoE5ElNS0_10empty_typeEbEEZZNS1_14partition_implILS5_5ELb0ES3_mN6hipcub16HIPCUB_304000_NS21CountingInputIteratorIllEEPS6_NSA_22TransformInputIteratorIb7NonZeroIfEPflEENS0_5tupleIJPlS6_EEENSJ_IJSD_SD_EEES6_SK_JS6_EEE10hipError_tPvRmT3_T4_T5_T6_T7_T9_mT8_P12ihipStream_tbDpT10_ENKUlT_T0_E_clISt17integral_constantIbLb0EES16_EEDaS11_S12_EUlS11_E_NS1_11comp_targetILNS1_3genE3ELNS1_11target_archE908ELNS1_3gpuE7ELNS1_3repE0EEENS1_30default_config_static_selectorELNS0_4arch9wavefront6targetE1EEEvT1_.kd
    .uniform_work_group_size: 1
    .uses_dynamic_stack: false
    .vgpr_count:     0
    .vgpr_spill_count: 0
    .wavefront_size: 64
  - .agpr_count:     0
    .args:
      - .offset:         0
        .size:           120
        .value_kind:     by_value
    .group_segment_fixed_size: 0
    .kernarg_segment_align: 8
    .kernarg_segment_size: 120
    .language:       OpenCL C
    .language_version:
      - 2
      - 0
    .max_flat_workgroup_size: 256
    .name:           _ZN7rocprim17ROCPRIM_400000_NS6detail17trampoline_kernelINS0_14default_configENS1_25partition_config_selectorILNS1_17partition_subalgoE5ElNS0_10empty_typeEbEEZZNS1_14partition_implILS5_5ELb0ES3_mN6hipcub16HIPCUB_304000_NS21CountingInputIteratorIllEEPS6_NSA_22TransformInputIteratorIb7NonZeroIfEPflEENS0_5tupleIJPlS6_EEENSJ_IJSD_SD_EEES6_SK_JS6_EEE10hipError_tPvRmT3_T4_T5_T6_T7_T9_mT8_P12ihipStream_tbDpT10_ENKUlT_T0_E_clISt17integral_constantIbLb0EES16_EEDaS11_S12_EUlS11_E_NS1_11comp_targetILNS1_3genE2ELNS1_11target_archE906ELNS1_3gpuE6ELNS1_3repE0EEENS1_30default_config_static_selectorELNS0_4arch9wavefront6targetE1EEEvT1_
    .private_segment_fixed_size: 0
    .sgpr_count:     6
    .sgpr_spill_count: 0
    .symbol:         _ZN7rocprim17ROCPRIM_400000_NS6detail17trampoline_kernelINS0_14default_configENS1_25partition_config_selectorILNS1_17partition_subalgoE5ElNS0_10empty_typeEbEEZZNS1_14partition_implILS5_5ELb0ES3_mN6hipcub16HIPCUB_304000_NS21CountingInputIteratorIllEEPS6_NSA_22TransformInputIteratorIb7NonZeroIfEPflEENS0_5tupleIJPlS6_EEENSJ_IJSD_SD_EEES6_SK_JS6_EEE10hipError_tPvRmT3_T4_T5_T6_T7_T9_mT8_P12ihipStream_tbDpT10_ENKUlT_T0_E_clISt17integral_constantIbLb0EES16_EEDaS11_S12_EUlS11_E_NS1_11comp_targetILNS1_3genE2ELNS1_11target_archE906ELNS1_3gpuE6ELNS1_3repE0EEENS1_30default_config_static_selectorELNS0_4arch9wavefront6targetE1EEEvT1_.kd
    .uniform_work_group_size: 1
    .uses_dynamic_stack: false
    .vgpr_count:     0
    .vgpr_spill_count: 0
    .wavefront_size: 64
  - .agpr_count:     0
    .args:
      - .offset:         0
        .size:           120
        .value_kind:     by_value
    .group_segment_fixed_size: 0
    .kernarg_segment_align: 8
    .kernarg_segment_size: 120
    .language:       OpenCL C
    .language_version:
      - 2
      - 0
    .max_flat_workgroup_size: 256
    .name:           _ZN7rocprim17ROCPRIM_400000_NS6detail17trampoline_kernelINS0_14default_configENS1_25partition_config_selectorILNS1_17partition_subalgoE5ElNS0_10empty_typeEbEEZZNS1_14partition_implILS5_5ELb0ES3_mN6hipcub16HIPCUB_304000_NS21CountingInputIteratorIllEEPS6_NSA_22TransformInputIteratorIb7NonZeroIfEPflEENS0_5tupleIJPlS6_EEENSJ_IJSD_SD_EEES6_SK_JS6_EEE10hipError_tPvRmT3_T4_T5_T6_T7_T9_mT8_P12ihipStream_tbDpT10_ENKUlT_T0_E_clISt17integral_constantIbLb0EES16_EEDaS11_S12_EUlS11_E_NS1_11comp_targetILNS1_3genE10ELNS1_11target_archE1200ELNS1_3gpuE4ELNS1_3repE0EEENS1_30default_config_static_selectorELNS0_4arch9wavefront6targetE1EEEvT1_
    .private_segment_fixed_size: 0
    .sgpr_count:     6
    .sgpr_spill_count: 0
    .symbol:         _ZN7rocprim17ROCPRIM_400000_NS6detail17trampoline_kernelINS0_14default_configENS1_25partition_config_selectorILNS1_17partition_subalgoE5ElNS0_10empty_typeEbEEZZNS1_14partition_implILS5_5ELb0ES3_mN6hipcub16HIPCUB_304000_NS21CountingInputIteratorIllEEPS6_NSA_22TransformInputIteratorIb7NonZeroIfEPflEENS0_5tupleIJPlS6_EEENSJ_IJSD_SD_EEES6_SK_JS6_EEE10hipError_tPvRmT3_T4_T5_T6_T7_T9_mT8_P12ihipStream_tbDpT10_ENKUlT_T0_E_clISt17integral_constantIbLb0EES16_EEDaS11_S12_EUlS11_E_NS1_11comp_targetILNS1_3genE10ELNS1_11target_archE1200ELNS1_3gpuE4ELNS1_3repE0EEENS1_30default_config_static_selectorELNS0_4arch9wavefront6targetE1EEEvT1_.kd
    .uniform_work_group_size: 1
    .uses_dynamic_stack: false
    .vgpr_count:     0
    .vgpr_spill_count: 0
    .wavefront_size: 64
  - .agpr_count:     0
    .args:
      - .offset:         0
        .size:           120
        .value_kind:     by_value
    .group_segment_fixed_size: 0
    .kernarg_segment_align: 8
    .kernarg_segment_size: 120
    .language:       OpenCL C
    .language_version:
      - 2
      - 0
    .max_flat_workgroup_size: 128
    .name:           _ZN7rocprim17ROCPRIM_400000_NS6detail17trampoline_kernelINS0_14default_configENS1_25partition_config_selectorILNS1_17partition_subalgoE5ElNS0_10empty_typeEbEEZZNS1_14partition_implILS5_5ELb0ES3_mN6hipcub16HIPCUB_304000_NS21CountingInputIteratorIllEEPS6_NSA_22TransformInputIteratorIb7NonZeroIfEPflEENS0_5tupleIJPlS6_EEENSJ_IJSD_SD_EEES6_SK_JS6_EEE10hipError_tPvRmT3_T4_T5_T6_T7_T9_mT8_P12ihipStream_tbDpT10_ENKUlT_T0_E_clISt17integral_constantIbLb0EES16_EEDaS11_S12_EUlS11_E_NS1_11comp_targetILNS1_3genE9ELNS1_11target_archE1100ELNS1_3gpuE3ELNS1_3repE0EEENS1_30default_config_static_selectorELNS0_4arch9wavefront6targetE1EEEvT1_
    .private_segment_fixed_size: 0
    .sgpr_count:     6
    .sgpr_spill_count: 0
    .symbol:         _ZN7rocprim17ROCPRIM_400000_NS6detail17trampoline_kernelINS0_14default_configENS1_25partition_config_selectorILNS1_17partition_subalgoE5ElNS0_10empty_typeEbEEZZNS1_14partition_implILS5_5ELb0ES3_mN6hipcub16HIPCUB_304000_NS21CountingInputIteratorIllEEPS6_NSA_22TransformInputIteratorIb7NonZeroIfEPflEENS0_5tupleIJPlS6_EEENSJ_IJSD_SD_EEES6_SK_JS6_EEE10hipError_tPvRmT3_T4_T5_T6_T7_T9_mT8_P12ihipStream_tbDpT10_ENKUlT_T0_E_clISt17integral_constantIbLb0EES16_EEDaS11_S12_EUlS11_E_NS1_11comp_targetILNS1_3genE9ELNS1_11target_archE1100ELNS1_3gpuE3ELNS1_3repE0EEENS1_30default_config_static_selectorELNS0_4arch9wavefront6targetE1EEEvT1_.kd
    .uniform_work_group_size: 1
    .uses_dynamic_stack: false
    .vgpr_count:     0
    .vgpr_spill_count: 0
    .wavefront_size: 64
  - .agpr_count:     0
    .args:
      - .offset:         0
        .size:           120
        .value_kind:     by_value
    .group_segment_fixed_size: 0
    .kernarg_segment_align: 8
    .kernarg_segment_size: 120
    .language:       OpenCL C
    .language_version:
      - 2
      - 0
    .max_flat_workgroup_size: 512
    .name:           _ZN7rocprim17ROCPRIM_400000_NS6detail17trampoline_kernelINS0_14default_configENS1_25partition_config_selectorILNS1_17partition_subalgoE5ElNS0_10empty_typeEbEEZZNS1_14partition_implILS5_5ELb0ES3_mN6hipcub16HIPCUB_304000_NS21CountingInputIteratorIllEEPS6_NSA_22TransformInputIteratorIb7NonZeroIfEPflEENS0_5tupleIJPlS6_EEENSJ_IJSD_SD_EEES6_SK_JS6_EEE10hipError_tPvRmT3_T4_T5_T6_T7_T9_mT8_P12ihipStream_tbDpT10_ENKUlT_T0_E_clISt17integral_constantIbLb0EES16_EEDaS11_S12_EUlS11_E_NS1_11comp_targetILNS1_3genE8ELNS1_11target_archE1030ELNS1_3gpuE2ELNS1_3repE0EEENS1_30default_config_static_selectorELNS0_4arch9wavefront6targetE1EEEvT1_
    .private_segment_fixed_size: 0
    .sgpr_count:     6
    .sgpr_spill_count: 0
    .symbol:         _ZN7rocprim17ROCPRIM_400000_NS6detail17trampoline_kernelINS0_14default_configENS1_25partition_config_selectorILNS1_17partition_subalgoE5ElNS0_10empty_typeEbEEZZNS1_14partition_implILS5_5ELb0ES3_mN6hipcub16HIPCUB_304000_NS21CountingInputIteratorIllEEPS6_NSA_22TransformInputIteratorIb7NonZeroIfEPflEENS0_5tupleIJPlS6_EEENSJ_IJSD_SD_EEES6_SK_JS6_EEE10hipError_tPvRmT3_T4_T5_T6_T7_T9_mT8_P12ihipStream_tbDpT10_ENKUlT_T0_E_clISt17integral_constantIbLb0EES16_EEDaS11_S12_EUlS11_E_NS1_11comp_targetILNS1_3genE8ELNS1_11target_archE1030ELNS1_3gpuE2ELNS1_3repE0EEENS1_30default_config_static_selectorELNS0_4arch9wavefront6targetE1EEEvT1_.kd
    .uniform_work_group_size: 1
    .uses_dynamic_stack: false
    .vgpr_count:     0
    .vgpr_spill_count: 0
    .wavefront_size: 64
  - .agpr_count:     0
    .args:
      - .offset:         0
        .size:           136
        .value_kind:     by_value
    .group_segment_fixed_size: 0
    .kernarg_segment_align: 8
    .kernarg_segment_size: 136
    .language:       OpenCL C
    .language_version:
      - 2
      - 0
    .max_flat_workgroup_size: 128
    .name:           _ZN7rocprim17ROCPRIM_400000_NS6detail17trampoline_kernelINS0_14default_configENS1_25partition_config_selectorILNS1_17partition_subalgoE5ElNS0_10empty_typeEbEEZZNS1_14partition_implILS5_5ELb0ES3_mN6hipcub16HIPCUB_304000_NS21CountingInputIteratorIllEEPS6_NSA_22TransformInputIteratorIb7NonZeroIfEPflEENS0_5tupleIJPlS6_EEENSJ_IJSD_SD_EEES6_SK_JS6_EEE10hipError_tPvRmT3_T4_T5_T6_T7_T9_mT8_P12ihipStream_tbDpT10_ENKUlT_T0_E_clISt17integral_constantIbLb1EES16_EEDaS11_S12_EUlS11_E_NS1_11comp_targetILNS1_3genE0ELNS1_11target_archE4294967295ELNS1_3gpuE0ELNS1_3repE0EEENS1_30default_config_static_selectorELNS0_4arch9wavefront6targetE1EEEvT1_
    .private_segment_fixed_size: 0
    .sgpr_count:     6
    .sgpr_spill_count: 0
    .symbol:         _ZN7rocprim17ROCPRIM_400000_NS6detail17trampoline_kernelINS0_14default_configENS1_25partition_config_selectorILNS1_17partition_subalgoE5ElNS0_10empty_typeEbEEZZNS1_14partition_implILS5_5ELb0ES3_mN6hipcub16HIPCUB_304000_NS21CountingInputIteratorIllEEPS6_NSA_22TransformInputIteratorIb7NonZeroIfEPflEENS0_5tupleIJPlS6_EEENSJ_IJSD_SD_EEES6_SK_JS6_EEE10hipError_tPvRmT3_T4_T5_T6_T7_T9_mT8_P12ihipStream_tbDpT10_ENKUlT_T0_E_clISt17integral_constantIbLb1EES16_EEDaS11_S12_EUlS11_E_NS1_11comp_targetILNS1_3genE0ELNS1_11target_archE4294967295ELNS1_3gpuE0ELNS1_3repE0EEENS1_30default_config_static_selectorELNS0_4arch9wavefront6targetE1EEEvT1_.kd
    .uniform_work_group_size: 1
    .uses_dynamic_stack: false
    .vgpr_count:     0
    .vgpr_spill_count: 0
    .wavefront_size: 64
  - .agpr_count:     0
    .args:
      - .offset:         0
        .size:           136
        .value_kind:     by_value
    .group_segment_fixed_size: 0
    .kernarg_segment_align: 8
    .kernarg_segment_size: 136
    .language:       OpenCL C
    .language_version:
      - 2
      - 0
    .max_flat_workgroup_size: 512
    .name:           _ZN7rocprim17ROCPRIM_400000_NS6detail17trampoline_kernelINS0_14default_configENS1_25partition_config_selectorILNS1_17partition_subalgoE5ElNS0_10empty_typeEbEEZZNS1_14partition_implILS5_5ELb0ES3_mN6hipcub16HIPCUB_304000_NS21CountingInputIteratorIllEEPS6_NSA_22TransformInputIteratorIb7NonZeroIfEPflEENS0_5tupleIJPlS6_EEENSJ_IJSD_SD_EEES6_SK_JS6_EEE10hipError_tPvRmT3_T4_T5_T6_T7_T9_mT8_P12ihipStream_tbDpT10_ENKUlT_T0_E_clISt17integral_constantIbLb1EES16_EEDaS11_S12_EUlS11_E_NS1_11comp_targetILNS1_3genE5ELNS1_11target_archE942ELNS1_3gpuE9ELNS1_3repE0EEENS1_30default_config_static_selectorELNS0_4arch9wavefront6targetE1EEEvT1_
    .private_segment_fixed_size: 0
    .sgpr_count:     6
    .sgpr_spill_count: 0
    .symbol:         _ZN7rocprim17ROCPRIM_400000_NS6detail17trampoline_kernelINS0_14default_configENS1_25partition_config_selectorILNS1_17partition_subalgoE5ElNS0_10empty_typeEbEEZZNS1_14partition_implILS5_5ELb0ES3_mN6hipcub16HIPCUB_304000_NS21CountingInputIteratorIllEEPS6_NSA_22TransformInputIteratorIb7NonZeroIfEPflEENS0_5tupleIJPlS6_EEENSJ_IJSD_SD_EEES6_SK_JS6_EEE10hipError_tPvRmT3_T4_T5_T6_T7_T9_mT8_P12ihipStream_tbDpT10_ENKUlT_T0_E_clISt17integral_constantIbLb1EES16_EEDaS11_S12_EUlS11_E_NS1_11comp_targetILNS1_3genE5ELNS1_11target_archE942ELNS1_3gpuE9ELNS1_3repE0EEENS1_30default_config_static_selectorELNS0_4arch9wavefront6targetE1EEEvT1_.kd
    .uniform_work_group_size: 1
    .uses_dynamic_stack: false
    .vgpr_count:     0
    .vgpr_spill_count: 0
    .wavefront_size: 64
  - .agpr_count:     0
    .args:
      - .offset:         0
        .size:           136
        .value_kind:     by_value
    .group_segment_fixed_size: 0
    .kernarg_segment_align: 8
    .kernarg_segment_size: 136
    .language:       OpenCL C
    .language_version:
      - 2
      - 0
    .max_flat_workgroup_size: 192
    .name:           _ZN7rocprim17ROCPRIM_400000_NS6detail17trampoline_kernelINS0_14default_configENS1_25partition_config_selectorILNS1_17partition_subalgoE5ElNS0_10empty_typeEbEEZZNS1_14partition_implILS5_5ELb0ES3_mN6hipcub16HIPCUB_304000_NS21CountingInputIteratorIllEEPS6_NSA_22TransformInputIteratorIb7NonZeroIfEPflEENS0_5tupleIJPlS6_EEENSJ_IJSD_SD_EEES6_SK_JS6_EEE10hipError_tPvRmT3_T4_T5_T6_T7_T9_mT8_P12ihipStream_tbDpT10_ENKUlT_T0_E_clISt17integral_constantIbLb1EES16_EEDaS11_S12_EUlS11_E_NS1_11comp_targetILNS1_3genE4ELNS1_11target_archE910ELNS1_3gpuE8ELNS1_3repE0EEENS1_30default_config_static_selectorELNS0_4arch9wavefront6targetE1EEEvT1_
    .private_segment_fixed_size: 0
    .sgpr_count:     6
    .sgpr_spill_count: 0
    .symbol:         _ZN7rocprim17ROCPRIM_400000_NS6detail17trampoline_kernelINS0_14default_configENS1_25partition_config_selectorILNS1_17partition_subalgoE5ElNS0_10empty_typeEbEEZZNS1_14partition_implILS5_5ELb0ES3_mN6hipcub16HIPCUB_304000_NS21CountingInputIteratorIllEEPS6_NSA_22TransformInputIteratorIb7NonZeroIfEPflEENS0_5tupleIJPlS6_EEENSJ_IJSD_SD_EEES6_SK_JS6_EEE10hipError_tPvRmT3_T4_T5_T6_T7_T9_mT8_P12ihipStream_tbDpT10_ENKUlT_T0_E_clISt17integral_constantIbLb1EES16_EEDaS11_S12_EUlS11_E_NS1_11comp_targetILNS1_3genE4ELNS1_11target_archE910ELNS1_3gpuE8ELNS1_3repE0EEENS1_30default_config_static_selectorELNS0_4arch9wavefront6targetE1EEEvT1_.kd
    .uniform_work_group_size: 1
    .uses_dynamic_stack: false
    .vgpr_count:     0
    .vgpr_spill_count: 0
    .wavefront_size: 64
  - .agpr_count:     0
    .args:
      - .offset:         0
        .size:           136
        .value_kind:     by_value
    .group_segment_fixed_size: 0
    .kernarg_segment_align: 8
    .kernarg_segment_size: 136
    .language:       OpenCL C
    .language_version:
      - 2
      - 0
    .max_flat_workgroup_size: 128
    .name:           _ZN7rocprim17ROCPRIM_400000_NS6detail17trampoline_kernelINS0_14default_configENS1_25partition_config_selectorILNS1_17partition_subalgoE5ElNS0_10empty_typeEbEEZZNS1_14partition_implILS5_5ELb0ES3_mN6hipcub16HIPCUB_304000_NS21CountingInputIteratorIllEEPS6_NSA_22TransformInputIteratorIb7NonZeroIfEPflEENS0_5tupleIJPlS6_EEENSJ_IJSD_SD_EEES6_SK_JS6_EEE10hipError_tPvRmT3_T4_T5_T6_T7_T9_mT8_P12ihipStream_tbDpT10_ENKUlT_T0_E_clISt17integral_constantIbLb1EES16_EEDaS11_S12_EUlS11_E_NS1_11comp_targetILNS1_3genE3ELNS1_11target_archE908ELNS1_3gpuE7ELNS1_3repE0EEENS1_30default_config_static_selectorELNS0_4arch9wavefront6targetE1EEEvT1_
    .private_segment_fixed_size: 0
    .sgpr_count:     6
    .sgpr_spill_count: 0
    .symbol:         _ZN7rocprim17ROCPRIM_400000_NS6detail17trampoline_kernelINS0_14default_configENS1_25partition_config_selectorILNS1_17partition_subalgoE5ElNS0_10empty_typeEbEEZZNS1_14partition_implILS5_5ELb0ES3_mN6hipcub16HIPCUB_304000_NS21CountingInputIteratorIllEEPS6_NSA_22TransformInputIteratorIb7NonZeroIfEPflEENS0_5tupleIJPlS6_EEENSJ_IJSD_SD_EEES6_SK_JS6_EEE10hipError_tPvRmT3_T4_T5_T6_T7_T9_mT8_P12ihipStream_tbDpT10_ENKUlT_T0_E_clISt17integral_constantIbLb1EES16_EEDaS11_S12_EUlS11_E_NS1_11comp_targetILNS1_3genE3ELNS1_11target_archE908ELNS1_3gpuE7ELNS1_3repE0EEENS1_30default_config_static_selectorELNS0_4arch9wavefront6targetE1EEEvT1_.kd
    .uniform_work_group_size: 1
    .uses_dynamic_stack: false
    .vgpr_count:     0
    .vgpr_spill_count: 0
    .wavefront_size: 64
  - .agpr_count:     0
    .args:
      - .offset:         0
        .size:           136
        .value_kind:     by_value
    .group_segment_fixed_size: 0
    .kernarg_segment_align: 8
    .kernarg_segment_size: 136
    .language:       OpenCL C
    .language_version:
      - 2
      - 0
    .max_flat_workgroup_size: 256
    .name:           _ZN7rocprim17ROCPRIM_400000_NS6detail17trampoline_kernelINS0_14default_configENS1_25partition_config_selectorILNS1_17partition_subalgoE5ElNS0_10empty_typeEbEEZZNS1_14partition_implILS5_5ELb0ES3_mN6hipcub16HIPCUB_304000_NS21CountingInputIteratorIllEEPS6_NSA_22TransformInputIteratorIb7NonZeroIfEPflEENS0_5tupleIJPlS6_EEENSJ_IJSD_SD_EEES6_SK_JS6_EEE10hipError_tPvRmT3_T4_T5_T6_T7_T9_mT8_P12ihipStream_tbDpT10_ENKUlT_T0_E_clISt17integral_constantIbLb1EES16_EEDaS11_S12_EUlS11_E_NS1_11comp_targetILNS1_3genE2ELNS1_11target_archE906ELNS1_3gpuE6ELNS1_3repE0EEENS1_30default_config_static_selectorELNS0_4arch9wavefront6targetE1EEEvT1_
    .private_segment_fixed_size: 0
    .sgpr_count:     6
    .sgpr_spill_count: 0
    .symbol:         _ZN7rocprim17ROCPRIM_400000_NS6detail17trampoline_kernelINS0_14default_configENS1_25partition_config_selectorILNS1_17partition_subalgoE5ElNS0_10empty_typeEbEEZZNS1_14partition_implILS5_5ELb0ES3_mN6hipcub16HIPCUB_304000_NS21CountingInputIteratorIllEEPS6_NSA_22TransformInputIteratorIb7NonZeroIfEPflEENS0_5tupleIJPlS6_EEENSJ_IJSD_SD_EEES6_SK_JS6_EEE10hipError_tPvRmT3_T4_T5_T6_T7_T9_mT8_P12ihipStream_tbDpT10_ENKUlT_T0_E_clISt17integral_constantIbLb1EES16_EEDaS11_S12_EUlS11_E_NS1_11comp_targetILNS1_3genE2ELNS1_11target_archE906ELNS1_3gpuE6ELNS1_3repE0EEENS1_30default_config_static_selectorELNS0_4arch9wavefront6targetE1EEEvT1_.kd
    .uniform_work_group_size: 1
    .uses_dynamic_stack: false
    .vgpr_count:     0
    .vgpr_spill_count: 0
    .wavefront_size: 64
  - .agpr_count:     0
    .args:
      - .offset:         0
        .size:           136
        .value_kind:     by_value
    .group_segment_fixed_size: 0
    .kernarg_segment_align: 8
    .kernarg_segment_size: 136
    .language:       OpenCL C
    .language_version:
      - 2
      - 0
    .max_flat_workgroup_size: 256
    .name:           _ZN7rocprim17ROCPRIM_400000_NS6detail17trampoline_kernelINS0_14default_configENS1_25partition_config_selectorILNS1_17partition_subalgoE5ElNS0_10empty_typeEbEEZZNS1_14partition_implILS5_5ELb0ES3_mN6hipcub16HIPCUB_304000_NS21CountingInputIteratorIllEEPS6_NSA_22TransformInputIteratorIb7NonZeroIfEPflEENS0_5tupleIJPlS6_EEENSJ_IJSD_SD_EEES6_SK_JS6_EEE10hipError_tPvRmT3_T4_T5_T6_T7_T9_mT8_P12ihipStream_tbDpT10_ENKUlT_T0_E_clISt17integral_constantIbLb1EES16_EEDaS11_S12_EUlS11_E_NS1_11comp_targetILNS1_3genE10ELNS1_11target_archE1200ELNS1_3gpuE4ELNS1_3repE0EEENS1_30default_config_static_selectorELNS0_4arch9wavefront6targetE1EEEvT1_
    .private_segment_fixed_size: 0
    .sgpr_count:     6
    .sgpr_spill_count: 0
    .symbol:         _ZN7rocprim17ROCPRIM_400000_NS6detail17trampoline_kernelINS0_14default_configENS1_25partition_config_selectorILNS1_17partition_subalgoE5ElNS0_10empty_typeEbEEZZNS1_14partition_implILS5_5ELb0ES3_mN6hipcub16HIPCUB_304000_NS21CountingInputIteratorIllEEPS6_NSA_22TransformInputIteratorIb7NonZeroIfEPflEENS0_5tupleIJPlS6_EEENSJ_IJSD_SD_EEES6_SK_JS6_EEE10hipError_tPvRmT3_T4_T5_T6_T7_T9_mT8_P12ihipStream_tbDpT10_ENKUlT_T0_E_clISt17integral_constantIbLb1EES16_EEDaS11_S12_EUlS11_E_NS1_11comp_targetILNS1_3genE10ELNS1_11target_archE1200ELNS1_3gpuE4ELNS1_3repE0EEENS1_30default_config_static_selectorELNS0_4arch9wavefront6targetE1EEEvT1_.kd
    .uniform_work_group_size: 1
    .uses_dynamic_stack: false
    .vgpr_count:     0
    .vgpr_spill_count: 0
    .wavefront_size: 64
  - .agpr_count:     0
    .args:
      - .offset:         0
        .size:           136
        .value_kind:     by_value
    .group_segment_fixed_size: 0
    .kernarg_segment_align: 8
    .kernarg_segment_size: 136
    .language:       OpenCL C
    .language_version:
      - 2
      - 0
    .max_flat_workgroup_size: 128
    .name:           _ZN7rocprim17ROCPRIM_400000_NS6detail17trampoline_kernelINS0_14default_configENS1_25partition_config_selectorILNS1_17partition_subalgoE5ElNS0_10empty_typeEbEEZZNS1_14partition_implILS5_5ELb0ES3_mN6hipcub16HIPCUB_304000_NS21CountingInputIteratorIllEEPS6_NSA_22TransformInputIteratorIb7NonZeroIfEPflEENS0_5tupleIJPlS6_EEENSJ_IJSD_SD_EEES6_SK_JS6_EEE10hipError_tPvRmT3_T4_T5_T6_T7_T9_mT8_P12ihipStream_tbDpT10_ENKUlT_T0_E_clISt17integral_constantIbLb1EES16_EEDaS11_S12_EUlS11_E_NS1_11comp_targetILNS1_3genE9ELNS1_11target_archE1100ELNS1_3gpuE3ELNS1_3repE0EEENS1_30default_config_static_selectorELNS0_4arch9wavefront6targetE1EEEvT1_
    .private_segment_fixed_size: 0
    .sgpr_count:     6
    .sgpr_spill_count: 0
    .symbol:         _ZN7rocprim17ROCPRIM_400000_NS6detail17trampoline_kernelINS0_14default_configENS1_25partition_config_selectorILNS1_17partition_subalgoE5ElNS0_10empty_typeEbEEZZNS1_14partition_implILS5_5ELb0ES3_mN6hipcub16HIPCUB_304000_NS21CountingInputIteratorIllEEPS6_NSA_22TransformInputIteratorIb7NonZeroIfEPflEENS0_5tupleIJPlS6_EEENSJ_IJSD_SD_EEES6_SK_JS6_EEE10hipError_tPvRmT3_T4_T5_T6_T7_T9_mT8_P12ihipStream_tbDpT10_ENKUlT_T0_E_clISt17integral_constantIbLb1EES16_EEDaS11_S12_EUlS11_E_NS1_11comp_targetILNS1_3genE9ELNS1_11target_archE1100ELNS1_3gpuE3ELNS1_3repE0EEENS1_30default_config_static_selectorELNS0_4arch9wavefront6targetE1EEEvT1_.kd
    .uniform_work_group_size: 1
    .uses_dynamic_stack: false
    .vgpr_count:     0
    .vgpr_spill_count: 0
    .wavefront_size: 64
  - .agpr_count:     0
    .args:
      - .offset:         0
        .size:           136
        .value_kind:     by_value
    .group_segment_fixed_size: 0
    .kernarg_segment_align: 8
    .kernarg_segment_size: 136
    .language:       OpenCL C
    .language_version:
      - 2
      - 0
    .max_flat_workgroup_size: 512
    .name:           _ZN7rocprim17ROCPRIM_400000_NS6detail17trampoline_kernelINS0_14default_configENS1_25partition_config_selectorILNS1_17partition_subalgoE5ElNS0_10empty_typeEbEEZZNS1_14partition_implILS5_5ELb0ES3_mN6hipcub16HIPCUB_304000_NS21CountingInputIteratorIllEEPS6_NSA_22TransformInputIteratorIb7NonZeroIfEPflEENS0_5tupleIJPlS6_EEENSJ_IJSD_SD_EEES6_SK_JS6_EEE10hipError_tPvRmT3_T4_T5_T6_T7_T9_mT8_P12ihipStream_tbDpT10_ENKUlT_T0_E_clISt17integral_constantIbLb1EES16_EEDaS11_S12_EUlS11_E_NS1_11comp_targetILNS1_3genE8ELNS1_11target_archE1030ELNS1_3gpuE2ELNS1_3repE0EEENS1_30default_config_static_selectorELNS0_4arch9wavefront6targetE1EEEvT1_
    .private_segment_fixed_size: 0
    .sgpr_count:     6
    .sgpr_spill_count: 0
    .symbol:         _ZN7rocprim17ROCPRIM_400000_NS6detail17trampoline_kernelINS0_14default_configENS1_25partition_config_selectorILNS1_17partition_subalgoE5ElNS0_10empty_typeEbEEZZNS1_14partition_implILS5_5ELb0ES3_mN6hipcub16HIPCUB_304000_NS21CountingInputIteratorIllEEPS6_NSA_22TransformInputIteratorIb7NonZeroIfEPflEENS0_5tupleIJPlS6_EEENSJ_IJSD_SD_EEES6_SK_JS6_EEE10hipError_tPvRmT3_T4_T5_T6_T7_T9_mT8_P12ihipStream_tbDpT10_ENKUlT_T0_E_clISt17integral_constantIbLb1EES16_EEDaS11_S12_EUlS11_E_NS1_11comp_targetILNS1_3genE8ELNS1_11target_archE1030ELNS1_3gpuE2ELNS1_3repE0EEENS1_30default_config_static_selectorELNS0_4arch9wavefront6targetE1EEEvT1_.kd
    .uniform_work_group_size: 1
    .uses_dynamic_stack: false
    .vgpr_count:     0
    .vgpr_spill_count: 0
    .wavefront_size: 64
  - .agpr_count:     0
    .args:
      - .offset:         0
        .size:           120
        .value_kind:     by_value
    .group_segment_fixed_size: 0
    .kernarg_segment_align: 8
    .kernarg_segment_size: 120
    .language:       OpenCL C
    .language_version:
      - 2
      - 0
    .max_flat_workgroup_size: 128
    .name:           _ZN7rocprim17ROCPRIM_400000_NS6detail17trampoline_kernelINS0_14default_configENS1_25partition_config_selectorILNS1_17partition_subalgoE5ElNS0_10empty_typeEbEEZZNS1_14partition_implILS5_5ELb0ES3_mN6hipcub16HIPCUB_304000_NS21CountingInputIteratorIllEEPS6_NSA_22TransformInputIteratorIb7NonZeroIfEPflEENS0_5tupleIJPlS6_EEENSJ_IJSD_SD_EEES6_SK_JS6_EEE10hipError_tPvRmT3_T4_T5_T6_T7_T9_mT8_P12ihipStream_tbDpT10_ENKUlT_T0_E_clISt17integral_constantIbLb1EES15_IbLb0EEEEDaS11_S12_EUlS11_E_NS1_11comp_targetILNS1_3genE0ELNS1_11target_archE4294967295ELNS1_3gpuE0ELNS1_3repE0EEENS1_30default_config_static_selectorELNS0_4arch9wavefront6targetE1EEEvT1_
    .private_segment_fixed_size: 0
    .sgpr_count:     6
    .sgpr_spill_count: 0
    .symbol:         _ZN7rocprim17ROCPRIM_400000_NS6detail17trampoline_kernelINS0_14default_configENS1_25partition_config_selectorILNS1_17partition_subalgoE5ElNS0_10empty_typeEbEEZZNS1_14partition_implILS5_5ELb0ES3_mN6hipcub16HIPCUB_304000_NS21CountingInputIteratorIllEEPS6_NSA_22TransformInputIteratorIb7NonZeroIfEPflEENS0_5tupleIJPlS6_EEENSJ_IJSD_SD_EEES6_SK_JS6_EEE10hipError_tPvRmT3_T4_T5_T6_T7_T9_mT8_P12ihipStream_tbDpT10_ENKUlT_T0_E_clISt17integral_constantIbLb1EES15_IbLb0EEEEDaS11_S12_EUlS11_E_NS1_11comp_targetILNS1_3genE0ELNS1_11target_archE4294967295ELNS1_3gpuE0ELNS1_3repE0EEENS1_30default_config_static_selectorELNS0_4arch9wavefront6targetE1EEEvT1_.kd
    .uniform_work_group_size: 1
    .uses_dynamic_stack: false
    .vgpr_count:     0
    .vgpr_spill_count: 0
    .wavefront_size: 64
  - .agpr_count:     0
    .args:
      - .offset:         0
        .size:           120
        .value_kind:     by_value
    .group_segment_fixed_size: 0
    .kernarg_segment_align: 8
    .kernarg_segment_size: 120
    .language:       OpenCL C
    .language_version:
      - 2
      - 0
    .max_flat_workgroup_size: 512
    .name:           _ZN7rocprim17ROCPRIM_400000_NS6detail17trampoline_kernelINS0_14default_configENS1_25partition_config_selectorILNS1_17partition_subalgoE5ElNS0_10empty_typeEbEEZZNS1_14partition_implILS5_5ELb0ES3_mN6hipcub16HIPCUB_304000_NS21CountingInputIteratorIllEEPS6_NSA_22TransformInputIteratorIb7NonZeroIfEPflEENS0_5tupleIJPlS6_EEENSJ_IJSD_SD_EEES6_SK_JS6_EEE10hipError_tPvRmT3_T4_T5_T6_T7_T9_mT8_P12ihipStream_tbDpT10_ENKUlT_T0_E_clISt17integral_constantIbLb1EES15_IbLb0EEEEDaS11_S12_EUlS11_E_NS1_11comp_targetILNS1_3genE5ELNS1_11target_archE942ELNS1_3gpuE9ELNS1_3repE0EEENS1_30default_config_static_selectorELNS0_4arch9wavefront6targetE1EEEvT1_
    .private_segment_fixed_size: 0
    .sgpr_count:     6
    .sgpr_spill_count: 0
    .symbol:         _ZN7rocprim17ROCPRIM_400000_NS6detail17trampoline_kernelINS0_14default_configENS1_25partition_config_selectorILNS1_17partition_subalgoE5ElNS0_10empty_typeEbEEZZNS1_14partition_implILS5_5ELb0ES3_mN6hipcub16HIPCUB_304000_NS21CountingInputIteratorIllEEPS6_NSA_22TransformInputIteratorIb7NonZeroIfEPflEENS0_5tupleIJPlS6_EEENSJ_IJSD_SD_EEES6_SK_JS6_EEE10hipError_tPvRmT3_T4_T5_T6_T7_T9_mT8_P12ihipStream_tbDpT10_ENKUlT_T0_E_clISt17integral_constantIbLb1EES15_IbLb0EEEEDaS11_S12_EUlS11_E_NS1_11comp_targetILNS1_3genE5ELNS1_11target_archE942ELNS1_3gpuE9ELNS1_3repE0EEENS1_30default_config_static_selectorELNS0_4arch9wavefront6targetE1EEEvT1_.kd
    .uniform_work_group_size: 1
    .uses_dynamic_stack: false
    .vgpr_count:     0
    .vgpr_spill_count: 0
    .wavefront_size: 64
  - .agpr_count:     0
    .args:
      - .offset:         0
        .size:           120
        .value_kind:     by_value
    .group_segment_fixed_size: 0
    .kernarg_segment_align: 8
    .kernarg_segment_size: 120
    .language:       OpenCL C
    .language_version:
      - 2
      - 0
    .max_flat_workgroup_size: 192
    .name:           _ZN7rocprim17ROCPRIM_400000_NS6detail17trampoline_kernelINS0_14default_configENS1_25partition_config_selectorILNS1_17partition_subalgoE5ElNS0_10empty_typeEbEEZZNS1_14partition_implILS5_5ELb0ES3_mN6hipcub16HIPCUB_304000_NS21CountingInputIteratorIllEEPS6_NSA_22TransformInputIteratorIb7NonZeroIfEPflEENS0_5tupleIJPlS6_EEENSJ_IJSD_SD_EEES6_SK_JS6_EEE10hipError_tPvRmT3_T4_T5_T6_T7_T9_mT8_P12ihipStream_tbDpT10_ENKUlT_T0_E_clISt17integral_constantIbLb1EES15_IbLb0EEEEDaS11_S12_EUlS11_E_NS1_11comp_targetILNS1_3genE4ELNS1_11target_archE910ELNS1_3gpuE8ELNS1_3repE0EEENS1_30default_config_static_selectorELNS0_4arch9wavefront6targetE1EEEvT1_
    .private_segment_fixed_size: 0
    .sgpr_count:     6
    .sgpr_spill_count: 0
    .symbol:         _ZN7rocprim17ROCPRIM_400000_NS6detail17trampoline_kernelINS0_14default_configENS1_25partition_config_selectorILNS1_17partition_subalgoE5ElNS0_10empty_typeEbEEZZNS1_14partition_implILS5_5ELb0ES3_mN6hipcub16HIPCUB_304000_NS21CountingInputIteratorIllEEPS6_NSA_22TransformInputIteratorIb7NonZeroIfEPflEENS0_5tupleIJPlS6_EEENSJ_IJSD_SD_EEES6_SK_JS6_EEE10hipError_tPvRmT3_T4_T5_T6_T7_T9_mT8_P12ihipStream_tbDpT10_ENKUlT_T0_E_clISt17integral_constantIbLb1EES15_IbLb0EEEEDaS11_S12_EUlS11_E_NS1_11comp_targetILNS1_3genE4ELNS1_11target_archE910ELNS1_3gpuE8ELNS1_3repE0EEENS1_30default_config_static_selectorELNS0_4arch9wavefront6targetE1EEEvT1_.kd
    .uniform_work_group_size: 1
    .uses_dynamic_stack: false
    .vgpr_count:     0
    .vgpr_spill_count: 0
    .wavefront_size: 64
  - .agpr_count:     0
    .args:
      - .offset:         0
        .size:           120
        .value_kind:     by_value
    .group_segment_fixed_size: 0
    .kernarg_segment_align: 8
    .kernarg_segment_size: 120
    .language:       OpenCL C
    .language_version:
      - 2
      - 0
    .max_flat_workgroup_size: 128
    .name:           _ZN7rocprim17ROCPRIM_400000_NS6detail17trampoline_kernelINS0_14default_configENS1_25partition_config_selectorILNS1_17partition_subalgoE5ElNS0_10empty_typeEbEEZZNS1_14partition_implILS5_5ELb0ES3_mN6hipcub16HIPCUB_304000_NS21CountingInputIteratorIllEEPS6_NSA_22TransformInputIteratorIb7NonZeroIfEPflEENS0_5tupleIJPlS6_EEENSJ_IJSD_SD_EEES6_SK_JS6_EEE10hipError_tPvRmT3_T4_T5_T6_T7_T9_mT8_P12ihipStream_tbDpT10_ENKUlT_T0_E_clISt17integral_constantIbLb1EES15_IbLb0EEEEDaS11_S12_EUlS11_E_NS1_11comp_targetILNS1_3genE3ELNS1_11target_archE908ELNS1_3gpuE7ELNS1_3repE0EEENS1_30default_config_static_selectorELNS0_4arch9wavefront6targetE1EEEvT1_
    .private_segment_fixed_size: 0
    .sgpr_count:     6
    .sgpr_spill_count: 0
    .symbol:         _ZN7rocprim17ROCPRIM_400000_NS6detail17trampoline_kernelINS0_14default_configENS1_25partition_config_selectorILNS1_17partition_subalgoE5ElNS0_10empty_typeEbEEZZNS1_14partition_implILS5_5ELb0ES3_mN6hipcub16HIPCUB_304000_NS21CountingInputIteratorIllEEPS6_NSA_22TransformInputIteratorIb7NonZeroIfEPflEENS0_5tupleIJPlS6_EEENSJ_IJSD_SD_EEES6_SK_JS6_EEE10hipError_tPvRmT3_T4_T5_T6_T7_T9_mT8_P12ihipStream_tbDpT10_ENKUlT_T0_E_clISt17integral_constantIbLb1EES15_IbLb0EEEEDaS11_S12_EUlS11_E_NS1_11comp_targetILNS1_3genE3ELNS1_11target_archE908ELNS1_3gpuE7ELNS1_3repE0EEENS1_30default_config_static_selectorELNS0_4arch9wavefront6targetE1EEEvT1_.kd
    .uniform_work_group_size: 1
    .uses_dynamic_stack: false
    .vgpr_count:     0
    .vgpr_spill_count: 0
    .wavefront_size: 64
  - .agpr_count:     0
    .args:
      - .offset:         0
        .size:           120
        .value_kind:     by_value
    .group_segment_fixed_size: 0
    .kernarg_segment_align: 8
    .kernarg_segment_size: 120
    .language:       OpenCL C
    .language_version:
      - 2
      - 0
    .max_flat_workgroup_size: 256
    .name:           _ZN7rocprim17ROCPRIM_400000_NS6detail17trampoline_kernelINS0_14default_configENS1_25partition_config_selectorILNS1_17partition_subalgoE5ElNS0_10empty_typeEbEEZZNS1_14partition_implILS5_5ELb0ES3_mN6hipcub16HIPCUB_304000_NS21CountingInputIteratorIllEEPS6_NSA_22TransformInputIteratorIb7NonZeroIfEPflEENS0_5tupleIJPlS6_EEENSJ_IJSD_SD_EEES6_SK_JS6_EEE10hipError_tPvRmT3_T4_T5_T6_T7_T9_mT8_P12ihipStream_tbDpT10_ENKUlT_T0_E_clISt17integral_constantIbLb1EES15_IbLb0EEEEDaS11_S12_EUlS11_E_NS1_11comp_targetILNS1_3genE2ELNS1_11target_archE906ELNS1_3gpuE6ELNS1_3repE0EEENS1_30default_config_static_selectorELNS0_4arch9wavefront6targetE1EEEvT1_
    .private_segment_fixed_size: 0
    .sgpr_count:     6
    .sgpr_spill_count: 0
    .symbol:         _ZN7rocprim17ROCPRIM_400000_NS6detail17trampoline_kernelINS0_14default_configENS1_25partition_config_selectorILNS1_17partition_subalgoE5ElNS0_10empty_typeEbEEZZNS1_14partition_implILS5_5ELb0ES3_mN6hipcub16HIPCUB_304000_NS21CountingInputIteratorIllEEPS6_NSA_22TransformInputIteratorIb7NonZeroIfEPflEENS0_5tupleIJPlS6_EEENSJ_IJSD_SD_EEES6_SK_JS6_EEE10hipError_tPvRmT3_T4_T5_T6_T7_T9_mT8_P12ihipStream_tbDpT10_ENKUlT_T0_E_clISt17integral_constantIbLb1EES15_IbLb0EEEEDaS11_S12_EUlS11_E_NS1_11comp_targetILNS1_3genE2ELNS1_11target_archE906ELNS1_3gpuE6ELNS1_3repE0EEENS1_30default_config_static_selectorELNS0_4arch9wavefront6targetE1EEEvT1_.kd
    .uniform_work_group_size: 1
    .uses_dynamic_stack: false
    .vgpr_count:     0
    .vgpr_spill_count: 0
    .wavefront_size: 64
  - .agpr_count:     0
    .args:
      - .offset:         0
        .size:           120
        .value_kind:     by_value
    .group_segment_fixed_size: 0
    .kernarg_segment_align: 8
    .kernarg_segment_size: 120
    .language:       OpenCL C
    .language_version:
      - 2
      - 0
    .max_flat_workgroup_size: 256
    .name:           _ZN7rocprim17ROCPRIM_400000_NS6detail17trampoline_kernelINS0_14default_configENS1_25partition_config_selectorILNS1_17partition_subalgoE5ElNS0_10empty_typeEbEEZZNS1_14partition_implILS5_5ELb0ES3_mN6hipcub16HIPCUB_304000_NS21CountingInputIteratorIllEEPS6_NSA_22TransformInputIteratorIb7NonZeroIfEPflEENS0_5tupleIJPlS6_EEENSJ_IJSD_SD_EEES6_SK_JS6_EEE10hipError_tPvRmT3_T4_T5_T6_T7_T9_mT8_P12ihipStream_tbDpT10_ENKUlT_T0_E_clISt17integral_constantIbLb1EES15_IbLb0EEEEDaS11_S12_EUlS11_E_NS1_11comp_targetILNS1_3genE10ELNS1_11target_archE1200ELNS1_3gpuE4ELNS1_3repE0EEENS1_30default_config_static_selectorELNS0_4arch9wavefront6targetE1EEEvT1_
    .private_segment_fixed_size: 0
    .sgpr_count:     6
    .sgpr_spill_count: 0
    .symbol:         _ZN7rocprim17ROCPRIM_400000_NS6detail17trampoline_kernelINS0_14default_configENS1_25partition_config_selectorILNS1_17partition_subalgoE5ElNS0_10empty_typeEbEEZZNS1_14partition_implILS5_5ELb0ES3_mN6hipcub16HIPCUB_304000_NS21CountingInputIteratorIllEEPS6_NSA_22TransformInputIteratorIb7NonZeroIfEPflEENS0_5tupleIJPlS6_EEENSJ_IJSD_SD_EEES6_SK_JS6_EEE10hipError_tPvRmT3_T4_T5_T6_T7_T9_mT8_P12ihipStream_tbDpT10_ENKUlT_T0_E_clISt17integral_constantIbLb1EES15_IbLb0EEEEDaS11_S12_EUlS11_E_NS1_11comp_targetILNS1_3genE10ELNS1_11target_archE1200ELNS1_3gpuE4ELNS1_3repE0EEENS1_30default_config_static_selectorELNS0_4arch9wavefront6targetE1EEEvT1_.kd
    .uniform_work_group_size: 1
    .uses_dynamic_stack: false
    .vgpr_count:     0
    .vgpr_spill_count: 0
    .wavefront_size: 64
  - .agpr_count:     0
    .args:
      - .offset:         0
        .size:           120
        .value_kind:     by_value
    .group_segment_fixed_size: 0
    .kernarg_segment_align: 8
    .kernarg_segment_size: 120
    .language:       OpenCL C
    .language_version:
      - 2
      - 0
    .max_flat_workgroup_size: 128
    .name:           _ZN7rocprim17ROCPRIM_400000_NS6detail17trampoline_kernelINS0_14default_configENS1_25partition_config_selectorILNS1_17partition_subalgoE5ElNS0_10empty_typeEbEEZZNS1_14partition_implILS5_5ELb0ES3_mN6hipcub16HIPCUB_304000_NS21CountingInputIteratorIllEEPS6_NSA_22TransformInputIteratorIb7NonZeroIfEPflEENS0_5tupleIJPlS6_EEENSJ_IJSD_SD_EEES6_SK_JS6_EEE10hipError_tPvRmT3_T4_T5_T6_T7_T9_mT8_P12ihipStream_tbDpT10_ENKUlT_T0_E_clISt17integral_constantIbLb1EES15_IbLb0EEEEDaS11_S12_EUlS11_E_NS1_11comp_targetILNS1_3genE9ELNS1_11target_archE1100ELNS1_3gpuE3ELNS1_3repE0EEENS1_30default_config_static_selectorELNS0_4arch9wavefront6targetE1EEEvT1_
    .private_segment_fixed_size: 0
    .sgpr_count:     6
    .sgpr_spill_count: 0
    .symbol:         _ZN7rocprim17ROCPRIM_400000_NS6detail17trampoline_kernelINS0_14default_configENS1_25partition_config_selectorILNS1_17partition_subalgoE5ElNS0_10empty_typeEbEEZZNS1_14partition_implILS5_5ELb0ES3_mN6hipcub16HIPCUB_304000_NS21CountingInputIteratorIllEEPS6_NSA_22TransformInputIteratorIb7NonZeroIfEPflEENS0_5tupleIJPlS6_EEENSJ_IJSD_SD_EEES6_SK_JS6_EEE10hipError_tPvRmT3_T4_T5_T6_T7_T9_mT8_P12ihipStream_tbDpT10_ENKUlT_T0_E_clISt17integral_constantIbLb1EES15_IbLb0EEEEDaS11_S12_EUlS11_E_NS1_11comp_targetILNS1_3genE9ELNS1_11target_archE1100ELNS1_3gpuE3ELNS1_3repE0EEENS1_30default_config_static_selectorELNS0_4arch9wavefront6targetE1EEEvT1_.kd
    .uniform_work_group_size: 1
    .uses_dynamic_stack: false
    .vgpr_count:     0
    .vgpr_spill_count: 0
    .wavefront_size: 64
  - .agpr_count:     0
    .args:
      - .offset:         0
        .size:           120
        .value_kind:     by_value
    .group_segment_fixed_size: 0
    .kernarg_segment_align: 8
    .kernarg_segment_size: 120
    .language:       OpenCL C
    .language_version:
      - 2
      - 0
    .max_flat_workgroup_size: 512
    .name:           _ZN7rocprim17ROCPRIM_400000_NS6detail17trampoline_kernelINS0_14default_configENS1_25partition_config_selectorILNS1_17partition_subalgoE5ElNS0_10empty_typeEbEEZZNS1_14partition_implILS5_5ELb0ES3_mN6hipcub16HIPCUB_304000_NS21CountingInputIteratorIllEEPS6_NSA_22TransformInputIteratorIb7NonZeroIfEPflEENS0_5tupleIJPlS6_EEENSJ_IJSD_SD_EEES6_SK_JS6_EEE10hipError_tPvRmT3_T4_T5_T6_T7_T9_mT8_P12ihipStream_tbDpT10_ENKUlT_T0_E_clISt17integral_constantIbLb1EES15_IbLb0EEEEDaS11_S12_EUlS11_E_NS1_11comp_targetILNS1_3genE8ELNS1_11target_archE1030ELNS1_3gpuE2ELNS1_3repE0EEENS1_30default_config_static_selectorELNS0_4arch9wavefront6targetE1EEEvT1_
    .private_segment_fixed_size: 0
    .sgpr_count:     6
    .sgpr_spill_count: 0
    .symbol:         _ZN7rocprim17ROCPRIM_400000_NS6detail17trampoline_kernelINS0_14default_configENS1_25partition_config_selectorILNS1_17partition_subalgoE5ElNS0_10empty_typeEbEEZZNS1_14partition_implILS5_5ELb0ES3_mN6hipcub16HIPCUB_304000_NS21CountingInputIteratorIllEEPS6_NSA_22TransformInputIteratorIb7NonZeroIfEPflEENS0_5tupleIJPlS6_EEENSJ_IJSD_SD_EEES6_SK_JS6_EEE10hipError_tPvRmT3_T4_T5_T6_T7_T9_mT8_P12ihipStream_tbDpT10_ENKUlT_T0_E_clISt17integral_constantIbLb1EES15_IbLb0EEEEDaS11_S12_EUlS11_E_NS1_11comp_targetILNS1_3genE8ELNS1_11target_archE1030ELNS1_3gpuE2ELNS1_3repE0EEENS1_30default_config_static_selectorELNS0_4arch9wavefront6targetE1EEEvT1_.kd
    .uniform_work_group_size: 1
    .uses_dynamic_stack: false
    .vgpr_count:     0
    .vgpr_spill_count: 0
    .wavefront_size: 64
  - .agpr_count:     0
    .args:
      - .offset:         0
        .size:           136
        .value_kind:     by_value
    .group_segment_fixed_size: 7184
    .kernarg_segment_align: 8
    .kernarg_segment_size: 136
    .language:       OpenCL C
    .language_version:
      - 2
      - 0
    .max_flat_workgroup_size: 128
    .name:           _ZN7rocprim17ROCPRIM_400000_NS6detail17trampoline_kernelINS0_14default_configENS1_25partition_config_selectorILNS1_17partition_subalgoE5ElNS0_10empty_typeEbEEZZNS1_14partition_implILS5_5ELb0ES3_mN6hipcub16HIPCUB_304000_NS21CountingInputIteratorIllEEPS6_NSA_22TransformInputIteratorIb7NonZeroIfEPflEENS0_5tupleIJPlS6_EEENSJ_IJSD_SD_EEES6_SK_JS6_EEE10hipError_tPvRmT3_T4_T5_T6_T7_T9_mT8_P12ihipStream_tbDpT10_ENKUlT_T0_E_clISt17integral_constantIbLb0EES15_IbLb1EEEEDaS11_S12_EUlS11_E_NS1_11comp_targetILNS1_3genE0ELNS1_11target_archE4294967295ELNS1_3gpuE0ELNS1_3repE0EEENS1_30default_config_static_selectorELNS0_4arch9wavefront6targetE1EEEvT1_
    .private_segment_fixed_size: 0
    .sgpr_count:     34
    .sgpr_spill_count: 0
    .symbol:         _ZN7rocprim17ROCPRIM_400000_NS6detail17trampoline_kernelINS0_14default_configENS1_25partition_config_selectorILNS1_17partition_subalgoE5ElNS0_10empty_typeEbEEZZNS1_14partition_implILS5_5ELb0ES3_mN6hipcub16HIPCUB_304000_NS21CountingInputIteratorIllEEPS6_NSA_22TransformInputIteratorIb7NonZeroIfEPflEENS0_5tupleIJPlS6_EEENSJ_IJSD_SD_EEES6_SK_JS6_EEE10hipError_tPvRmT3_T4_T5_T6_T7_T9_mT8_P12ihipStream_tbDpT10_ENKUlT_T0_E_clISt17integral_constantIbLb0EES15_IbLb1EEEEDaS11_S12_EUlS11_E_NS1_11comp_targetILNS1_3genE0ELNS1_11target_archE4294967295ELNS1_3gpuE0ELNS1_3repE0EEENS1_30default_config_static_selectorELNS0_4arch9wavefront6targetE1EEEvT1_.kd
    .uniform_work_group_size: 1
    .uses_dynamic_stack: false
    .vgpr_count:     72
    .vgpr_spill_count: 0
    .wavefront_size: 64
  - .agpr_count:     0
    .args:
      - .offset:         0
        .size:           136
        .value_kind:     by_value
    .group_segment_fixed_size: 0
    .kernarg_segment_align: 8
    .kernarg_segment_size: 136
    .language:       OpenCL C
    .language_version:
      - 2
      - 0
    .max_flat_workgroup_size: 512
    .name:           _ZN7rocprim17ROCPRIM_400000_NS6detail17trampoline_kernelINS0_14default_configENS1_25partition_config_selectorILNS1_17partition_subalgoE5ElNS0_10empty_typeEbEEZZNS1_14partition_implILS5_5ELb0ES3_mN6hipcub16HIPCUB_304000_NS21CountingInputIteratorIllEEPS6_NSA_22TransformInputIteratorIb7NonZeroIfEPflEENS0_5tupleIJPlS6_EEENSJ_IJSD_SD_EEES6_SK_JS6_EEE10hipError_tPvRmT3_T4_T5_T6_T7_T9_mT8_P12ihipStream_tbDpT10_ENKUlT_T0_E_clISt17integral_constantIbLb0EES15_IbLb1EEEEDaS11_S12_EUlS11_E_NS1_11comp_targetILNS1_3genE5ELNS1_11target_archE942ELNS1_3gpuE9ELNS1_3repE0EEENS1_30default_config_static_selectorELNS0_4arch9wavefront6targetE1EEEvT1_
    .private_segment_fixed_size: 0
    .sgpr_count:     6
    .sgpr_spill_count: 0
    .symbol:         _ZN7rocprim17ROCPRIM_400000_NS6detail17trampoline_kernelINS0_14default_configENS1_25partition_config_selectorILNS1_17partition_subalgoE5ElNS0_10empty_typeEbEEZZNS1_14partition_implILS5_5ELb0ES3_mN6hipcub16HIPCUB_304000_NS21CountingInputIteratorIllEEPS6_NSA_22TransformInputIteratorIb7NonZeroIfEPflEENS0_5tupleIJPlS6_EEENSJ_IJSD_SD_EEES6_SK_JS6_EEE10hipError_tPvRmT3_T4_T5_T6_T7_T9_mT8_P12ihipStream_tbDpT10_ENKUlT_T0_E_clISt17integral_constantIbLb0EES15_IbLb1EEEEDaS11_S12_EUlS11_E_NS1_11comp_targetILNS1_3genE5ELNS1_11target_archE942ELNS1_3gpuE9ELNS1_3repE0EEENS1_30default_config_static_selectorELNS0_4arch9wavefront6targetE1EEEvT1_.kd
    .uniform_work_group_size: 1
    .uses_dynamic_stack: false
    .vgpr_count:     0
    .vgpr_spill_count: 0
    .wavefront_size: 64
  - .agpr_count:     0
    .args:
      - .offset:         0
        .size:           136
        .value_kind:     by_value
    .group_segment_fixed_size: 0
    .kernarg_segment_align: 8
    .kernarg_segment_size: 136
    .language:       OpenCL C
    .language_version:
      - 2
      - 0
    .max_flat_workgroup_size: 192
    .name:           _ZN7rocprim17ROCPRIM_400000_NS6detail17trampoline_kernelINS0_14default_configENS1_25partition_config_selectorILNS1_17partition_subalgoE5ElNS0_10empty_typeEbEEZZNS1_14partition_implILS5_5ELb0ES3_mN6hipcub16HIPCUB_304000_NS21CountingInputIteratorIllEEPS6_NSA_22TransformInputIteratorIb7NonZeroIfEPflEENS0_5tupleIJPlS6_EEENSJ_IJSD_SD_EEES6_SK_JS6_EEE10hipError_tPvRmT3_T4_T5_T6_T7_T9_mT8_P12ihipStream_tbDpT10_ENKUlT_T0_E_clISt17integral_constantIbLb0EES15_IbLb1EEEEDaS11_S12_EUlS11_E_NS1_11comp_targetILNS1_3genE4ELNS1_11target_archE910ELNS1_3gpuE8ELNS1_3repE0EEENS1_30default_config_static_selectorELNS0_4arch9wavefront6targetE1EEEvT1_
    .private_segment_fixed_size: 0
    .sgpr_count:     6
    .sgpr_spill_count: 0
    .symbol:         _ZN7rocprim17ROCPRIM_400000_NS6detail17trampoline_kernelINS0_14default_configENS1_25partition_config_selectorILNS1_17partition_subalgoE5ElNS0_10empty_typeEbEEZZNS1_14partition_implILS5_5ELb0ES3_mN6hipcub16HIPCUB_304000_NS21CountingInputIteratorIllEEPS6_NSA_22TransformInputIteratorIb7NonZeroIfEPflEENS0_5tupleIJPlS6_EEENSJ_IJSD_SD_EEES6_SK_JS6_EEE10hipError_tPvRmT3_T4_T5_T6_T7_T9_mT8_P12ihipStream_tbDpT10_ENKUlT_T0_E_clISt17integral_constantIbLb0EES15_IbLb1EEEEDaS11_S12_EUlS11_E_NS1_11comp_targetILNS1_3genE4ELNS1_11target_archE910ELNS1_3gpuE8ELNS1_3repE0EEENS1_30default_config_static_selectorELNS0_4arch9wavefront6targetE1EEEvT1_.kd
    .uniform_work_group_size: 1
    .uses_dynamic_stack: false
    .vgpr_count:     0
    .vgpr_spill_count: 0
    .wavefront_size: 64
  - .agpr_count:     0
    .args:
      - .offset:         0
        .size:           136
        .value_kind:     by_value
    .group_segment_fixed_size: 0
    .kernarg_segment_align: 8
    .kernarg_segment_size: 136
    .language:       OpenCL C
    .language_version:
      - 2
      - 0
    .max_flat_workgroup_size: 128
    .name:           _ZN7rocprim17ROCPRIM_400000_NS6detail17trampoline_kernelINS0_14default_configENS1_25partition_config_selectorILNS1_17partition_subalgoE5ElNS0_10empty_typeEbEEZZNS1_14partition_implILS5_5ELb0ES3_mN6hipcub16HIPCUB_304000_NS21CountingInputIteratorIllEEPS6_NSA_22TransformInputIteratorIb7NonZeroIfEPflEENS0_5tupleIJPlS6_EEENSJ_IJSD_SD_EEES6_SK_JS6_EEE10hipError_tPvRmT3_T4_T5_T6_T7_T9_mT8_P12ihipStream_tbDpT10_ENKUlT_T0_E_clISt17integral_constantIbLb0EES15_IbLb1EEEEDaS11_S12_EUlS11_E_NS1_11comp_targetILNS1_3genE3ELNS1_11target_archE908ELNS1_3gpuE7ELNS1_3repE0EEENS1_30default_config_static_selectorELNS0_4arch9wavefront6targetE1EEEvT1_
    .private_segment_fixed_size: 0
    .sgpr_count:     6
    .sgpr_spill_count: 0
    .symbol:         _ZN7rocprim17ROCPRIM_400000_NS6detail17trampoline_kernelINS0_14default_configENS1_25partition_config_selectorILNS1_17partition_subalgoE5ElNS0_10empty_typeEbEEZZNS1_14partition_implILS5_5ELb0ES3_mN6hipcub16HIPCUB_304000_NS21CountingInputIteratorIllEEPS6_NSA_22TransformInputIteratorIb7NonZeroIfEPflEENS0_5tupleIJPlS6_EEENSJ_IJSD_SD_EEES6_SK_JS6_EEE10hipError_tPvRmT3_T4_T5_T6_T7_T9_mT8_P12ihipStream_tbDpT10_ENKUlT_T0_E_clISt17integral_constantIbLb0EES15_IbLb1EEEEDaS11_S12_EUlS11_E_NS1_11comp_targetILNS1_3genE3ELNS1_11target_archE908ELNS1_3gpuE7ELNS1_3repE0EEENS1_30default_config_static_selectorELNS0_4arch9wavefront6targetE1EEEvT1_.kd
    .uniform_work_group_size: 1
    .uses_dynamic_stack: false
    .vgpr_count:     0
    .vgpr_spill_count: 0
    .wavefront_size: 64
  - .agpr_count:     0
    .args:
      - .offset:         0
        .size:           136
        .value_kind:     by_value
    .group_segment_fixed_size: 0
    .kernarg_segment_align: 8
    .kernarg_segment_size: 136
    .language:       OpenCL C
    .language_version:
      - 2
      - 0
    .max_flat_workgroup_size: 256
    .name:           _ZN7rocprim17ROCPRIM_400000_NS6detail17trampoline_kernelINS0_14default_configENS1_25partition_config_selectorILNS1_17partition_subalgoE5ElNS0_10empty_typeEbEEZZNS1_14partition_implILS5_5ELb0ES3_mN6hipcub16HIPCUB_304000_NS21CountingInputIteratorIllEEPS6_NSA_22TransformInputIteratorIb7NonZeroIfEPflEENS0_5tupleIJPlS6_EEENSJ_IJSD_SD_EEES6_SK_JS6_EEE10hipError_tPvRmT3_T4_T5_T6_T7_T9_mT8_P12ihipStream_tbDpT10_ENKUlT_T0_E_clISt17integral_constantIbLb0EES15_IbLb1EEEEDaS11_S12_EUlS11_E_NS1_11comp_targetILNS1_3genE2ELNS1_11target_archE906ELNS1_3gpuE6ELNS1_3repE0EEENS1_30default_config_static_selectorELNS0_4arch9wavefront6targetE1EEEvT1_
    .private_segment_fixed_size: 0
    .sgpr_count:     6
    .sgpr_spill_count: 0
    .symbol:         _ZN7rocprim17ROCPRIM_400000_NS6detail17trampoline_kernelINS0_14default_configENS1_25partition_config_selectorILNS1_17partition_subalgoE5ElNS0_10empty_typeEbEEZZNS1_14partition_implILS5_5ELb0ES3_mN6hipcub16HIPCUB_304000_NS21CountingInputIteratorIllEEPS6_NSA_22TransformInputIteratorIb7NonZeroIfEPflEENS0_5tupleIJPlS6_EEENSJ_IJSD_SD_EEES6_SK_JS6_EEE10hipError_tPvRmT3_T4_T5_T6_T7_T9_mT8_P12ihipStream_tbDpT10_ENKUlT_T0_E_clISt17integral_constantIbLb0EES15_IbLb1EEEEDaS11_S12_EUlS11_E_NS1_11comp_targetILNS1_3genE2ELNS1_11target_archE906ELNS1_3gpuE6ELNS1_3repE0EEENS1_30default_config_static_selectorELNS0_4arch9wavefront6targetE1EEEvT1_.kd
    .uniform_work_group_size: 1
    .uses_dynamic_stack: false
    .vgpr_count:     0
    .vgpr_spill_count: 0
    .wavefront_size: 64
  - .agpr_count:     0
    .args:
      - .offset:         0
        .size:           136
        .value_kind:     by_value
    .group_segment_fixed_size: 0
    .kernarg_segment_align: 8
    .kernarg_segment_size: 136
    .language:       OpenCL C
    .language_version:
      - 2
      - 0
    .max_flat_workgroup_size: 256
    .name:           _ZN7rocprim17ROCPRIM_400000_NS6detail17trampoline_kernelINS0_14default_configENS1_25partition_config_selectorILNS1_17partition_subalgoE5ElNS0_10empty_typeEbEEZZNS1_14partition_implILS5_5ELb0ES3_mN6hipcub16HIPCUB_304000_NS21CountingInputIteratorIllEEPS6_NSA_22TransformInputIteratorIb7NonZeroIfEPflEENS0_5tupleIJPlS6_EEENSJ_IJSD_SD_EEES6_SK_JS6_EEE10hipError_tPvRmT3_T4_T5_T6_T7_T9_mT8_P12ihipStream_tbDpT10_ENKUlT_T0_E_clISt17integral_constantIbLb0EES15_IbLb1EEEEDaS11_S12_EUlS11_E_NS1_11comp_targetILNS1_3genE10ELNS1_11target_archE1200ELNS1_3gpuE4ELNS1_3repE0EEENS1_30default_config_static_selectorELNS0_4arch9wavefront6targetE1EEEvT1_
    .private_segment_fixed_size: 0
    .sgpr_count:     6
    .sgpr_spill_count: 0
    .symbol:         _ZN7rocprim17ROCPRIM_400000_NS6detail17trampoline_kernelINS0_14default_configENS1_25partition_config_selectorILNS1_17partition_subalgoE5ElNS0_10empty_typeEbEEZZNS1_14partition_implILS5_5ELb0ES3_mN6hipcub16HIPCUB_304000_NS21CountingInputIteratorIllEEPS6_NSA_22TransformInputIteratorIb7NonZeroIfEPflEENS0_5tupleIJPlS6_EEENSJ_IJSD_SD_EEES6_SK_JS6_EEE10hipError_tPvRmT3_T4_T5_T6_T7_T9_mT8_P12ihipStream_tbDpT10_ENKUlT_T0_E_clISt17integral_constantIbLb0EES15_IbLb1EEEEDaS11_S12_EUlS11_E_NS1_11comp_targetILNS1_3genE10ELNS1_11target_archE1200ELNS1_3gpuE4ELNS1_3repE0EEENS1_30default_config_static_selectorELNS0_4arch9wavefront6targetE1EEEvT1_.kd
    .uniform_work_group_size: 1
    .uses_dynamic_stack: false
    .vgpr_count:     0
    .vgpr_spill_count: 0
    .wavefront_size: 64
  - .agpr_count:     0
    .args:
      - .offset:         0
        .size:           136
        .value_kind:     by_value
    .group_segment_fixed_size: 0
    .kernarg_segment_align: 8
    .kernarg_segment_size: 136
    .language:       OpenCL C
    .language_version:
      - 2
      - 0
    .max_flat_workgroup_size: 128
    .name:           _ZN7rocprim17ROCPRIM_400000_NS6detail17trampoline_kernelINS0_14default_configENS1_25partition_config_selectorILNS1_17partition_subalgoE5ElNS0_10empty_typeEbEEZZNS1_14partition_implILS5_5ELb0ES3_mN6hipcub16HIPCUB_304000_NS21CountingInputIteratorIllEEPS6_NSA_22TransformInputIteratorIb7NonZeroIfEPflEENS0_5tupleIJPlS6_EEENSJ_IJSD_SD_EEES6_SK_JS6_EEE10hipError_tPvRmT3_T4_T5_T6_T7_T9_mT8_P12ihipStream_tbDpT10_ENKUlT_T0_E_clISt17integral_constantIbLb0EES15_IbLb1EEEEDaS11_S12_EUlS11_E_NS1_11comp_targetILNS1_3genE9ELNS1_11target_archE1100ELNS1_3gpuE3ELNS1_3repE0EEENS1_30default_config_static_selectorELNS0_4arch9wavefront6targetE1EEEvT1_
    .private_segment_fixed_size: 0
    .sgpr_count:     6
    .sgpr_spill_count: 0
    .symbol:         _ZN7rocprim17ROCPRIM_400000_NS6detail17trampoline_kernelINS0_14default_configENS1_25partition_config_selectorILNS1_17partition_subalgoE5ElNS0_10empty_typeEbEEZZNS1_14partition_implILS5_5ELb0ES3_mN6hipcub16HIPCUB_304000_NS21CountingInputIteratorIllEEPS6_NSA_22TransformInputIteratorIb7NonZeroIfEPflEENS0_5tupleIJPlS6_EEENSJ_IJSD_SD_EEES6_SK_JS6_EEE10hipError_tPvRmT3_T4_T5_T6_T7_T9_mT8_P12ihipStream_tbDpT10_ENKUlT_T0_E_clISt17integral_constantIbLb0EES15_IbLb1EEEEDaS11_S12_EUlS11_E_NS1_11comp_targetILNS1_3genE9ELNS1_11target_archE1100ELNS1_3gpuE3ELNS1_3repE0EEENS1_30default_config_static_selectorELNS0_4arch9wavefront6targetE1EEEvT1_.kd
    .uniform_work_group_size: 1
    .uses_dynamic_stack: false
    .vgpr_count:     0
    .vgpr_spill_count: 0
    .wavefront_size: 64
  - .agpr_count:     0
    .args:
      - .offset:         0
        .size:           136
        .value_kind:     by_value
    .group_segment_fixed_size: 0
    .kernarg_segment_align: 8
    .kernarg_segment_size: 136
    .language:       OpenCL C
    .language_version:
      - 2
      - 0
    .max_flat_workgroup_size: 512
    .name:           _ZN7rocprim17ROCPRIM_400000_NS6detail17trampoline_kernelINS0_14default_configENS1_25partition_config_selectorILNS1_17partition_subalgoE5ElNS0_10empty_typeEbEEZZNS1_14partition_implILS5_5ELb0ES3_mN6hipcub16HIPCUB_304000_NS21CountingInputIteratorIllEEPS6_NSA_22TransformInputIteratorIb7NonZeroIfEPflEENS0_5tupleIJPlS6_EEENSJ_IJSD_SD_EEES6_SK_JS6_EEE10hipError_tPvRmT3_T4_T5_T6_T7_T9_mT8_P12ihipStream_tbDpT10_ENKUlT_T0_E_clISt17integral_constantIbLb0EES15_IbLb1EEEEDaS11_S12_EUlS11_E_NS1_11comp_targetILNS1_3genE8ELNS1_11target_archE1030ELNS1_3gpuE2ELNS1_3repE0EEENS1_30default_config_static_selectorELNS0_4arch9wavefront6targetE1EEEvT1_
    .private_segment_fixed_size: 0
    .sgpr_count:     6
    .sgpr_spill_count: 0
    .symbol:         _ZN7rocprim17ROCPRIM_400000_NS6detail17trampoline_kernelINS0_14default_configENS1_25partition_config_selectorILNS1_17partition_subalgoE5ElNS0_10empty_typeEbEEZZNS1_14partition_implILS5_5ELb0ES3_mN6hipcub16HIPCUB_304000_NS21CountingInputIteratorIllEEPS6_NSA_22TransformInputIteratorIb7NonZeroIfEPflEENS0_5tupleIJPlS6_EEENSJ_IJSD_SD_EEES6_SK_JS6_EEE10hipError_tPvRmT3_T4_T5_T6_T7_T9_mT8_P12ihipStream_tbDpT10_ENKUlT_T0_E_clISt17integral_constantIbLb0EES15_IbLb1EEEEDaS11_S12_EUlS11_E_NS1_11comp_targetILNS1_3genE8ELNS1_11target_archE1030ELNS1_3gpuE2ELNS1_3repE0EEENS1_30default_config_static_selectorELNS0_4arch9wavefront6targetE1EEEvT1_.kd
    .uniform_work_group_size: 1
    .uses_dynamic_stack: false
    .vgpr_count:     0
    .vgpr_spill_count: 0
    .wavefront_size: 64
  - .agpr_count:     0
    .args:
      - .offset:         0
        .size:           64
        .value_kind:     by_value
    .group_segment_fixed_size: 64
    .kernarg_segment_align: 8
    .kernarg_segment_size: 64
    .language:       OpenCL C
    .language_version:
      - 2
      - 0
    .max_flat_workgroup_size: 256
    .name:           _ZN7rocprim17ROCPRIM_400000_NS6detail17trampoline_kernelINS0_14default_configENS1_22reduce_config_selectorIlEEZNS1_11reduce_implILb1ES3_PlS7_lN6hipcub16HIPCUB_304000_NS6detail34convert_binary_result_type_wrapperINS9_3SumENS9_22TransformInputIteratorIb7NonZeroIdEPdlEElEEEE10hipError_tPvRmT1_T2_T3_mT4_P12ihipStream_tbEUlT_E0_NS1_11comp_targetILNS1_3genE0ELNS1_11target_archE4294967295ELNS1_3gpuE0ELNS1_3repE0EEENS1_30default_config_static_selectorELNS0_4arch9wavefront6targetE1EEEvSM_
    .private_segment_fixed_size: 0
    .sgpr_count:     54
    .sgpr_spill_count: 0
    .symbol:         _ZN7rocprim17ROCPRIM_400000_NS6detail17trampoline_kernelINS0_14default_configENS1_22reduce_config_selectorIlEEZNS1_11reduce_implILb1ES3_PlS7_lN6hipcub16HIPCUB_304000_NS6detail34convert_binary_result_type_wrapperINS9_3SumENS9_22TransformInputIteratorIb7NonZeroIdEPdlEElEEEE10hipError_tPvRmT1_T2_T3_mT4_P12ihipStream_tbEUlT_E0_NS1_11comp_targetILNS1_3genE0ELNS1_11target_archE4294967295ELNS1_3gpuE0ELNS1_3repE0EEENS1_30default_config_static_selectorELNS0_4arch9wavefront6targetE1EEEvSM_.kd
    .uniform_work_group_size: 1
    .uses_dynamic_stack: false
    .vgpr_count:     68
    .vgpr_spill_count: 0
    .wavefront_size: 64
  - .agpr_count:     0
    .args:
      - .offset:         0
        .size:           64
        .value_kind:     by_value
    .group_segment_fixed_size: 0
    .kernarg_segment_align: 8
    .kernarg_segment_size: 64
    .language:       OpenCL C
    .language_version:
      - 2
      - 0
    .max_flat_workgroup_size: 256
    .name:           _ZN7rocprim17ROCPRIM_400000_NS6detail17trampoline_kernelINS0_14default_configENS1_22reduce_config_selectorIlEEZNS1_11reduce_implILb1ES3_PlS7_lN6hipcub16HIPCUB_304000_NS6detail34convert_binary_result_type_wrapperINS9_3SumENS9_22TransformInputIteratorIb7NonZeroIdEPdlEElEEEE10hipError_tPvRmT1_T2_T3_mT4_P12ihipStream_tbEUlT_E0_NS1_11comp_targetILNS1_3genE5ELNS1_11target_archE942ELNS1_3gpuE9ELNS1_3repE0EEENS1_30default_config_static_selectorELNS0_4arch9wavefront6targetE1EEEvSM_
    .private_segment_fixed_size: 0
    .sgpr_count:     6
    .sgpr_spill_count: 0
    .symbol:         _ZN7rocprim17ROCPRIM_400000_NS6detail17trampoline_kernelINS0_14default_configENS1_22reduce_config_selectorIlEEZNS1_11reduce_implILb1ES3_PlS7_lN6hipcub16HIPCUB_304000_NS6detail34convert_binary_result_type_wrapperINS9_3SumENS9_22TransformInputIteratorIb7NonZeroIdEPdlEElEEEE10hipError_tPvRmT1_T2_T3_mT4_P12ihipStream_tbEUlT_E0_NS1_11comp_targetILNS1_3genE5ELNS1_11target_archE942ELNS1_3gpuE9ELNS1_3repE0EEENS1_30default_config_static_selectorELNS0_4arch9wavefront6targetE1EEEvSM_.kd
    .uniform_work_group_size: 1
    .uses_dynamic_stack: false
    .vgpr_count:     0
    .vgpr_spill_count: 0
    .wavefront_size: 64
  - .agpr_count:     0
    .args:
      - .offset:         0
        .size:           64
        .value_kind:     by_value
    .group_segment_fixed_size: 0
    .kernarg_segment_align: 8
    .kernarg_segment_size: 64
    .language:       OpenCL C
    .language_version:
      - 2
      - 0
    .max_flat_workgroup_size: 256
    .name:           _ZN7rocprim17ROCPRIM_400000_NS6detail17trampoline_kernelINS0_14default_configENS1_22reduce_config_selectorIlEEZNS1_11reduce_implILb1ES3_PlS7_lN6hipcub16HIPCUB_304000_NS6detail34convert_binary_result_type_wrapperINS9_3SumENS9_22TransformInputIteratorIb7NonZeroIdEPdlEElEEEE10hipError_tPvRmT1_T2_T3_mT4_P12ihipStream_tbEUlT_E0_NS1_11comp_targetILNS1_3genE4ELNS1_11target_archE910ELNS1_3gpuE8ELNS1_3repE0EEENS1_30default_config_static_selectorELNS0_4arch9wavefront6targetE1EEEvSM_
    .private_segment_fixed_size: 0
    .sgpr_count:     6
    .sgpr_spill_count: 0
    .symbol:         _ZN7rocprim17ROCPRIM_400000_NS6detail17trampoline_kernelINS0_14default_configENS1_22reduce_config_selectorIlEEZNS1_11reduce_implILb1ES3_PlS7_lN6hipcub16HIPCUB_304000_NS6detail34convert_binary_result_type_wrapperINS9_3SumENS9_22TransformInputIteratorIb7NonZeroIdEPdlEElEEEE10hipError_tPvRmT1_T2_T3_mT4_P12ihipStream_tbEUlT_E0_NS1_11comp_targetILNS1_3genE4ELNS1_11target_archE910ELNS1_3gpuE8ELNS1_3repE0EEENS1_30default_config_static_selectorELNS0_4arch9wavefront6targetE1EEEvSM_.kd
    .uniform_work_group_size: 1
    .uses_dynamic_stack: false
    .vgpr_count:     0
    .vgpr_spill_count: 0
    .wavefront_size: 64
  - .agpr_count:     0
    .args:
      - .offset:         0
        .size:           64
        .value_kind:     by_value
    .group_segment_fixed_size: 0
    .kernarg_segment_align: 8
    .kernarg_segment_size: 64
    .language:       OpenCL C
    .language_version:
      - 2
      - 0
    .max_flat_workgroup_size: 256
    .name:           _ZN7rocprim17ROCPRIM_400000_NS6detail17trampoline_kernelINS0_14default_configENS1_22reduce_config_selectorIlEEZNS1_11reduce_implILb1ES3_PlS7_lN6hipcub16HIPCUB_304000_NS6detail34convert_binary_result_type_wrapperINS9_3SumENS9_22TransformInputIteratorIb7NonZeroIdEPdlEElEEEE10hipError_tPvRmT1_T2_T3_mT4_P12ihipStream_tbEUlT_E0_NS1_11comp_targetILNS1_3genE3ELNS1_11target_archE908ELNS1_3gpuE7ELNS1_3repE0EEENS1_30default_config_static_selectorELNS0_4arch9wavefront6targetE1EEEvSM_
    .private_segment_fixed_size: 0
    .sgpr_count:     6
    .sgpr_spill_count: 0
    .symbol:         _ZN7rocprim17ROCPRIM_400000_NS6detail17trampoline_kernelINS0_14default_configENS1_22reduce_config_selectorIlEEZNS1_11reduce_implILb1ES3_PlS7_lN6hipcub16HIPCUB_304000_NS6detail34convert_binary_result_type_wrapperINS9_3SumENS9_22TransformInputIteratorIb7NonZeroIdEPdlEElEEEE10hipError_tPvRmT1_T2_T3_mT4_P12ihipStream_tbEUlT_E0_NS1_11comp_targetILNS1_3genE3ELNS1_11target_archE908ELNS1_3gpuE7ELNS1_3repE0EEENS1_30default_config_static_selectorELNS0_4arch9wavefront6targetE1EEEvSM_.kd
    .uniform_work_group_size: 1
    .uses_dynamic_stack: false
    .vgpr_count:     0
    .vgpr_spill_count: 0
    .wavefront_size: 64
  - .agpr_count:     0
    .args:
      - .offset:         0
        .size:           64
        .value_kind:     by_value
    .group_segment_fixed_size: 0
    .kernarg_segment_align: 8
    .kernarg_segment_size: 64
    .language:       OpenCL C
    .language_version:
      - 2
      - 0
    .max_flat_workgroup_size: 256
    .name:           _ZN7rocprim17ROCPRIM_400000_NS6detail17trampoline_kernelINS0_14default_configENS1_22reduce_config_selectorIlEEZNS1_11reduce_implILb1ES3_PlS7_lN6hipcub16HIPCUB_304000_NS6detail34convert_binary_result_type_wrapperINS9_3SumENS9_22TransformInputIteratorIb7NonZeroIdEPdlEElEEEE10hipError_tPvRmT1_T2_T3_mT4_P12ihipStream_tbEUlT_E0_NS1_11comp_targetILNS1_3genE2ELNS1_11target_archE906ELNS1_3gpuE6ELNS1_3repE0EEENS1_30default_config_static_selectorELNS0_4arch9wavefront6targetE1EEEvSM_
    .private_segment_fixed_size: 0
    .sgpr_count:     6
    .sgpr_spill_count: 0
    .symbol:         _ZN7rocprim17ROCPRIM_400000_NS6detail17trampoline_kernelINS0_14default_configENS1_22reduce_config_selectorIlEEZNS1_11reduce_implILb1ES3_PlS7_lN6hipcub16HIPCUB_304000_NS6detail34convert_binary_result_type_wrapperINS9_3SumENS9_22TransformInputIteratorIb7NonZeroIdEPdlEElEEEE10hipError_tPvRmT1_T2_T3_mT4_P12ihipStream_tbEUlT_E0_NS1_11comp_targetILNS1_3genE2ELNS1_11target_archE906ELNS1_3gpuE6ELNS1_3repE0EEENS1_30default_config_static_selectorELNS0_4arch9wavefront6targetE1EEEvSM_.kd
    .uniform_work_group_size: 1
    .uses_dynamic_stack: false
    .vgpr_count:     0
    .vgpr_spill_count: 0
    .wavefront_size: 64
  - .agpr_count:     0
    .args:
      - .offset:         0
        .size:           64
        .value_kind:     by_value
    .group_segment_fixed_size: 0
    .kernarg_segment_align: 8
    .kernarg_segment_size: 64
    .language:       OpenCL C
    .language_version:
      - 2
      - 0
    .max_flat_workgroup_size: 256
    .name:           _ZN7rocprim17ROCPRIM_400000_NS6detail17trampoline_kernelINS0_14default_configENS1_22reduce_config_selectorIlEEZNS1_11reduce_implILb1ES3_PlS7_lN6hipcub16HIPCUB_304000_NS6detail34convert_binary_result_type_wrapperINS9_3SumENS9_22TransformInputIteratorIb7NonZeroIdEPdlEElEEEE10hipError_tPvRmT1_T2_T3_mT4_P12ihipStream_tbEUlT_E0_NS1_11comp_targetILNS1_3genE10ELNS1_11target_archE1201ELNS1_3gpuE5ELNS1_3repE0EEENS1_30default_config_static_selectorELNS0_4arch9wavefront6targetE1EEEvSM_
    .private_segment_fixed_size: 0
    .sgpr_count:     6
    .sgpr_spill_count: 0
    .symbol:         _ZN7rocprim17ROCPRIM_400000_NS6detail17trampoline_kernelINS0_14default_configENS1_22reduce_config_selectorIlEEZNS1_11reduce_implILb1ES3_PlS7_lN6hipcub16HIPCUB_304000_NS6detail34convert_binary_result_type_wrapperINS9_3SumENS9_22TransformInputIteratorIb7NonZeroIdEPdlEElEEEE10hipError_tPvRmT1_T2_T3_mT4_P12ihipStream_tbEUlT_E0_NS1_11comp_targetILNS1_3genE10ELNS1_11target_archE1201ELNS1_3gpuE5ELNS1_3repE0EEENS1_30default_config_static_selectorELNS0_4arch9wavefront6targetE1EEEvSM_.kd
    .uniform_work_group_size: 1
    .uses_dynamic_stack: false
    .vgpr_count:     0
    .vgpr_spill_count: 0
    .wavefront_size: 64
  - .agpr_count:     0
    .args:
      - .offset:         0
        .size:           64
        .value_kind:     by_value
    .group_segment_fixed_size: 0
    .kernarg_segment_align: 8
    .kernarg_segment_size: 64
    .language:       OpenCL C
    .language_version:
      - 2
      - 0
    .max_flat_workgroup_size: 256
    .name:           _ZN7rocprim17ROCPRIM_400000_NS6detail17trampoline_kernelINS0_14default_configENS1_22reduce_config_selectorIlEEZNS1_11reduce_implILb1ES3_PlS7_lN6hipcub16HIPCUB_304000_NS6detail34convert_binary_result_type_wrapperINS9_3SumENS9_22TransformInputIteratorIb7NonZeroIdEPdlEElEEEE10hipError_tPvRmT1_T2_T3_mT4_P12ihipStream_tbEUlT_E0_NS1_11comp_targetILNS1_3genE10ELNS1_11target_archE1200ELNS1_3gpuE4ELNS1_3repE0EEENS1_30default_config_static_selectorELNS0_4arch9wavefront6targetE1EEEvSM_
    .private_segment_fixed_size: 0
    .sgpr_count:     6
    .sgpr_spill_count: 0
    .symbol:         _ZN7rocprim17ROCPRIM_400000_NS6detail17trampoline_kernelINS0_14default_configENS1_22reduce_config_selectorIlEEZNS1_11reduce_implILb1ES3_PlS7_lN6hipcub16HIPCUB_304000_NS6detail34convert_binary_result_type_wrapperINS9_3SumENS9_22TransformInputIteratorIb7NonZeroIdEPdlEElEEEE10hipError_tPvRmT1_T2_T3_mT4_P12ihipStream_tbEUlT_E0_NS1_11comp_targetILNS1_3genE10ELNS1_11target_archE1200ELNS1_3gpuE4ELNS1_3repE0EEENS1_30default_config_static_selectorELNS0_4arch9wavefront6targetE1EEEvSM_.kd
    .uniform_work_group_size: 1
    .uses_dynamic_stack: false
    .vgpr_count:     0
    .vgpr_spill_count: 0
    .wavefront_size: 64
  - .agpr_count:     0
    .args:
      - .offset:         0
        .size:           64
        .value_kind:     by_value
    .group_segment_fixed_size: 0
    .kernarg_segment_align: 8
    .kernarg_segment_size: 64
    .language:       OpenCL C
    .language_version:
      - 2
      - 0
    .max_flat_workgroup_size: 256
    .name:           _ZN7rocprim17ROCPRIM_400000_NS6detail17trampoline_kernelINS0_14default_configENS1_22reduce_config_selectorIlEEZNS1_11reduce_implILb1ES3_PlS7_lN6hipcub16HIPCUB_304000_NS6detail34convert_binary_result_type_wrapperINS9_3SumENS9_22TransformInputIteratorIb7NonZeroIdEPdlEElEEEE10hipError_tPvRmT1_T2_T3_mT4_P12ihipStream_tbEUlT_E0_NS1_11comp_targetILNS1_3genE9ELNS1_11target_archE1100ELNS1_3gpuE3ELNS1_3repE0EEENS1_30default_config_static_selectorELNS0_4arch9wavefront6targetE1EEEvSM_
    .private_segment_fixed_size: 0
    .sgpr_count:     6
    .sgpr_spill_count: 0
    .symbol:         _ZN7rocprim17ROCPRIM_400000_NS6detail17trampoline_kernelINS0_14default_configENS1_22reduce_config_selectorIlEEZNS1_11reduce_implILb1ES3_PlS7_lN6hipcub16HIPCUB_304000_NS6detail34convert_binary_result_type_wrapperINS9_3SumENS9_22TransformInputIteratorIb7NonZeroIdEPdlEElEEEE10hipError_tPvRmT1_T2_T3_mT4_P12ihipStream_tbEUlT_E0_NS1_11comp_targetILNS1_3genE9ELNS1_11target_archE1100ELNS1_3gpuE3ELNS1_3repE0EEENS1_30default_config_static_selectorELNS0_4arch9wavefront6targetE1EEEvSM_.kd
    .uniform_work_group_size: 1
    .uses_dynamic_stack: false
    .vgpr_count:     0
    .vgpr_spill_count: 0
    .wavefront_size: 64
  - .agpr_count:     0
    .args:
      - .offset:         0
        .size:           64
        .value_kind:     by_value
    .group_segment_fixed_size: 0
    .kernarg_segment_align: 8
    .kernarg_segment_size: 64
    .language:       OpenCL C
    .language_version:
      - 2
      - 0
    .max_flat_workgroup_size: 256
    .name:           _ZN7rocprim17ROCPRIM_400000_NS6detail17trampoline_kernelINS0_14default_configENS1_22reduce_config_selectorIlEEZNS1_11reduce_implILb1ES3_PlS7_lN6hipcub16HIPCUB_304000_NS6detail34convert_binary_result_type_wrapperINS9_3SumENS9_22TransformInputIteratorIb7NonZeroIdEPdlEElEEEE10hipError_tPvRmT1_T2_T3_mT4_P12ihipStream_tbEUlT_E0_NS1_11comp_targetILNS1_3genE8ELNS1_11target_archE1030ELNS1_3gpuE2ELNS1_3repE0EEENS1_30default_config_static_selectorELNS0_4arch9wavefront6targetE1EEEvSM_
    .private_segment_fixed_size: 0
    .sgpr_count:     6
    .sgpr_spill_count: 0
    .symbol:         _ZN7rocprim17ROCPRIM_400000_NS6detail17trampoline_kernelINS0_14default_configENS1_22reduce_config_selectorIlEEZNS1_11reduce_implILb1ES3_PlS7_lN6hipcub16HIPCUB_304000_NS6detail34convert_binary_result_type_wrapperINS9_3SumENS9_22TransformInputIteratorIb7NonZeroIdEPdlEElEEEE10hipError_tPvRmT1_T2_T3_mT4_P12ihipStream_tbEUlT_E0_NS1_11comp_targetILNS1_3genE8ELNS1_11target_archE1030ELNS1_3gpuE2ELNS1_3repE0EEENS1_30default_config_static_selectorELNS0_4arch9wavefront6targetE1EEEvSM_.kd
    .uniform_work_group_size: 1
    .uses_dynamic_stack: false
    .vgpr_count:     0
    .vgpr_spill_count: 0
    .wavefront_size: 64
  - .agpr_count:     0
    .args:
      - .offset:         0
        .size:           48
        .value_kind:     by_value
    .group_segment_fixed_size: 192
    .kernarg_segment_align: 8
    .kernarg_segment_size: 48
    .language:       OpenCL C
    .language_version:
      - 2
      - 0
    .max_flat_workgroup_size: 256
    .name:           _ZN7rocprim17ROCPRIM_400000_NS6detail17trampoline_kernelINS0_14default_configENS1_22reduce_config_selectorIlEEZNS1_11reduce_implILb1ES3_PlS7_lN6hipcub16HIPCUB_304000_NS6detail34convert_binary_result_type_wrapperINS9_3SumENS9_22TransformInputIteratorIb7NonZeroIdEPdlEElEEEE10hipError_tPvRmT1_T2_T3_mT4_P12ihipStream_tbEUlT_E1_NS1_11comp_targetILNS1_3genE0ELNS1_11target_archE4294967295ELNS1_3gpuE0ELNS1_3repE0EEENS1_30default_config_static_selectorELNS0_4arch9wavefront6targetE1EEEvSM_
    .private_segment_fixed_size: 0
    .sgpr_count:     53
    .sgpr_spill_count: 0
    .symbol:         _ZN7rocprim17ROCPRIM_400000_NS6detail17trampoline_kernelINS0_14default_configENS1_22reduce_config_selectorIlEEZNS1_11reduce_implILb1ES3_PlS7_lN6hipcub16HIPCUB_304000_NS6detail34convert_binary_result_type_wrapperINS9_3SumENS9_22TransformInputIteratorIb7NonZeroIdEPdlEElEEEE10hipError_tPvRmT1_T2_T3_mT4_P12ihipStream_tbEUlT_E1_NS1_11comp_targetILNS1_3genE0ELNS1_11target_archE4294967295ELNS1_3gpuE0ELNS1_3repE0EEENS1_30default_config_static_selectorELNS0_4arch9wavefront6targetE1EEEvSM_.kd
    .uniform_work_group_size: 1
    .uses_dynamic_stack: false
    .vgpr_count:     48
    .vgpr_spill_count: 0
    .wavefront_size: 64
  - .agpr_count:     0
    .args:
      - .offset:         0
        .size:           48
        .value_kind:     by_value
    .group_segment_fixed_size: 0
    .kernarg_segment_align: 8
    .kernarg_segment_size: 48
    .language:       OpenCL C
    .language_version:
      - 2
      - 0
    .max_flat_workgroup_size: 256
    .name:           _ZN7rocprim17ROCPRIM_400000_NS6detail17trampoline_kernelINS0_14default_configENS1_22reduce_config_selectorIlEEZNS1_11reduce_implILb1ES3_PlS7_lN6hipcub16HIPCUB_304000_NS6detail34convert_binary_result_type_wrapperINS9_3SumENS9_22TransformInputIteratorIb7NonZeroIdEPdlEElEEEE10hipError_tPvRmT1_T2_T3_mT4_P12ihipStream_tbEUlT_E1_NS1_11comp_targetILNS1_3genE5ELNS1_11target_archE942ELNS1_3gpuE9ELNS1_3repE0EEENS1_30default_config_static_selectorELNS0_4arch9wavefront6targetE1EEEvSM_
    .private_segment_fixed_size: 0
    .sgpr_count:     6
    .sgpr_spill_count: 0
    .symbol:         _ZN7rocprim17ROCPRIM_400000_NS6detail17trampoline_kernelINS0_14default_configENS1_22reduce_config_selectorIlEEZNS1_11reduce_implILb1ES3_PlS7_lN6hipcub16HIPCUB_304000_NS6detail34convert_binary_result_type_wrapperINS9_3SumENS9_22TransformInputIteratorIb7NonZeroIdEPdlEElEEEE10hipError_tPvRmT1_T2_T3_mT4_P12ihipStream_tbEUlT_E1_NS1_11comp_targetILNS1_3genE5ELNS1_11target_archE942ELNS1_3gpuE9ELNS1_3repE0EEENS1_30default_config_static_selectorELNS0_4arch9wavefront6targetE1EEEvSM_.kd
    .uniform_work_group_size: 1
    .uses_dynamic_stack: false
    .vgpr_count:     0
    .vgpr_spill_count: 0
    .wavefront_size: 64
  - .agpr_count:     0
    .args:
      - .offset:         0
        .size:           48
        .value_kind:     by_value
    .group_segment_fixed_size: 0
    .kernarg_segment_align: 8
    .kernarg_segment_size: 48
    .language:       OpenCL C
    .language_version:
      - 2
      - 0
    .max_flat_workgroup_size: 256
    .name:           _ZN7rocprim17ROCPRIM_400000_NS6detail17trampoline_kernelINS0_14default_configENS1_22reduce_config_selectorIlEEZNS1_11reduce_implILb1ES3_PlS7_lN6hipcub16HIPCUB_304000_NS6detail34convert_binary_result_type_wrapperINS9_3SumENS9_22TransformInputIteratorIb7NonZeroIdEPdlEElEEEE10hipError_tPvRmT1_T2_T3_mT4_P12ihipStream_tbEUlT_E1_NS1_11comp_targetILNS1_3genE4ELNS1_11target_archE910ELNS1_3gpuE8ELNS1_3repE0EEENS1_30default_config_static_selectorELNS0_4arch9wavefront6targetE1EEEvSM_
    .private_segment_fixed_size: 0
    .sgpr_count:     6
    .sgpr_spill_count: 0
    .symbol:         _ZN7rocprim17ROCPRIM_400000_NS6detail17trampoline_kernelINS0_14default_configENS1_22reduce_config_selectorIlEEZNS1_11reduce_implILb1ES3_PlS7_lN6hipcub16HIPCUB_304000_NS6detail34convert_binary_result_type_wrapperINS9_3SumENS9_22TransformInputIteratorIb7NonZeroIdEPdlEElEEEE10hipError_tPvRmT1_T2_T3_mT4_P12ihipStream_tbEUlT_E1_NS1_11comp_targetILNS1_3genE4ELNS1_11target_archE910ELNS1_3gpuE8ELNS1_3repE0EEENS1_30default_config_static_selectorELNS0_4arch9wavefront6targetE1EEEvSM_.kd
    .uniform_work_group_size: 1
    .uses_dynamic_stack: false
    .vgpr_count:     0
    .vgpr_spill_count: 0
    .wavefront_size: 64
  - .agpr_count:     0
    .args:
      - .offset:         0
        .size:           48
        .value_kind:     by_value
    .group_segment_fixed_size: 0
    .kernarg_segment_align: 8
    .kernarg_segment_size: 48
    .language:       OpenCL C
    .language_version:
      - 2
      - 0
    .max_flat_workgroup_size: 256
    .name:           _ZN7rocprim17ROCPRIM_400000_NS6detail17trampoline_kernelINS0_14default_configENS1_22reduce_config_selectorIlEEZNS1_11reduce_implILb1ES3_PlS7_lN6hipcub16HIPCUB_304000_NS6detail34convert_binary_result_type_wrapperINS9_3SumENS9_22TransformInputIteratorIb7NonZeroIdEPdlEElEEEE10hipError_tPvRmT1_T2_T3_mT4_P12ihipStream_tbEUlT_E1_NS1_11comp_targetILNS1_3genE3ELNS1_11target_archE908ELNS1_3gpuE7ELNS1_3repE0EEENS1_30default_config_static_selectorELNS0_4arch9wavefront6targetE1EEEvSM_
    .private_segment_fixed_size: 0
    .sgpr_count:     6
    .sgpr_spill_count: 0
    .symbol:         _ZN7rocprim17ROCPRIM_400000_NS6detail17trampoline_kernelINS0_14default_configENS1_22reduce_config_selectorIlEEZNS1_11reduce_implILb1ES3_PlS7_lN6hipcub16HIPCUB_304000_NS6detail34convert_binary_result_type_wrapperINS9_3SumENS9_22TransformInputIteratorIb7NonZeroIdEPdlEElEEEE10hipError_tPvRmT1_T2_T3_mT4_P12ihipStream_tbEUlT_E1_NS1_11comp_targetILNS1_3genE3ELNS1_11target_archE908ELNS1_3gpuE7ELNS1_3repE0EEENS1_30default_config_static_selectorELNS0_4arch9wavefront6targetE1EEEvSM_.kd
    .uniform_work_group_size: 1
    .uses_dynamic_stack: false
    .vgpr_count:     0
    .vgpr_spill_count: 0
    .wavefront_size: 64
  - .agpr_count:     0
    .args:
      - .offset:         0
        .size:           48
        .value_kind:     by_value
    .group_segment_fixed_size: 0
    .kernarg_segment_align: 8
    .kernarg_segment_size: 48
    .language:       OpenCL C
    .language_version:
      - 2
      - 0
    .max_flat_workgroup_size: 256
    .name:           _ZN7rocprim17ROCPRIM_400000_NS6detail17trampoline_kernelINS0_14default_configENS1_22reduce_config_selectorIlEEZNS1_11reduce_implILb1ES3_PlS7_lN6hipcub16HIPCUB_304000_NS6detail34convert_binary_result_type_wrapperINS9_3SumENS9_22TransformInputIteratorIb7NonZeroIdEPdlEElEEEE10hipError_tPvRmT1_T2_T3_mT4_P12ihipStream_tbEUlT_E1_NS1_11comp_targetILNS1_3genE2ELNS1_11target_archE906ELNS1_3gpuE6ELNS1_3repE0EEENS1_30default_config_static_selectorELNS0_4arch9wavefront6targetE1EEEvSM_
    .private_segment_fixed_size: 0
    .sgpr_count:     6
    .sgpr_spill_count: 0
    .symbol:         _ZN7rocprim17ROCPRIM_400000_NS6detail17trampoline_kernelINS0_14default_configENS1_22reduce_config_selectorIlEEZNS1_11reduce_implILb1ES3_PlS7_lN6hipcub16HIPCUB_304000_NS6detail34convert_binary_result_type_wrapperINS9_3SumENS9_22TransformInputIteratorIb7NonZeroIdEPdlEElEEEE10hipError_tPvRmT1_T2_T3_mT4_P12ihipStream_tbEUlT_E1_NS1_11comp_targetILNS1_3genE2ELNS1_11target_archE906ELNS1_3gpuE6ELNS1_3repE0EEENS1_30default_config_static_selectorELNS0_4arch9wavefront6targetE1EEEvSM_.kd
    .uniform_work_group_size: 1
    .uses_dynamic_stack: false
    .vgpr_count:     0
    .vgpr_spill_count: 0
    .wavefront_size: 64
  - .agpr_count:     0
    .args:
      - .offset:         0
        .size:           48
        .value_kind:     by_value
    .group_segment_fixed_size: 0
    .kernarg_segment_align: 8
    .kernarg_segment_size: 48
    .language:       OpenCL C
    .language_version:
      - 2
      - 0
    .max_flat_workgroup_size: 256
    .name:           _ZN7rocprim17ROCPRIM_400000_NS6detail17trampoline_kernelINS0_14default_configENS1_22reduce_config_selectorIlEEZNS1_11reduce_implILb1ES3_PlS7_lN6hipcub16HIPCUB_304000_NS6detail34convert_binary_result_type_wrapperINS9_3SumENS9_22TransformInputIteratorIb7NonZeroIdEPdlEElEEEE10hipError_tPvRmT1_T2_T3_mT4_P12ihipStream_tbEUlT_E1_NS1_11comp_targetILNS1_3genE10ELNS1_11target_archE1201ELNS1_3gpuE5ELNS1_3repE0EEENS1_30default_config_static_selectorELNS0_4arch9wavefront6targetE1EEEvSM_
    .private_segment_fixed_size: 0
    .sgpr_count:     6
    .sgpr_spill_count: 0
    .symbol:         _ZN7rocprim17ROCPRIM_400000_NS6detail17trampoline_kernelINS0_14default_configENS1_22reduce_config_selectorIlEEZNS1_11reduce_implILb1ES3_PlS7_lN6hipcub16HIPCUB_304000_NS6detail34convert_binary_result_type_wrapperINS9_3SumENS9_22TransformInputIteratorIb7NonZeroIdEPdlEElEEEE10hipError_tPvRmT1_T2_T3_mT4_P12ihipStream_tbEUlT_E1_NS1_11comp_targetILNS1_3genE10ELNS1_11target_archE1201ELNS1_3gpuE5ELNS1_3repE0EEENS1_30default_config_static_selectorELNS0_4arch9wavefront6targetE1EEEvSM_.kd
    .uniform_work_group_size: 1
    .uses_dynamic_stack: false
    .vgpr_count:     0
    .vgpr_spill_count: 0
    .wavefront_size: 64
  - .agpr_count:     0
    .args:
      - .offset:         0
        .size:           48
        .value_kind:     by_value
    .group_segment_fixed_size: 0
    .kernarg_segment_align: 8
    .kernarg_segment_size: 48
    .language:       OpenCL C
    .language_version:
      - 2
      - 0
    .max_flat_workgroup_size: 256
    .name:           _ZN7rocprim17ROCPRIM_400000_NS6detail17trampoline_kernelINS0_14default_configENS1_22reduce_config_selectorIlEEZNS1_11reduce_implILb1ES3_PlS7_lN6hipcub16HIPCUB_304000_NS6detail34convert_binary_result_type_wrapperINS9_3SumENS9_22TransformInputIteratorIb7NonZeroIdEPdlEElEEEE10hipError_tPvRmT1_T2_T3_mT4_P12ihipStream_tbEUlT_E1_NS1_11comp_targetILNS1_3genE10ELNS1_11target_archE1200ELNS1_3gpuE4ELNS1_3repE0EEENS1_30default_config_static_selectorELNS0_4arch9wavefront6targetE1EEEvSM_
    .private_segment_fixed_size: 0
    .sgpr_count:     6
    .sgpr_spill_count: 0
    .symbol:         _ZN7rocprim17ROCPRIM_400000_NS6detail17trampoline_kernelINS0_14default_configENS1_22reduce_config_selectorIlEEZNS1_11reduce_implILb1ES3_PlS7_lN6hipcub16HIPCUB_304000_NS6detail34convert_binary_result_type_wrapperINS9_3SumENS9_22TransformInputIteratorIb7NonZeroIdEPdlEElEEEE10hipError_tPvRmT1_T2_T3_mT4_P12ihipStream_tbEUlT_E1_NS1_11comp_targetILNS1_3genE10ELNS1_11target_archE1200ELNS1_3gpuE4ELNS1_3repE0EEENS1_30default_config_static_selectorELNS0_4arch9wavefront6targetE1EEEvSM_.kd
    .uniform_work_group_size: 1
    .uses_dynamic_stack: false
    .vgpr_count:     0
    .vgpr_spill_count: 0
    .wavefront_size: 64
  - .agpr_count:     0
    .args:
      - .offset:         0
        .size:           48
        .value_kind:     by_value
    .group_segment_fixed_size: 0
    .kernarg_segment_align: 8
    .kernarg_segment_size: 48
    .language:       OpenCL C
    .language_version:
      - 2
      - 0
    .max_flat_workgroup_size: 256
    .name:           _ZN7rocprim17ROCPRIM_400000_NS6detail17trampoline_kernelINS0_14default_configENS1_22reduce_config_selectorIlEEZNS1_11reduce_implILb1ES3_PlS7_lN6hipcub16HIPCUB_304000_NS6detail34convert_binary_result_type_wrapperINS9_3SumENS9_22TransformInputIteratorIb7NonZeroIdEPdlEElEEEE10hipError_tPvRmT1_T2_T3_mT4_P12ihipStream_tbEUlT_E1_NS1_11comp_targetILNS1_3genE9ELNS1_11target_archE1100ELNS1_3gpuE3ELNS1_3repE0EEENS1_30default_config_static_selectorELNS0_4arch9wavefront6targetE1EEEvSM_
    .private_segment_fixed_size: 0
    .sgpr_count:     6
    .sgpr_spill_count: 0
    .symbol:         _ZN7rocprim17ROCPRIM_400000_NS6detail17trampoline_kernelINS0_14default_configENS1_22reduce_config_selectorIlEEZNS1_11reduce_implILb1ES3_PlS7_lN6hipcub16HIPCUB_304000_NS6detail34convert_binary_result_type_wrapperINS9_3SumENS9_22TransformInputIteratorIb7NonZeroIdEPdlEElEEEE10hipError_tPvRmT1_T2_T3_mT4_P12ihipStream_tbEUlT_E1_NS1_11comp_targetILNS1_3genE9ELNS1_11target_archE1100ELNS1_3gpuE3ELNS1_3repE0EEENS1_30default_config_static_selectorELNS0_4arch9wavefront6targetE1EEEvSM_.kd
    .uniform_work_group_size: 1
    .uses_dynamic_stack: false
    .vgpr_count:     0
    .vgpr_spill_count: 0
    .wavefront_size: 64
  - .agpr_count:     0
    .args:
      - .offset:         0
        .size:           48
        .value_kind:     by_value
    .group_segment_fixed_size: 0
    .kernarg_segment_align: 8
    .kernarg_segment_size: 48
    .language:       OpenCL C
    .language_version:
      - 2
      - 0
    .max_flat_workgroup_size: 256
    .name:           _ZN7rocprim17ROCPRIM_400000_NS6detail17trampoline_kernelINS0_14default_configENS1_22reduce_config_selectorIlEEZNS1_11reduce_implILb1ES3_PlS7_lN6hipcub16HIPCUB_304000_NS6detail34convert_binary_result_type_wrapperINS9_3SumENS9_22TransformInputIteratorIb7NonZeroIdEPdlEElEEEE10hipError_tPvRmT1_T2_T3_mT4_P12ihipStream_tbEUlT_E1_NS1_11comp_targetILNS1_3genE8ELNS1_11target_archE1030ELNS1_3gpuE2ELNS1_3repE0EEENS1_30default_config_static_selectorELNS0_4arch9wavefront6targetE1EEEvSM_
    .private_segment_fixed_size: 0
    .sgpr_count:     6
    .sgpr_spill_count: 0
    .symbol:         _ZN7rocprim17ROCPRIM_400000_NS6detail17trampoline_kernelINS0_14default_configENS1_22reduce_config_selectorIlEEZNS1_11reduce_implILb1ES3_PlS7_lN6hipcub16HIPCUB_304000_NS6detail34convert_binary_result_type_wrapperINS9_3SumENS9_22TransformInputIteratorIb7NonZeroIdEPdlEElEEEE10hipError_tPvRmT1_T2_T3_mT4_P12ihipStream_tbEUlT_E1_NS1_11comp_targetILNS1_3genE8ELNS1_11target_archE1030ELNS1_3gpuE2ELNS1_3repE0EEENS1_30default_config_static_selectorELNS0_4arch9wavefront6targetE1EEEvSM_.kd
    .uniform_work_group_size: 1
    .uses_dynamic_stack: false
    .vgpr_count:     0
    .vgpr_spill_count: 0
    .wavefront_size: 64
  - .agpr_count:     0
    .args:
      - .offset:         0
        .size:           72
        .value_kind:     by_value
    .group_segment_fixed_size: 64
    .kernarg_segment_align: 8
    .kernarg_segment_size: 72
    .language:       OpenCL C
    .language_version:
      - 2
      - 0
    .max_flat_workgroup_size: 256
    .name:           _ZN7rocprim17ROCPRIM_400000_NS6detail17trampoline_kernelINS0_14default_configENS1_22reduce_config_selectorIbEEZNS1_11reduce_implILb1ES3_N6hipcub16HIPCUB_304000_NS22TransformInputIteratorIb7NonZeroIdEPdlEEPllNS8_6detail34convert_binary_result_type_wrapperINS8_3SumESD_lEEEE10hipError_tPvRmT1_T2_T3_mT4_P12ihipStream_tbEUlT_E0_NS1_11comp_targetILNS1_3genE0ELNS1_11target_archE4294967295ELNS1_3gpuE0ELNS1_3repE0EEENS1_30default_config_static_selectorELNS0_4arch9wavefront6targetE1EEEvSM_
    .private_segment_fixed_size: 0
    .sgpr_count:     54
    .sgpr_spill_count: 0
    .symbol:         _ZN7rocprim17ROCPRIM_400000_NS6detail17trampoline_kernelINS0_14default_configENS1_22reduce_config_selectorIbEEZNS1_11reduce_implILb1ES3_N6hipcub16HIPCUB_304000_NS22TransformInputIteratorIb7NonZeroIdEPdlEEPllNS8_6detail34convert_binary_result_type_wrapperINS8_3SumESD_lEEEE10hipError_tPvRmT1_T2_T3_mT4_P12ihipStream_tbEUlT_E0_NS1_11comp_targetILNS1_3genE0ELNS1_11target_archE4294967295ELNS1_3gpuE0ELNS1_3repE0EEENS1_30default_config_static_selectorELNS0_4arch9wavefront6targetE1EEEvSM_.kd
    .uniform_work_group_size: 1
    .uses_dynamic_stack: false
    .vgpr_count:     60
    .vgpr_spill_count: 0
    .wavefront_size: 64
  - .agpr_count:     0
    .args:
      - .offset:         0
        .size:           72
        .value_kind:     by_value
    .group_segment_fixed_size: 0
    .kernarg_segment_align: 8
    .kernarg_segment_size: 72
    .language:       OpenCL C
    .language_version:
      - 2
      - 0
    .max_flat_workgroup_size: 256
    .name:           _ZN7rocprim17ROCPRIM_400000_NS6detail17trampoline_kernelINS0_14default_configENS1_22reduce_config_selectorIbEEZNS1_11reduce_implILb1ES3_N6hipcub16HIPCUB_304000_NS22TransformInputIteratorIb7NonZeroIdEPdlEEPllNS8_6detail34convert_binary_result_type_wrapperINS8_3SumESD_lEEEE10hipError_tPvRmT1_T2_T3_mT4_P12ihipStream_tbEUlT_E0_NS1_11comp_targetILNS1_3genE5ELNS1_11target_archE942ELNS1_3gpuE9ELNS1_3repE0EEENS1_30default_config_static_selectorELNS0_4arch9wavefront6targetE1EEEvSM_
    .private_segment_fixed_size: 0
    .sgpr_count:     6
    .sgpr_spill_count: 0
    .symbol:         _ZN7rocprim17ROCPRIM_400000_NS6detail17trampoline_kernelINS0_14default_configENS1_22reduce_config_selectorIbEEZNS1_11reduce_implILb1ES3_N6hipcub16HIPCUB_304000_NS22TransformInputIteratorIb7NonZeroIdEPdlEEPllNS8_6detail34convert_binary_result_type_wrapperINS8_3SumESD_lEEEE10hipError_tPvRmT1_T2_T3_mT4_P12ihipStream_tbEUlT_E0_NS1_11comp_targetILNS1_3genE5ELNS1_11target_archE942ELNS1_3gpuE9ELNS1_3repE0EEENS1_30default_config_static_selectorELNS0_4arch9wavefront6targetE1EEEvSM_.kd
    .uniform_work_group_size: 1
    .uses_dynamic_stack: false
    .vgpr_count:     0
    .vgpr_spill_count: 0
    .wavefront_size: 64
  - .agpr_count:     0
    .args:
      - .offset:         0
        .size:           72
        .value_kind:     by_value
    .group_segment_fixed_size: 0
    .kernarg_segment_align: 8
    .kernarg_segment_size: 72
    .language:       OpenCL C
    .language_version:
      - 2
      - 0
    .max_flat_workgroup_size: 128
    .name:           _ZN7rocprim17ROCPRIM_400000_NS6detail17trampoline_kernelINS0_14default_configENS1_22reduce_config_selectorIbEEZNS1_11reduce_implILb1ES3_N6hipcub16HIPCUB_304000_NS22TransformInputIteratorIb7NonZeroIdEPdlEEPllNS8_6detail34convert_binary_result_type_wrapperINS8_3SumESD_lEEEE10hipError_tPvRmT1_T2_T3_mT4_P12ihipStream_tbEUlT_E0_NS1_11comp_targetILNS1_3genE4ELNS1_11target_archE910ELNS1_3gpuE8ELNS1_3repE0EEENS1_30default_config_static_selectorELNS0_4arch9wavefront6targetE1EEEvSM_
    .private_segment_fixed_size: 0
    .sgpr_count:     6
    .sgpr_spill_count: 0
    .symbol:         _ZN7rocprim17ROCPRIM_400000_NS6detail17trampoline_kernelINS0_14default_configENS1_22reduce_config_selectorIbEEZNS1_11reduce_implILb1ES3_N6hipcub16HIPCUB_304000_NS22TransformInputIteratorIb7NonZeroIdEPdlEEPllNS8_6detail34convert_binary_result_type_wrapperINS8_3SumESD_lEEEE10hipError_tPvRmT1_T2_T3_mT4_P12ihipStream_tbEUlT_E0_NS1_11comp_targetILNS1_3genE4ELNS1_11target_archE910ELNS1_3gpuE8ELNS1_3repE0EEENS1_30default_config_static_selectorELNS0_4arch9wavefront6targetE1EEEvSM_.kd
    .uniform_work_group_size: 1
    .uses_dynamic_stack: false
    .vgpr_count:     0
    .vgpr_spill_count: 0
    .wavefront_size: 64
  - .agpr_count:     0
    .args:
      - .offset:         0
        .size:           72
        .value_kind:     by_value
    .group_segment_fixed_size: 0
    .kernarg_segment_align: 8
    .kernarg_segment_size: 72
    .language:       OpenCL C
    .language_version:
      - 2
      - 0
    .max_flat_workgroup_size: 256
    .name:           _ZN7rocprim17ROCPRIM_400000_NS6detail17trampoline_kernelINS0_14default_configENS1_22reduce_config_selectorIbEEZNS1_11reduce_implILb1ES3_N6hipcub16HIPCUB_304000_NS22TransformInputIteratorIb7NonZeroIdEPdlEEPllNS8_6detail34convert_binary_result_type_wrapperINS8_3SumESD_lEEEE10hipError_tPvRmT1_T2_T3_mT4_P12ihipStream_tbEUlT_E0_NS1_11comp_targetILNS1_3genE3ELNS1_11target_archE908ELNS1_3gpuE7ELNS1_3repE0EEENS1_30default_config_static_selectorELNS0_4arch9wavefront6targetE1EEEvSM_
    .private_segment_fixed_size: 0
    .sgpr_count:     6
    .sgpr_spill_count: 0
    .symbol:         _ZN7rocprim17ROCPRIM_400000_NS6detail17trampoline_kernelINS0_14default_configENS1_22reduce_config_selectorIbEEZNS1_11reduce_implILb1ES3_N6hipcub16HIPCUB_304000_NS22TransformInputIteratorIb7NonZeroIdEPdlEEPllNS8_6detail34convert_binary_result_type_wrapperINS8_3SumESD_lEEEE10hipError_tPvRmT1_T2_T3_mT4_P12ihipStream_tbEUlT_E0_NS1_11comp_targetILNS1_3genE3ELNS1_11target_archE908ELNS1_3gpuE7ELNS1_3repE0EEENS1_30default_config_static_selectorELNS0_4arch9wavefront6targetE1EEEvSM_.kd
    .uniform_work_group_size: 1
    .uses_dynamic_stack: false
    .vgpr_count:     0
    .vgpr_spill_count: 0
    .wavefront_size: 64
  - .agpr_count:     0
    .args:
      - .offset:         0
        .size:           72
        .value_kind:     by_value
    .group_segment_fixed_size: 0
    .kernarg_segment_align: 8
    .kernarg_segment_size: 72
    .language:       OpenCL C
    .language_version:
      - 2
      - 0
    .max_flat_workgroup_size: 128
    .name:           _ZN7rocprim17ROCPRIM_400000_NS6detail17trampoline_kernelINS0_14default_configENS1_22reduce_config_selectorIbEEZNS1_11reduce_implILb1ES3_N6hipcub16HIPCUB_304000_NS22TransformInputIteratorIb7NonZeroIdEPdlEEPllNS8_6detail34convert_binary_result_type_wrapperINS8_3SumESD_lEEEE10hipError_tPvRmT1_T2_T3_mT4_P12ihipStream_tbEUlT_E0_NS1_11comp_targetILNS1_3genE2ELNS1_11target_archE906ELNS1_3gpuE6ELNS1_3repE0EEENS1_30default_config_static_selectorELNS0_4arch9wavefront6targetE1EEEvSM_
    .private_segment_fixed_size: 0
    .sgpr_count:     6
    .sgpr_spill_count: 0
    .symbol:         _ZN7rocprim17ROCPRIM_400000_NS6detail17trampoline_kernelINS0_14default_configENS1_22reduce_config_selectorIbEEZNS1_11reduce_implILb1ES3_N6hipcub16HIPCUB_304000_NS22TransformInputIteratorIb7NonZeroIdEPdlEEPllNS8_6detail34convert_binary_result_type_wrapperINS8_3SumESD_lEEEE10hipError_tPvRmT1_T2_T3_mT4_P12ihipStream_tbEUlT_E0_NS1_11comp_targetILNS1_3genE2ELNS1_11target_archE906ELNS1_3gpuE6ELNS1_3repE0EEENS1_30default_config_static_selectorELNS0_4arch9wavefront6targetE1EEEvSM_.kd
    .uniform_work_group_size: 1
    .uses_dynamic_stack: false
    .vgpr_count:     0
    .vgpr_spill_count: 0
    .wavefront_size: 64
  - .agpr_count:     0
    .args:
      - .offset:         0
        .size:           72
        .value_kind:     by_value
    .group_segment_fixed_size: 0
    .kernarg_segment_align: 8
    .kernarg_segment_size: 72
    .language:       OpenCL C
    .language_version:
      - 2
      - 0
    .max_flat_workgroup_size: 256
    .name:           _ZN7rocprim17ROCPRIM_400000_NS6detail17trampoline_kernelINS0_14default_configENS1_22reduce_config_selectorIbEEZNS1_11reduce_implILb1ES3_N6hipcub16HIPCUB_304000_NS22TransformInputIteratorIb7NonZeroIdEPdlEEPllNS8_6detail34convert_binary_result_type_wrapperINS8_3SumESD_lEEEE10hipError_tPvRmT1_T2_T3_mT4_P12ihipStream_tbEUlT_E0_NS1_11comp_targetILNS1_3genE10ELNS1_11target_archE1201ELNS1_3gpuE5ELNS1_3repE0EEENS1_30default_config_static_selectorELNS0_4arch9wavefront6targetE1EEEvSM_
    .private_segment_fixed_size: 0
    .sgpr_count:     6
    .sgpr_spill_count: 0
    .symbol:         _ZN7rocprim17ROCPRIM_400000_NS6detail17trampoline_kernelINS0_14default_configENS1_22reduce_config_selectorIbEEZNS1_11reduce_implILb1ES3_N6hipcub16HIPCUB_304000_NS22TransformInputIteratorIb7NonZeroIdEPdlEEPllNS8_6detail34convert_binary_result_type_wrapperINS8_3SumESD_lEEEE10hipError_tPvRmT1_T2_T3_mT4_P12ihipStream_tbEUlT_E0_NS1_11comp_targetILNS1_3genE10ELNS1_11target_archE1201ELNS1_3gpuE5ELNS1_3repE0EEENS1_30default_config_static_selectorELNS0_4arch9wavefront6targetE1EEEvSM_.kd
    .uniform_work_group_size: 1
    .uses_dynamic_stack: false
    .vgpr_count:     0
    .vgpr_spill_count: 0
    .wavefront_size: 64
  - .agpr_count:     0
    .args:
      - .offset:         0
        .size:           72
        .value_kind:     by_value
    .group_segment_fixed_size: 0
    .kernarg_segment_align: 8
    .kernarg_segment_size: 72
    .language:       OpenCL C
    .language_version:
      - 2
      - 0
    .max_flat_workgroup_size: 256
    .name:           _ZN7rocprim17ROCPRIM_400000_NS6detail17trampoline_kernelINS0_14default_configENS1_22reduce_config_selectorIbEEZNS1_11reduce_implILb1ES3_N6hipcub16HIPCUB_304000_NS22TransformInputIteratorIb7NonZeroIdEPdlEEPllNS8_6detail34convert_binary_result_type_wrapperINS8_3SumESD_lEEEE10hipError_tPvRmT1_T2_T3_mT4_P12ihipStream_tbEUlT_E0_NS1_11comp_targetILNS1_3genE10ELNS1_11target_archE1200ELNS1_3gpuE4ELNS1_3repE0EEENS1_30default_config_static_selectorELNS0_4arch9wavefront6targetE1EEEvSM_
    .private_segment_fixed_size: 0
    .sgpr_count:     6
    .sgpr_spill_count: 0
    .symbol:         _ZN7rocprim17ROCPRIM_400000_NS6detail17trampoline_kernelINS0_14default_configENS1_22reduce_config_selectorIbEEZNS1_11reduce_implILb1ES3_N6hipcub16HIPCUB_304000_NS22TransformInputIteratorIb7NonZeroIdEPdlEEPllNS8_6detail34convert_binary_result_type_wrapperINS8_3SumESD_lEEEE10hipError_tPvRmT1_T2_T3_mT4_P12ihipStream_tbEUlT_E0_NS1_11comp_targetILNS1_3genE10ELNS1_11target_archE1200ELNS1_3gpuE4ELNS1_3repE0EEENS1_30default_config_static_selectorELNS0_4arch9wavefront6targetE1EEEvSM_.kd
    .uniform_work_group_size: 1
    .uses_dynamic_stack: false
    .vgpr_count:     0
    .vgpr_spill_count: 0
    .wavefront_size: 64
  - .agpr_count:     0
    .args:
      - .offset:         0
        .size:           72
        .value_kind:     by_value
    .group_segment_fixed_size: 0
    .kernarg_segment_align: 8
    .kernarg_segment_size: 72
    .language:       OpenCL C
    .language_version:
      - 2
      - 0
    .max_flat_workgroup_size: 128
    .name:           _ZN7rocprim17ROCPRIM_400000_NS6detail17trampoline_kernelINS0_14default_configENS1_22reduce_config_selectorIbEEZNS1_11reduce_implILb1ES3_N6hipcub16HIPCUB_304000_NS22TransformInputIteratorIb7NonZeroIdEPdlEEPllNS8_6detail34convert_binary_result_type_wrapperINS8_3SumESD_lEEEE10hipError_tPvRmT1_T2_T3_mT4_P12ihipStream_tbEUlT_E0_NS1_11comp_targetILNS1_3genE9ELNS1_11target_archE1100ELNS1_3gpuE3ELNS1_3repE0EEENS1_30default_config_static_selectorELNS0_4arch9wavefront6targetE1EEEvSM_
    .private_segment_fixed_size: 0
    .sgpr_count:     6
    .sgpr_spill_count: 0
    .symbol:         _ZN7rocprim17ROCPRIM_400000_NS6detail17trampoline_kernelINS0_14default_configENS1_22reduce_config_selectorIbEEZNS1_11reduce_implILb1ES3_N6hipcub16HIPCUB_304000_NS22TransformInputIteratorIb7NonZeroIdEPdlEEPllNS8_6detail34convert_binary_result_type_wrapperINS8_3SumESD_lEEEE10hipError_tPvRmT1_T2_T3_mT4_P12ihipStream_tbEUlT_E0_NS1_11comp_targetILNS1_3genE9ELNS1_11target_archE1100ELNS1_3gpuE3ELNS1_3repE0EEENS1_30default_config_static_selectorELNS0_4arch9wavefront6targetE1EEEvSM_.kd
    .uniform_work_group_size: 1
    .uses_dynamic_stack: false
    .vgpr_count:     0
    .vgpr_spill_count: 0
    .wavefront_size: 64
  - .agpr_count:     0
    .args:
      - .offset:         0
        .size:           72
        .value_kind:     by_value
    .group_segment_fixed_size: 0
    .kernarg_segment_align: 8
    .kernarg_segment_size: 72
    .language:       OpenCL C
    .language_version:
      - 2
      - 0
    .max_flat_workgroup_size: 256
    .name:           _ZN7rocprim17ROCPRIM_400000_NS6detail17trampoline_kernelINS0_14default_configENS1_22reduce_config_selectorIbEEZNS1_11reduce_implILb1ES3_N6hipcub16HIPCUB_304000_NS22TransformInputIteratorIb7NonZeroIdEPdlEEPllNS8_6detail34convert_binary_result_type_wrapperINS8_3SumESD_lEEEE10hipError_tPvRmT1_T2_T3_mT4_P12ihipStream_tbEUlT_E0_NS1_11comp_targetILNS1_3genE8ELNS1_11target_archE1030ELNS1_3gpuE2ELNS1_3repE0EEENS1_30default_config_static_selectorELNS0_4arch9wavefront6targetE1EEEvSM_
    .private_segment_fixed_size: 0
    .sgpr_count:     6
    .sgpr_spill_count: 0
    .symbol:         _ZN7rocprim17ROCPRIM_400000_NS6detail17trampoline_kernelINS0_14default_configENS1_22reduce_config_selectorIbEEZNS1_11reduce_implILb1ES3_N6hipcub16HIPCUB_304000_NS22TransformInputIteratorIb7NonZeroIdEPdlEEPllNS8_6detail34convert_binary_result_type_wrapperINS8_3SumESD_lEEEE10hipError_tPvRmT1_T2_T3_mT4_P12ihipStream_tbEUlT_E0_NS1_11comp_targetILNS1_3genE8ELNS1_11target_archE1030ELNS1_3gpuE2ELNS1_3repE0EEENS1_30default_config_static_selectorELNS0_4arch9wavefront6targetE1EEEvSM_.kd
    .uniform_work_group_size: 1
    .uses_dynamic_stack: false
    .vgpr_count:     0
    .vgpr_spill_count: 0
    .wavefront_size: 64
  - .agpr_count:     4
    .args:
      - .offset:         0
        .size:           56
        .value_kind:     by_value
    .group_segment_fixed_size: 288
    .kernarg_segment_align: 8
    .kernarg_segment_size: 56
    .language:       OpenCL C
    .language_version:
      - 2
      - 0
    .max_flat_workgroup_size: 256
    .name:           _ZN7rocprim17ROCPRIM_400000_NS6detail17trampoline_kernelINS0_14default_configENS1_22reduce_config_selectorIbEEZNS1_11reduce_implILb1ES3_N6hipcub16HIPCUB_304000_NS22TransformInputIteratorIb7NonZeroIdEPdlEEPllNS8_6detail34convert_binary_result_type_wrapperINS8_3SumESD_lEEEE10hipError_tPvRmT1_T2_T3_mT4_P12ihipStream_tbEUlT_E1_NS1_11comp_targetILNS1_3genE0ELNS1_11target_archE4294967295ELNS1_3gpuE0ELNS1_3repE0EEENS1_30default_config_static_selectorELNS0_4arch9wavefront6targetE1EEEvSM_
    .private_segment_fixed_size: 0
    .sgpr_count:     52
    .sgpr_spill_count: 0
    .symbol:         _ZN7rocprim17ROCPRIM_400000_NS6detail17trampoline_kernelINS0_14default_configENS1_22reduce_config_selectorIbEEZNS1_11reduce_implILb1ES3_N6hipcub16HIPCUB_304000_NS22TransformInputIteratorIb7NonZeroIdEPdlEEPllNS8_6detail34convert_binary_result_type_wrapperINS8_3SumESD_lEEEE10hipError_tPvRmT1_T2_T3_mT4_P12ihipStream_tbEUlT_E1_NS1_11comp_targetILNS1_3genE0ELNS1_11target_archE4294967295ELNS1_3gpuE0ELNS1_3repE0EEENS1_30default_config_static_selectorELNS0_4arch9wavefront6targetE1EEEvSM_.kd
    .uniform_work_group_size: 1
    .uses_dynamic_stack: false
    .vgpr_count:     260
    .vgpr_spill_count: 0
    .wavefront_size: 64
  - .agpr_count:     0
    .args:
      - .offset:         0
        .size:           56
        .value_kind:     by_value
    .group_segment_fixed_size: 0
    .kernarg_segment_align: 8
    .kernarg_segment_size: 56
    .language:       OpenCL C
    .language_version:
      - 2
      - 0
    .max_flat_workgroup_size: 256
    .name:           _ZN7rocprim17ROCPRIM_400000_NS6detail17trampoline_kernelINS0_14default_configENS1_22reduce_config_selectorIbEEZNS1_11reduce_implILb1ES3_N6hipcub16HIPCUB_304000_NS22TransformInputIteratorIb7NonZeroIdEPdlEEPllNS8_6detail34convert_binary_result_type_wrapperINS8_3SumESD_lEEEE10hipError_tPvRmT1_T2_T3_mT4_P12ihipStream_tbEUlT_E1_NS1_11comp_targetILNS1_3genE5ELNS1_11target_archE942ELNS1_3gpuE9ELNS1_3repE0EEENS1_30default_config_static_selectorELNS0_4arch9wavefront6targetE1EEEvSM_
    .private_segment_fixed_size: 0
    .sgpr_count:     6
    .sgpr_spill_count: 0
    .symbol:         _ZN7rocprim17ROCPRIM_400000_NS6detail17trampoline_kernelINS0_14default_configENS1_22reduce_config_selectorIbEEZNS1_11reduce_implILb1ES3_N6hipcub16HIPCUB_304000_NS22TransformInputIteratorIb7NonZeroIdEPdlEEPllNS8_6detail34convert_binary_result_type_wrapperINS8_3SumESD_lEEEE10hipError_tPvRmT1_T2_T3_mT4_P12ihipStream_tbEUlT_E1_NS1_11comp_targetILNS1_3genE5ELNS1_11target_archE942ELNS1_3gpuE9ELNS1_3repE0EEENS1_30default_config_static_selectorELNS0_4arch9wavefront6targetE1EEEvSM_.kd
    .uniform_work_group_size: 1
    .uses_dynamic_stack: false
    .vgpr_count:     0
    .vgpr_spill_count: 0
    .wavefront_size: 64
  - .agpr_count:     0
    .args:
      - .offset:         0
        .size:           56
        .value_kind:     by_value
    .group_segment_fixed_size: 0
    .kernarg_segment_align: 8
    .kernarg_segment_size: 56
    .language:       OpenCL C
    .language_version:
      - 2
      - 0
    .max_flat_workgroup_size: 128
    .name:           _ZN7rocprim17ROCPRIM_400000_NS6detail17trampoline_kernelINS0_14default_configENS1_22reduce_config_selectorIbEEZNS1_11reduce_implILb1ES3_N6hipcub16HIPCUB_304000_NS22TransformInputIteratorIb7NonZeroIdEPdlEEPllNS8_6detail34convert_binary_result_type_wrapperINS8_3SumESD_lEEEE10hipError_tPvRmT1_T2_T3_mT4_P12ihipStream_tbEUlT_E1_NS1_11comp_targetILNS1_3genE4ELNS1_11target_archE910ELNS1_3gpuE8ELNS1_3repE0EEENS1_30default_config_static_selectorELNS0_4arch9wavefront6targetE1EEEvSM_
    .private_segment_fixed_size: 0
    .sgpr_count:     6
    .sgpr_spill_count: 0
    .symbol:         _ZN7rocprim17ROCPRIM_400000_NS6detail17trampoline_kernelINS0_14default_configENS1_22reduce_config_selectorIbEEZNS1_11reduce_implILb1ES3_N6hipcub16HIPCUB_304000_NS22TransformInputIteratorIb7NonZeroIdEPdlEEPllNS8_6detail34convert_binary_result_type_wrapperINS8_3SumESD_lEEEE10hipError_tPvRmT1_T2_T3_mT4_P12ihipStream_tbEUlT_E1_NS1_11comp_targetILNS1_3genE4ELNS1_11target_archE910ELNS1_3gpuE8ELNS1_3repE0EEENS1_30default_config_static_selectorELNS0_4arch9wavefront6targetE1EEEvSM_.kd
    .uniform_work_group_size: 1
    .uses_dynamic_stack: false
    .vgpr_count:     0
    .vgpr_spill_count: 0
    .wavefront_size: 64
  - .agpr_count:     0
    .args:
      - .offset:         0
        .size:           56
        .value_kind:     by_value
    .group_segment_fixed_size: 0
    .kernarg_segment_align: 8
    .kernarg_segment_size: 56
    .language:       OpenCL C
    .language_version:
      - 2
      - 0
    .max_flat_workgroup_size: 256
    .name:           _ZN7rocprim17ROCPRIM_400000_NS6detail17trampoline_kernelINS0_14default_configENS1_22reduce_config_selectorIbEEZNS1_11reduce_implILb1ES3_N6hipcub16HIPCUB_304000_NS22TransformInputIteratorIb7NonZeroIdEPdlEEPllNS8_6detail34convert_binary_result_type_wrapperINS8_3SumESD_lEEEE10hipError_tPvRmT1_T2_T3_mT4_P12ihipStream_tbEUlT_E1_NS1_11comp_targetILNS1_3genE3ELNS1_11target_archE908ELNS1_3gpuE7ELNS1_3repE0EEENS1_30default_config_static_selectorELNS0_4arch9wavefront6targetE1EEEvSM_
    .private_segment_fixed_size: 0
    .sgpr_count:     6
    .sgpr_spill_count: 0
    .symbol:         _ZN7rocprim17ROCPRIM_400000_NS6detail17trampoline_kernelINS0_14default_configENS1_22reduce_config_selectorIbEEZNS1_11reduce_implILb1ES3_N6hipcub16HIPCUB_304000_NS22TransformInputIteratorIb7NonZeroIdEPdlEEPllNS8_6detail34convert_binary_result_type_wrapperINS8_3SumESD_lEEEE10hipError_tPvRmT1_T2_T3_mT4_P12ihipStream_tbEUlT_E1_NS1_11comp_targetILNS1_3genE3ELNS1_11target_archE908ELNS1_3gpuE7ELNS1_3repE0EEENS1_30default_config_static_selectorELNS0_4arch9wavefront6targetE1EEEvSM_.kd
    .uniform_work_group_size: 1
    .uses_dynamic_stack: false
    .vgpr_count:     0
    .vgpr_spill_count: 0
    .wavefront_size: 64
  - .agpr_count:     0
    .args:
      - .offset:         0
        .size:           56
        .value_kind:     by_value
    .group_segment_fixed_size: 0
    .kernarg_segment_align: 8
    .kernarg_segment_size: 56
    .language:       OpenCL C
    .language_version:
      - 2
      - 0
    .max_flat_workgroup_size: 128
    .name:           _ZN7rocprim17ROCPRIM_400000_NS6detail17trampoline_kernelINS0_14default_configENS1_22reduce_config_selectorIbEEZNS1_11reduce_implILb1ES3_N6hipcub16HIPCUB_304000_NS22TransformInputIteratorIb7NonZeroIdEPdlEEPllNS8_6detail34convert_binary_result_type_wrapperINS8_3SumESD_lEEEE10hipError_tPvRmT1_T2_T3_mT4_P12ihipStream_tbEUlT_E1_NS1_11comp_targetILNS1_3genE2ELNS1_11target_archE906ELNS1_3gpuE6ELNS1_3repE0EEENS1_30default_config_static_selectorELNS0_4arch9wavefront6targetE1EEEvSM_
    .private_segment_fixed_size: 0
    .sgpr_count:     6
    .sgpr_spill_count: 0
    .symbol:         _ZN7rocprim17ROCPRIM_400000_NS6detail17trampoline_kernelINS0_14default_configENS1_22reduce_config_selectorIbEEZNS1_11reduce_implILb1ES3_N6hipcub16HIPCUB_304000_NS22TransformInputIteratorIb7NonZeroIdEPdlEEPllNS8_6detail34convert_binary_result_type_wrapperINS8_3SumESD_lEEEE10hipError_tPvRmT1_T2_T3_mT4_P12ihipStream_tbEUlT_E1_NS1_11comp_targetILNS1_3genE2ELNS1_11target_archE906ELNS1_3gpuE6ELNS1_3repE0EEENS1_30default_config_static_selectorELNS0_4arch9wavefront6targetE1EEEvSM_.kd
    .uniform_work_group_size: 1
    .uses_dynamic_stack: false
    .vgpr_count:     0
    .vgpr_spill_count: 0
    .wavefront_size: 64
  - .agpr_count:     0
    .args:
      - .offset:         0
        .size:           56
        .value_kind:     by_value
    .group_segment_fixed_size: 0
    .kernarg_segment_align: 8
    .kernarg_segment_size: 56
    .language:       OpenCL C
    .language_version:
      - 2
      - 0
    .max_flat_workgroup_size: 256
    .name:           _ZN7rocprim17ROCPRIM_400000_NS6detail17trampoline_kernelINS0_14default_configENS1_22reduce_config_selectorIbEEZNS1_11reduce_implILb1ES3_N6hipcub16HIPCUB_304000_NS22TransformInputIteratorIb7NonZeroIdEPdlEEPllNS8_6detail34convert_binary_result_type_wrapperINS8_3SumESD_lEEEE10hipError_tPvRmT1_T2_T3_mT4_P12ihipStream_tbEUlT_E1_NS1_11comp_targetILNS1_3genE10ELNS1_11target_archE1201ELNS1_3gpuE5ELNS1_3repE0EEENS1_30default_config_static_selectorELNS0_4arch9wavefront6targetE1EEEvSM_
    .private_segment_fixed_size: 0
    .sgpr_count:     6
    .sgpr_spill_count: 0
    .symbol:         _ZN7rocprim17ROCPRIM_400000_NS6detail17trampoline_kernelINS0_14default_configENS1_22reduce_config_selectorIbEEZNS1_11reduce_implILb1ES3_N6hipcub16HIPCUB_304000_NS22TransformInputIteratorIb7NonZeroIdEPdlEEPllNS8_6detail34convert_binary_result_type_wrapperINS8_3SumESD_lEEEE10hipError_tPvRmT1_T2_T3_mT4_P12ihipStream_tbEUlT_E1_NS1_11comp_targetILNS1_3genE10ELNS1_11target_archE1201ELNS1_3gpuE5ELNS1_3repE0EEENS1_30default_config_static_selectorELNS0_4arch9wavefront6targetE1EEEvSM_.kd
    .uniform_work_group_size: 1
    .uses_dynamic_stack: false
    .vgpr_count:     0
    .vgpr_spill_count: 0
    .wavefront_size: 64
  - .agpr_count:     0
    .args:
      - .offset:         0
        .size:           56
        .value_kind:     by_value
    .group_segment_fixed_size: 0
    .kernarg_segment_align: 8
    .kernarg_segment_size: 56
    .language:       OpenCL C
    .language_version:
      - 2
      - 0
    .max_flat_workgroup_size: 256
    .name:           _ZN7rocprim17ROCPRIM_400000_NS6detail17trampoline_kernelINS0_14default_configENS1_22reduce_config_selectorIbEEZNS1_11reduce_implILb1ES3_N6hipcub16HIPCUB_304000_NS22TransformInputIteratorIb7NonZeroIdEPdlEEPllNS8_6detail34convert_binary_result_type_wrapperINS8_3SumESD_lEEEE10hipError_tPvRmT1_T2_T3_mT4_P12ihipStream_tbEUlT_E1_NS1_11comp_targetILNS1_3genE10ELNS1_11target_archE1200ELNS1_3gpuE4ELNS1_3repE0EEENS1_30default_config_static_selectorELNS0_4arch9wavefront6targetE1EEEvSM_
    .private_segment_fixed_size: 0
    .sgpr_count:     6
    .sgpr_spill_count: 0
    .symbol:         _ZN7rocprim17ROCPRIM_400000_NS6detail17trampoline_kernelINS0_14default_configENS1_22reduce_config_selectorIbEEZNS1_11reduce_implILb1ES3_N6hipcub16HIPCUB_304000_NS22TransformInputIteratorIb7NonZeroIdEPdlEEPllNS8_6detail34convert_binary_result_type_wrapperINS8_3SumESD_lEEEE10hipError_tPvRmT1_T2_T3_mT4_P12ihipStream_tbEUlT_E1_NS1_11comp_targetILNS1_3genE10ELNS1_11target_archE1200ELNS1_3gpuE4ELNS1_3repE0EEENS1_30default_config_static_selectorELNS0_4arch9wavefront6targetE1EEEvSM_.kd
    .uniform_work_group_size: 1
    .uses_dynamic_stack: false
    .vgpr_count:     0
    .vgpr_spill_count: 0
    .wavefront_size: 64
  - .agpr_count:     0
    .args:
      - .offset:         0
        .size:           56
        .value_kind:     by_value
    .group_segment_fixed_size: 0
    .kernarg_segment_align: 8
    .kernarg_segment_size: 56
    .language:       OpenCL C
    .language_version:
      - 2
      - 0
    .max_flat_workgroup_size: 128
    .name:           _ZN7rocprim17ROCPRIM_400000_NS6detail17trampoline_kernelINS0_14default_configENS1_22reduce_config_selectorIbEEZNS1_11reduce_implILb1ES3_N6hipcub16HIPCUB_304000_NS22TransformInputIteratorIb7NonZeroIdEPdlEEPllNS8_6detail34convert_binary_result_type_wrapperINS8_3SumESD_lEEEE10hipError_tPvRmT1_T2_T3_mT4_P12ihipStream_tbEUlT_E1_NS1_11comp_targetILNS1_3genE9ELNS1_11target_archE1100ELNS1_3gpuE3ELNS1_3repE0EEENS1_30default_config_static_selectorELNS0_4arch9wavefront6targetE1EEEvSM_
    .private_segment_fixed_size: 0
    .sgpr_count:     6
    .sgpr_spill_count: 0
    .symbol:         _ZN7rocprim17ROCPRIM_400000_NS6detail17trampoline_kernelINS0_14default_configENS1_22reduce_config_selectorIbEEZNS1_11reduce_implILb1ES3_N6hipcub16HIPCUB_304000_NS22TransformInputIteratorIb7NonZeroIdEPdlEEPllNS8_6detail34convert_binary_result_type_wrapperINS8_3SumESD_lEEEE10hipError_tPvRmT1_T2_T3_mT4_P12ihipStream_tbEUlT_E1_NS1_11comp_targetILNS1_3genE9ELNS1_11target_archE1100ELNS1_3gpuE3ELNS1_3repE0EEENS1_30default_config_static_selectorELNS0_4arch9wavefront6targetE1EEEvSM_.kd
    .uniform_work_group_size: 1
    .uses_dynamic_stack: false
    .vgpr_count:     0
    .vgpr_spill_count: 0
    .wavefront_size: 64
  - .agpr_count:     0
    .args:
      - .offset:         0
        .size:           56
        .value_kind:     by_value
    .group_segment_fixed_size: 0
    .kernarg_segment_align: 8
    .kernarg_segment_size: 56
    .language:       OpenCL C
    .language_version:
      - 2
      - 0
    .max_flat_workgroup_size: 256
    .name:           _ZN7rocprim17ROCPRIM_400000_NS6detail17trampoline_kernelINS0_14default_configENS1_22reduce_config_selectorIbEEZNS1_11reduce_implILb1ES3_N6hipcub16HIPCUB_304000_NS22TransformInputIteratorIb7NonZeroIdEPdlEEPllNS8_6detail34convert_binary_result_type_wrapperINS8_3SumESD_lEEEE10hipError_tPvRmT1_T2_T3_mT4_P12ihipStream_tbEUlT_E1_NS1_11comp_targetILNS1_3genE8ELNS1_11target_archE1030ELNS1_3gpuE2ELNS1_3repE0EEENS1_30default_config_static_selectorELNS0_4arch9wavefront6targetE1EEEvSM_
    .private_segment_fixed_size: 0
    .sgpr_count:     6
    .sgpr_spill_count: 0
    .symbol:         _ZN7rocprim17ROCPRIM_400000_NS6detail17trampoline_kernelINS0_14default_configENS1_22reduce_config_selectorIbEEZNS1_11reduce_implILb1ES3_N6hipcub16HIPCUB_304000_NS22TransformInputIteratorIb7NonZeroIdEPdlEEPllNS8_6detail34convert_binary_result_type_wrapperINS8_3SumESD_lEEEE10hipError_tPvRmT1_T2_T3_mT4_P12ihipStream_tbEUlT_E1_NS1_11comp_targetILNS1_3genE8ELNS1_11target_archE1030ELNS1_3gpuE2ELNS1_3repE0EEENS1_30default_config_static_selectorELNS0_4arch9wavefront6targetE1EEEvSM_.kd
    .uniform_work_group_size: 1
    .uses_dynamic_stack: false
    .vgpr_count:     0
    .vgpr_spill_count: 0
    .wavefront_size: 64
  - .agpr_count:     0
    .args:
      - .offset:         0
        .size:           120
        .value_kind:     by_value
    .group_segment_fixed_size: 7184
    .kernarg_segment_align: 8
    .kernarg_segment_size: 120
    .language:       OpenCL C
    .language_version:
      - 2
      - 0
    .max_flat_workgroup_size: 128
    .name:           _ZN7rocprim17ROCPRIM_400000_NS6detail17trampoline_kernelINS0_14default_configENS1_25partition_config_selectorILNS1_17partition_subalgoE5ElNS0_10empty_typeEbEEZZNS1_14partition_implILS5_5ELb0ES3_mN6hipcub16HIPCUB_304000_NS21CountingInputIteratorIllEEPS6_NSA_22TransformInputIteratorIb7NonZeroIdEPdlEENS0_5tupleIJPlS6_EEENSJ_IJSD_SD_EEES6_SK_JS6_EEE10hipError_tPvRmT3_T4_T5_T6_T7_T9_mT8_P12ihipStream_tbDpT10_ENKUlT_T0_E_clISt17integral_constantIbLb0EES16_EEDaS11_S12_EUlS11_E_NS1_11comp_targetILNS1_3genE0ELNS1_11target_archE4294967295ELNS1_3gpuE0ELNS1_3repE0EEENS1_30default_config_static_selectorELNS0_4arch9wavefront6targetE1EEEvT1_
    .private_segment_fixed_size: 0
    .sgpr_count:     34
    .sgpr_spill_count: 0
    .symbol:         _ZN7rocprim17ROCPRIM_400000_NS6detail17trampoline_kernelINS0_14default_configENS1_25partition_config_selectorILNS1_17partition_subalgoE5ElNS0_10empty_typeEbEEZZNS1_14partition_implILS5_5ELb0ES3_mN6hipcub16HIPCUB_304000_NS21CountingInputIteratorIllEEPS6_NSA_22TransformInputIteratorIb7NonZeroIdEPdlEENS0_5tupleIJPlS6_EEENSJ_IJSD_SD_EEES6_SK_JS6_EEE10hipError_tPvRmT3_T4_T5_T6_T7_T9_mT8_P12ihipStream_tbDpT10_ENKUlT_T0_E_clISt17integral_constantIbLb0EES16_EEDaS11_S12_EUlS11_E_NS1_11comp_targetILNS1_3genE0ELNS1_11target_archE4294967295ELNS1_3gpuE0ELNS1_3repE0EEENS1_30default_config_static_selectorELNS0_4arch9wavefront6targetE1EEEvT1_.kd
    .uniform_work_group_size: 1
    .uses_dynamic_stack: false
    .vgpr_count:     70
    .vgpr_spill_count: 0
    .wavefront_size: 64
  - .agpr_count:     0
    .args:
      - .offset:         0
        .size:           120
        .value_kind:     by_value
    .group_segment_fixed_size: 0
    .kernarg_segment_align: 8
    .kernarg_segment_size: 120
    .language:       OpenCL C
    .language_version:
      - 2
      - 0
    .max_flat_workgroup_size: 512
    .name:           _ZN7rocprim17ROCPRIM_400000_NS6detail17trampoline_kernelINS0_14default_configENS1_25partition_config_selectorILNS1_17partition_subalgoE5ElNS0_10empty_typeEbEEZZNS1_14partition_implILS5_5ELb0ES3_mN6hipcub16HIPCUB_304000_NS21CountingInputIteratorIllEEPS6_NSA_22TransformInputIteratorIb7NonZeroIdEPdlEENS0_5tupleIJPlS6_EEENSJ_IJSD_SD_EEES6_SK_JS6_EEE10hipError_tPvRmT3_T4_T5_T6_T7_T9_mT8_P12ihipStream_tbDpT10_ENKUlT_T0_E_clISt17integral_constantIbLb0EES16_EEDaS11_S12_EUlS11_E_NS1_11comp_targetILNS1_3genE5ELNS1_11target_archE942ELNS1_3gpuE9ELNS1_3repE0EEENS1_30default_config_static_selectorELNS0_4arch9wavefront6targetE1EEEvT1_
    .private_segment_fixed_size: 0
    .sgpr_count:     6
    .sgpr_spill_count: 0
    .symbol:         _ZN7rocprim17ROCPRIM_400000_NS6detail17trampoline_kernelINS0_14default_configENS1_25partition_config_selectorILNS1_17partition_subalgoE5ElNS0_10empty_typeEbEEZZNS1_14partition_implILS5_5ELb0ES3_mN6hipcub16HIPCUB_304000_NS21CountingInputIteratorIllEEPS6_NSA_22TransformInputIteratorIb7NonZeroIdEPdlEENS0_5tupleIJPlS6_EEENSJ_IJSD_SD_EEES6_SK_JS6_EEE10hipError_tPvRmT3_T4_T5_T6_T7_T9_mT8_P12ihipStream_tbDpT10_ENKUlT_T0_E_clISt17integral_constantIbLb0EES16_EEDaS11_S12_EUlS11_E_NS1_11comp_targetILNS1_3genE5ELNS1_11target_archE942ELNS1_3gpuE9ELNS1_3repE0EEENS1_30default_config_static_selectorELNS0_4arch9wavefront6targetE1EEEvT1_.kd
    .uniform_work_group_size: 1
    .uses_dynamic_stack: false
    .vgpr_count:     0
    .vgpr_spill_count: 0
    .wavefront_size: 64
  - .agpr_count:     0
    .args:
      - .offset:         0
        .size:           120
        .value_kind:     by_value
    .group_segment_fixed_size: 0
    .kernarg_segment_align: 8
    .kernarg_segment_size: 120
    .language:       OpenCL C
    .language_version:
      - 2
      - 0
    .max_flat_workgroup_size: 192
    .name:           _ZN7rocprim17ROCPRIM_400000_NS6detail17trampoline_kernelINS0_14default_configENS1_25partition_config_selectorILNS1_17partition_subalgoE5ElNS0_10empty_typeEbEEZZNS1_14partition_implILS5_5ELb0ES3_mN6hipcub16HIPCUB_304000_NS21CountingInputIteratorIllEEPS6_NSA_22TransformInputIteratorIb7NonZeroIdEPdlEENS0_5tupleIJPlS6_EEENSJ_IJSD_SD_EEES6_SK_JS6_EEE10hipError_tPvRmT3_T4_T5_T6_T7_T9_mT8_P12ihipStream_tbDpT10_ENKUlT_T0_E_clISt17integral_constantIbLb0EES16_EEDaS11_S12_EUlS11_E_NS1_11comp_targetILNS1_3genE4ELNS1_11target_archE910ELNS1_3gpuE8ELNS1_3repE0EEENS1_30default_config_static_selectorELNS0_4arch9wavefront6targetE1EEEvT1_
    .private_segment_fixed_size: 0
    .sgpr_count:     6
    .sgpr_spill_count: 0
    .symbol:         _ZN7rocprim17ROCPRIM_400000_NS6detail17trampoline_kernelINS0_14default_configENS1_25partition_config_selectorILNS1_17partition_subalgoE5ElNS0_10empty_typeEbEEZZNS1_14partition_implILS5_5ELb0ES3_mN6hipcub16HIPCUB_304000_NS21CountingInputIteratorIllEEPS6_NSA_22TransformInputIteratorIb7NonZeroIdEPdlEENS0_5tupleIJPlS6_EEENSJ_IJSD_SD_EEES6_SK_JS6_EEE10hipError_tPvRmT3_T4_T5_T6_T7_T9_mT8_P12ihipStream_tbDpT10_ENKUlT_T0_E_clISt17integral_constantIbLb0EES16_EEDaS11_S12_EUlS11_E_NS1_11comp_targetILNS1_3genE4ELNS1_11target_archE910ELNS1_3gpuE8ELNS1_3repE0EEENS1_30default_config_static_selectorELNS0_4arch9wavefront6targetE1EEEvT1_.kd
    .uniform_work_group_size: 1
    .uses_dynamic_stack: false
    .vgpr_count:     0
    .vgpr_spill_count: 0
    .wavefront_size: 64
  - .agpr_count:     0
    .args:
      - .offset:         0
        .size:           120
        .value_kind:     by_value
    .group_segment_fixed_size: 0
    .kernarg_segment_align: 8
    .kernarg_segment_size: 120
    .language:       OpenCL C
    .language_version:
      - 2
      - 0
    .max_flat_workgroup_size: 128
    .name:           _ZN7rocprim17ROCPRIM_400000_NS6detail17trampoline_kernelINS0_14default_configENS1_25partition_config_selectorILNS1_17partition_subalgoE5ElNS0_10empty_typeEbEEZZNS1_14partition_implILS5_5ELb0ES3_mN6hipcub16HIPCUB_304000_NS21CountingInputIteratorIllEEPS6_NSA_22TransformInputIteratorIb7NonZeroIdEPdlEENS0_5tupleIJPlS6_EEENSJ_IJSD_SD_EEES6_SK_JS6_EEE10hipError_tPvRmT3_T4_T5_T6_T7_T9_mT8_P12ihipStream_tbDpT10_ENKUlT_T0_E_clISt17integral_constantIbLb0EES16_EEDaS11_S12_EUlS11_E_NS1_11comp_targetILNS1_3genE3ELNS1_11target_archE908ELNS1_3gpuE7ELNS1_3repE0EEENS1_30default_config_static_selectorELNS0_4arch9wavefront6targetE1EEEvT1_
    .private_segment_fixed_size: 0
    .sgpr_count:     6
    .sgpr_spill_count: 0
    .symbol:         _ZN7rocprim17ROCPRIM_400000_NS6detail17trampoline_kernelINS0_14default_configENS1_25partition_config_selectorILNS1_17partition_subalgoE5ElNS0_10empty_typeEbEEZZNS1_14partition_implILS5_5ELb0ES3_mN6hipcub16HIPCUB_304000_NS21CountingInputIteratorIllEEPS6_NSA_22TransformInputIteratorIb7NonZeroIdEPdlEENS0_5tupleIJPlS6_EEENSJ_IJSD_SD_EEES6_SK_JS6_EEE10hipError_tPvRmT3_T4_T5_T6_T7_T9_mT8_P12ihipStream_tbDpT10_ENKUlT_T0_E_clISt17integral_constantIbLb0EES16_EEDaS11_S12_EUlS11_E_NS1_11comp_targetILNS1_3genE3ELNS1_11target_archE908ELNS1_3gpuE7ELNS1_3repE0EEENS1_30default_config_static_selectorELNS0_4arch9wavefront6targetE1EEEvT1_.kd
    .uniform_work_group_size: 1
    .uses_dynamic_stack: false
    .vgpr_count:     0
    .vgpr_spill_count: 0
    .wavefront_size: 64
  - .agpr_count:     0
    .args:
      - .offset:         0
        .size:           120
        .value_kind:     by_value
    .group_segment_fixed_size: 0
    .kernarg_segment_align: 8
    .kernarg_segment_size: 120
    .language:       OpenCL C
    .language_version:
      - 2
      - 0
    .max_flat_workgroup_size: 256
    .name:           _ZN7rocprim17ROCPRIM_400000_NS6detail17trampoline_kernelINS0_14default_configENS1_25partition_config_selectorILNS1_17partition_subalgoE5ElNS0_10empty_typeEbEEZZNS1_14partition_implILS5_5ELb0ES3_mN6hipcub16HIPCUB_304000_NS21CountingInputIteratorIllEEPS6_NSA_22TransformInputIteratorIb7NonZeroIdEPdlEENS0_5tupleIJPlS6_EEENSJ_IJSD_SD_EEES6_SK_JS6_EEE10hipError_tPvRmT3_T4_T5_T6_T7_T9_mT8_P12ihipStream_tbDpT10_ENKUlT_T0_E_clISt17integral_constantIbLb0EES16_EEDaS11_S12_EUlS11_E_NS1_11comp_targetILNS1_3genE2ELNS1_11target_archE906ELNS1_3gpuE6ELNS1_3repE0EEENS1_30default_config_static_selectorELNS0_4arch9wavefront6targetE1EEEvT1_
    .private_segment_fixed_size: 0
    .sgpr_count:     6
    .sgpr_spill_count: 0
    .symbol:         _ZN7rocprim17ROCPRIM_400000_NS6detail17trampoline_kernelINS0_14default_configENS1_25partition_config_selectorILNS1_17partition_subalgoE5ElNS0_10empty_typeEbEEZZNS1_14partition_implILS5_5ELb0ES3_mN6hipcub16HIPCUB_304000_NS21CountingInputIteratorIllEEPS6_NSA_22TransformInputIteratorIb7NonZeroIdEPdlEENS0_5tupleIJPlS6_EEENSJ_IJSD_SD_EEES6_SK_JS6_EEE10hipError_tPvRmT3_T4_T5_T6_T7_T9_mT8_P12ihipStream_tbDpT10_ENKUlT_T0_E_clISt17integral_constantIbLb0EES16_EEDaS11_S12_EUlS11_E_NS1_11comp_targetILNS1_3genE2ELNS1_11target_archE906ELNS1_3gpuE6ELNS1_3repE0EEENS1_30default_config_static_selectorELNS0_4arch9wavefront6targetE1EEEvT1_.kd
    .uniform_work_group_size: 1
    .uses_dynamic_stack: false
    .vgpr_count:     0
    .vgpr_spill_count: 0
    .wavefront_size: 64
  - .agpr_count:     0
    .args:
      - .offset:         0
        .size:           120
        .value_kind:     by_value
    .group_segment_fixed_size: 0
    .kernarg_segment_align: 8
    .kernarg_segment_size: 120
    .language:       OpenCL C
    .language_version:
      - 2
      - 0
    .max_flat_workgroup_size: 256
    .name:           _ZN7rocprim17ROCPRIM_400000_NS6detail17trampoline_kernelINS0_14default_configENS1_25partition_config_selectorILNS1_17partition_subalgoE5ElNS0_10empty_typeEbEEZZNS1_14partition_implILS5_5ELb0ES3_mN6hipcub16HIPCUB_304000_NS21CountingInputIteratorIllEEPS6_NSA_22TransformInputIteratorIb7NonZeroIdEPdlEENS0_5tupleIJPlS6_EEENSJ_IJSD_SD_EEES6_SK_JS6_EEE10hipError_tPvRmT3_T4_T5_T6_T7_T9_mT8_P12ihipStream_tbDpT10_ENKUlT_T0_E_clISt17integral_constantIbLb0EES16_EEDaS11_S12_EUlS11_E_NS1_11comp_targetILNS1_3genE10ELNS1_11target_archE1200ELNS1_3gpuE4ELNS1_3repE0EEENS1_30default_config_static_selectorELNS0_4arch9wavefront6targetE1EEEvT1_
    .private_segment_fixed_size: 0
    .sgpr_count:     6
    .sgpr_spill_count: 0
    .symbol:         _ZN7rocprim17ROCPRIM_400000_NS6detail17trampoline_kernelINS0_14default_configENS1_25partition_config_selectorILNS1_17partition_subalgoE5ElNS0_10empty_typeEbEEZZNS1_14partition_implILS5_5ELb0ES3_mN6hipcub16HIPCUB_304000_NS21CountingInputIteratorIllEEPS6_NSA_22TransformInputIteratorIb7NonZeroIdEPdlEENS0_5tupleIJPlS6_EEENSJ_IJSD_SD_EEES6_SK_JS6_EEE10hipError_tPvRmT3_T4_T5_T6_T7_T9_mT8_P12ihipStream_tbDpT10_ENKUlT_T0_E_clISt17integral_constantIbLb0EES16_EEDaS11_S12_EUlS11_E_NS1_11comp_targetILNS1_3genE10ELNS1_11target_archE1200ELNS1_3gpuE4ELNS1_3repE0EEENS1_30default_config_static_selectorELNS0_4arch9wavefront6targetE1EEEvT1_.kd
    .uniform_work_group_size: 1
    .uses_dynamic_stack: false
    .vgpr_count:     0
    .vgpr_spill_count: 0
    .wavefront_size: 64
  - .agpr_count:     0
    .args:
      - .offset:         0
        .size:           120
        .value_kind:     by_value
    .group_segment_fixed_size: 0
    .kernarg_segment_align: 8
    .kernarg_segment_size: 120
    .language:       OpenCL C
    .language_version:
      - 2
      - 0
    .max_flat_workgroup_size: 128
    .name:           _ZN7rocprim17ROCPRIM_400000_NS6detail17trampoline_kernelINS0_14default_configENS1_25partition_config_selectorILNS1_17partition_subalgoE5ElNS0_10empty_typeEbEEZZNS1_14partition_implILS5_5ELb0ES3_mN6hipcub16HIPCUB_304000_NS21CountingInputIteratorIllEEPS6_NSA_22TransformInputIteratorIb7NonZeroIdEPdlEENS0_5tupleIJPlS6_EEENSJ_IJSD_SD_EEES6_SK_JS6_EEE10hipError_tPvRmT3_T4_T5_T6_T7_T9_mT8_P12ihipStream_tbDpT10_ENKUlT_T0_E_clISt17integral_constantIbLb0EES16_EEDaS11_S12_EUlS11_E_NS1_11comp_targetILNS1_3genE9ELNS1_11target_archE1100ELNS1_3gpuE3ELNS1_3repE0EEENS1_30default_config_static_selectorELNS0_4arch9wavefront6targetE1EEEvT1_
    .private_segment_fixed_size: 0
    .sgpr_count:     6
    .sgpr_spill_count: 0
    .symbol:         _ZN7rocprim17ROCPRIM_400000_NS6detail17trampoline_kernelINS0_14default_configENS1_25partition_config_selectorILNS1_17partition_subalgoE5ElNS0_10empty_typeEbEEZZNS1_14partition_implILS5_5ELb0ES3_mN6hipcub16HIPCUB_304000_NS21CountingInputIteratorIllEEPS6_NSA_22TransformInputIteratorIb7NonZeroIdEPdlEENS0_5tupleIJPlS6_EEENSJ_IJSD_SD_EEES6_SK_JS6_EEE10hipError_tPvRmT3_T4_T5_T6_T7_T9_mT8_P12ihipStream_tbDpT10_ENKUlT_T0_E_clISt17integral_constantIbLb0EES16_EEDaS11_S12_EUlS11_E_NS1_11comp_targetILNS1_3genE9ELNS1_11target_archE1100ELNS1_3gpuE3ELNS1_3repE0EEENS1_30default_config_static_selectorELNS0_4arch9wavefront6targetE1EEEvT1_.kd
    .uniform_work_group_size: 1
    .uses_dynamic_stack: false
    .vgpr_count:     0
    .vgpr_spill_count: 0
    .wavefront_size: 64
  - .agpr_count:     0
    .args:
      - .offset:         0
        .size:           120
        .value_kind:     by_value
    .group_segment_fixed_size: 0
    .kernarg_segment_align: 8
    .kernarg_segment_size: 120
    .language:       OpenCL C
    .language_version:
      - 2
      - 0
    .max_flat_workgroup_size: 512
    .name:           _ZN7rocprim17ROCPRIM_400000_NS6detail17trampoline_kernelINS0_14default_configENS1_25partition_config_selectorILNS1_17partition_subalgoE5ElNS0_10empty_typeEbEEZZNS1_14partition_implILS5_5ELb0ES3_mN6hipcub16HIPCUB_304000_NS21CountingInputIteratorIllEEPS6_NSA_22TransformInputIteratorIb7NonZeroIdEPdlEENS0_5tupleIJPlS6_EEENSJ_IJSD_SD_EEES6_SK_JS6_EEE10hipError_tPvRmT3_T4_T5_T6_T7_T9_mT8_P12ihipStream_tbDpT10_ENKUlT_T0_E_clISt17integral_constantIbLb0EES16_EEDaS11_S12_EUlS11_E_NS1_11comp_targetILNS1_3genE8ELNS1_11target_archE1030ELNS1_3gpuE2ELNS1_3repE0EEENS1_30default_config_static_selectorELNS0_4arch9wavefront6targetE1EEEvT1_
    .private_segment_fixed_size: 0
    .sgpr_count:     6
    .sgpr_spill_count: 0
    .symbol:         _ZN7rocprim17ROCPRIM_400000_NS6detail17trampoline_kernelINS0_14default_configENS1_25partition_config_selectorILNS1_17partition_subalgoE5ElNS0_10empty_typeEbEEZZNS1_14partition_implILS5_5ELb0ES3_mN6hipcub16HIPCUB_304000_NS21CountingInputIteratorIllEEPS6_NSA_22TransformInputIteratorIb7NonZeroIdEPdlEENS0_5tupleIJPlS6_EEENSJ_IJSD_SD_EEES6_SK_JS6_EEE10hipError_tPvRmT3_T4_T5_T6_T7_T9_mT8_P12ihipStream_tbDpT10_ENKUlT_T0_E_clISt17integral_constantIbLb0EES16_EEDaS11_S12_EUlS11_E_NS1_11comp_targetILNS1_3genE8ELNS1_11target_archE1030ELNS1_3gpuE2ELNS1_3repE0EEENS1_30default_config_static_selectorELNS0_4arch9wavefront6targetE1EEEvT1_.kd
    .uniform_work_group_size: 1
    .uses_dynamic_stack: false
    .vgpr_count:     0
    .vgpr_spill_count: 0
    .wavefront_size: 64
  - .agpr_count:     0
    .args:
      - .offset:         0
        .size:           136
        .value_kind:     by_value
    .group_segment_fixed_size: 0
    .kernarg_segment_align: 8
    .kernarg_segment_size: 136
    .language:       OpenCL C
    .language_version:
      - 2
      - 0
    .max_flat_workgroup_size: 128
    .name:           _ZN7rocprim17ROCPRIM_400000_NS6detail17trampoline_kernelINS0_14default_configENS1_25partition_config_selectorILNS1_17partition_subalgoE5ElNS0_10empty_typeEbEEZZNS1_14partition_implILS5_5ELb0ES3_mN6hipcub16HIPCUB_304000_NS21CountingInputIteratorIllEEPS6_NSA_22TransformInputIteratorIb7NonZeroIdEPdlEENS0_5tupleIJPlS6_EEENSJ_IJSD_SD_EEES6_SK_JS6_EEE10hipError_tPvRmT3_T4_T5_T6_T7_T9_mT8_P12ihipStream_tbDpT10_ENKUlT_T0_E_clISt17integral_constantIbLb1EES16_EEDaS11_S12_EUlS11_E_NS1_11comp_targetILNS1_3genE0ELNS1_11target_archE4294967295ELNS1_3gpuE0ELNS1_3repE0EEENS1_30default_config_static_selectorELNS0_4arch9wavefront6targetE1EEEvT1_
    .private_segment_fixed_size: 0
    .sgpr_count:     6
    .sgpr_spill_count: 0
    .symbol:         _ZN7rocprim17ROCPRIM_400000_NS6detail17trampoline_kernelINS0_14default_configENS1_25partition_config_selectorILNS1_17partition_subalgoE5ElNS0_10empty_typeEbEEZZNS1_14partition_implILS5_5ELb0ES3_mN6hipcub16HIPCUB_304000_NS21CountingInputIteratorIllEEPS6_NSA_22TransformInputIteratorIb7NonZeroIdEPdlEENS0_5tupleIJPlS6_EEENSJ_IJSD_SD_EEES6_SK_JS6_EEE10hipError_tPvRmT3_T4_T5_T6_T7_T9_mT8_P12ihipStream_tbDpT10_ENKUlT_T0_E_clISt17integral_constantIbLb1EES16_EEDaS11_S12_EUlS11_E_NS1_11comp_targetILNS1_3genE0ELNS1_11target_archE4294967295ELNS1_3gpuE0ELNS1_3repE0EEENS1_30default_config_static_selectorELNS0_4arch9wavefront6targetE1EEEvT1_.kd
    .uniform_work_group_size: 1
    .uses_dynamic_stack: false
    .vgpr_count:     0
    .vgpr_spill_count: 0
    .wavefront_size: 64
  - .agpr_count:     0
    .args:
      - .offset:         0
        .size:           136
        .value_kind:     by_value
    .group_segment_fixed_size: 0
    .kernarg_segment_align: 8
    .kernarg_segment_size: 136
    .language:       OpenCL C
    .language_version:
      - 2
      - 0
    .max_flat_workgroup_size: 512
    .name:           _ZN7rocprim17ROCPRIM_400000_NS6detail17trampoline_kernelINS0_14default_configENS1_25partition_config_selectorILNS1_17partition_subalgoE5ElNS0_10empty_typeEbEEZZNS1_14partition_implILS5_5ELb0ES3_mN6hipcub16HIPCUB_304000_NS21CountingInputIteratorIllEEPS6_NSA_22TransformInputIteratorIb7NonZeroIdEPdlEENS0_5tupleIJPlS6_EEENSJ_IJSD_SD_EEES6_SK_JS6_EEE10hipError_tPvRmT3_T4_T5_T6_T7_T9_mT8_P12ihipStream_tbDpT10_ENKUlT_T0_E_clISt17integral_constantIbLb1EES16_EEDaS11_S12_EUlS11_E_NS1_11comp_targetILNS1_3genE5ELNS1_11target_archE942ELNS1_3gpuE9ELNS1_3repE0EEENS1_30default_config_static_selectorELNS0_4arch9wavefront6targetE1EEEvT1_
    .private_segment_fixed_size: 0
    .sgpr_count:     6
    .sgpr_spill_count: 0
    .symbol:         _ZN7rocprim17ROCPRIM_400000_NS6detail17trampoline_kernelINS0_14default_configENS1_25partition_config_selectorILNS1_17partition_subalgoE5ElNS0_10empty_typeEbEEZZNS1_14partition_implILS5_5ELb0ES3_mN6hipcub16HIPCUB_304000_NS21CountingInputIteratorIllEEPS6_NSA_22TransformInputIteratorIb7NonZeroIdEPdlEENS0_5tupleIJPlS6_EEENSJ_IJSD_SD_EEES6_SK_JS6_EEE10hipError_tPvRmT3_T4_T5_T6_T7_T9_mT8_P12ihipStream_tbDpT10_ENKUlT_T0_E_clISt17integral_constantIbLb1EES16_EEDaS11_S12_EUlS11_E_NS1_11comp_targetILNS1_3genE5ELNS1_11target_archE942ELNS1_3gpuE9ELNS1_3repE0EEENS1_30default_config_static_selectorELNS0_4arch9wavefront6targetE1EEEvT1_.kd
    .uniform_work_group_size: 1
    .uses_dynamic_stack: false
    .vgpr_count:     0
    .vgpr_spill_count: 0
    .wavefront_size: 64
  - .agpr_count:     0
    .args:
      - .offset:         0
        .size:           136
        .value_kind:     by_value
    .group_segment_fixed_size: 0
    .kernarg_segment_align: 8
    .kernarg_segment_size: 136
    .language:       OpenCL C
    .language_version:
      - 2
      - 0
    .max_flat_workgroup_size: 192
    .name:           _ZN7rocprim17ROCPRIM_400000_NS6detail17trampoline_kernelINS0_14default_configENS1_25partition_config_selectorILNS1_17partition_subalgoE5ElNS0_10empty_typeEbEEZZNS1_14partition_implILS5_5ELb0ES3_mN6hipcub16HIPCUB_304000_NS21CountingInputIteratorIllEEPS6_NSA_22TransformInputIteratorIb7NonZeroIdEPdlEENS0_5tupleIJPlS6_EEENSJ_IJSD_SD_EEES6_SK_JS6_EEE10hipError_tPvRmT3_T4_T5_T6_T7_T9_mT8_P12ihipStream_tbDpT10_ENKUlT_T0_E_clISt17integral_constantIbLb1EES16_EEDaS11_S12_EUlS11_E_NS1_11comp_targetILNS1_3genE4ELNS1_11target_archE910ELNS1_3gpuE8ELNS1_3repE0EEENS1_30default_config_static_selectorELNS0_4arch9wavefront6targetE1EEEvT1_
    .private_segment_fixed_size: 0
    .sgpr_count:     6
    .sgpr_spill_count: 0
    .symbol:         _ZN7rocprim17ROCPRIM_400000_NS6detail17trampoline_kernelINS0_14default_configENS1_25partition_config_selectorILNS1_17partition_subalgoE5ElNS0_10empty_typeEbEEZZNS1_14partition_implILS5_5ELb0ES3_mN6hipcub16HIPCUB_304000_NS21CountingInputIteratorIllEEPS6_NSA_22TransformInputIteratorIb7NonZeroIdEPdlEENS0_5tupleIJPlS6_EEENSJ_IJSD_SD_EEES6_SK_JS6_EEE10hipError_tPvRmT3_T4_T5_T6_T7_T9_mT8_P12ihipStream_tbDpT10_ENKUlT_T0_E_clISt17integral_constantIbLb1EES16_EEDaS11_S12_EUlS11_E_NS1_11comp_targetILNS1_3genE4ELNS1_11target_archE910ELNS1_3gpuE8ELNS1_3repE0EEENS1_30default_config_static_selectorELNS0_4arch9wavefront6targetE1EEEvT1_.kd
    .uniform_work_group_size: 1
    .uses_dynamic_stack: false
    .vgpr_count:     0
    .vgpr_spill_count: 0
    .wavefront_size: 64
  - .agpr_count:     0
    .args:
      - .offset:         0
        .size:           136
        .value_kind:     by_value
    .group_segment_fixed_size: 0
    .kernarg_segment_align: 8
    .kernarg_segment_size: 136
    .language:       OpenCL C
    .language_version:
      - 2
      - 0
    .max_flat_workgroup_size: 128
    .name:           _ZN7rocprim17ROCPRIM_400000_NS6detail17trampoline_kernelINS0_14default_configENS1_25partition_config_selectorILNS1_17partition_subalgoE5ElNS0_10empty_typeEbEEZZNS1_14partition_implILS5_5ELb0ES3_mN6hipcub16HIPCUB_304000_NS21CountingInputIteratorIllEEPS6_NSA_22TransformInputIteratorIb7NonZeroIdEPdlEENS0_5tupleIJPlS6_EEENSJ_IJSD_SD_EEES6_SK_JS6_EEE10hipError_tPvRmT3_T4_T5_T6_T7_T9_mT8_P12ihipStream_tbDpT10_ENKUlT_T0_E_clISt17integral_constantIbLb1EES16_EEDaS11_S12_EUlS11_E_NS1_11comp_targetILNS1_3genE3ELNS1_11target_archE908ELNS1_3gpuE7ELNS1_3repE0EEENS1_30default_config_static_selectorELNS0_4arch9wavefront6targetE1EEEvT1_
    .private_segment_fixed_size: 0
    .sgpr_count:     6
    .sgpr_spill_count: 0
    .symbol:         _ZN7rocprim17ROCPRIM_400000_NS6detail17trampoline_kernelINS0_14default_configENS1_25partition_config_selectorILNS1_17partition_subalgoE5ElNS0_10empty_typeEbEEZZNS1_14partition_implILS5_5ELb0ES3_mN6hipcub16HIPCUB_304000_NS21CountingInputIteratorIllEEPS6_NSA_22TransformInputIteratorIb7NonZeroIdEPdlEENS0_5tupleIJPlS6_EEENSJ_IJSD_SD_EEES6_SK_JS6_EEE10hipError_tPvRmT3_T4_T5_T6_T7_T9_mT8_P12ihipStream_tbDpT10_ENKUlT_T0_E_clISt17integral_constantIbLb1EES16_EEDaS11_S12_EUlS11_E_NS1_11comp_targetILNS1_3genE3ELNS1_11target_archE908ELNS1_3gpuE7ELNS1_3repE0EEENS1_30default_config_static_selectorELNS0_4arch9wavefront6targetE1EEEvT1_.kd
    .uniform_work_group_size: 1
    .uses_dynamic_stack: false
    .vgpr_count:     0
    .vgpr_spill_count: 0
    .wavefront_size: 64
  - .agpr_count:     0
    .args:
      - .offset:         0
        .size:           136
        .value_kind:     by_value
    .group_segment_fixed_size: 0
    .kernarg_segment_align: 8
    .kernarg_segment_size: 136
    .language:       OpenCL C
    .language_version:
      - 2
      - 0
    .max_flat_workgroup_size: 256
    .name:           _ZN7rocprim17ROCPRIM_400000_NS6detail17trampoline_kernelINS0_14default_configENS1_25partition_config_selectorILNS1_17partition_subalgoE5ElNS0_10empty_typeEbEEZZNS1_14partition_implILS5_5ELb0ES3_mN6hipcub16HIPCUB_304000_NS21CountingInputIteratorIllEEPS6_NSA_22TransformInputIteratorIb7NonZeroIdEPdlEENS0_5tupleIJPlS6_EEENSJ_IJSD_SD_EEES6_SK_JS6_EEE10hipError_tPvRmT3_T4_T5_T6_T7_T9_mT8_P12ihipStream_tbDpT10_ENKUlT_T0_E_clISt17integral_constantIbLb1EES16_EEDaS11_S12_EUlS11_E_NS1_11comp_targetILNS1_3genE2ELNS1_11target_archE906ELNS1_3gpuE6ELNS1_3repE0EEENS1_30default_config_static_selectorELNS0_4arch9wavefront6targetE1EEEvT1_
    .private_segment_fixed_size: 0
    .sgpr_count:     6
    .sgpr_spill_count: 0
    .symbol:         _ZN7rocprim17ROCPRIM_400000_NS6detail17trampoline_kernelINS0_14default_configENS1_25partition_config_selectorILNS1_17partition_subalgoE5ElNS0_10empty_typeEbEEZZNS1_14partition_implILS5_5ELb0ES3_mN6hipcub16HIPCUB_304000_NS21CountingInputIteratorIllEEPS6_NSA_22TransformInputIteratorIb7NonZeroIdEPdlEENS0_5tupleIJPlS6_EEENSJ_IJSD_SD_EEES6_SK_JS6_EEE10hipError_tPvRmT3_T4_T5_T6_T7_T9_mT8_P12ihipStream_tbDpT10_ENKUlT_T0_E_clISt17integral_constantIbLb1EES16_EEDaS11_S12_EUlS11_E_NS1_11comp_targetILNS1_3genE2ELNS1_11target_archE906ELNS1_3gpuE6ELNS1_3repE0EEENS1_30default_config_static_selectorELNS0_4arch9wavefront6targetE1EEEvT1_.kd
    .uniform_work_group_size: 1
    .uses_dynamic_stack: false
    .vgpr_count:     0
    .vgpr_spill_count: 0
    .wavefront_size: 64
  - .agpr_count:     0
    .args:
      - .offset:         0
        .size:           136
        .value_kind:     by_value
    .group_segment_fixed_size: 0
    .kernarg_segment_align: 8
    .kernarg_segment_size: 136
    .language:       OpenCL C
    .language_version:
      - 2
      - 0
    .max_flat_workgroup_size: 256
    .name:           _ZN7rocprim17ROCPRIM_400000_NS6detail17trampoline_kernelINS0_14default_configENS1_25partition_config_selectorILNS1_17partition_subalgoE5ElNS0_10empty_typeEbEEZZNS1_14partition_implILS5_5ELb0ES3_mN6hipcub16HIPCUB_304000_NS21CountingInputIteratorIllEEPS6_NSA_22TransformInputIteratorIb7NonZeroIdEPdlEENS0_5tupleIJPlS6_EEENSJ_IJSD_SD_EEES6_SK_JS6_EEE10hipError_tPvRmT3_T4_T5_T6_T7_T9_mT8_P12ihipStream_tbDpT10_ENKUlT_T0_E_clISt17integral_constantIbLb1EES16_EEDaS11_S12_EUlS11_E_NS1_11comp_targetILNS1_3genE10ELNS1_11target_archE1200ELNS1_3gpuE4ELNS1_3repE0EEENS1_30default_config_static_selectorELNS0_4arch9wavefront6targetE1EEEvT1_
    .private_segment_fixed_size: 0
    .sgpr_count:     6
    .sgpr_spill_count: 0
    .symbol:         _ZN7rocprim17ROCPRIM_400000_NS6detail17trampoline_kernelINS0_14default_configENS1_25partition_config_selectorILNS1_17partition_subalgoE5ElNS0_10empty_typeEbEEZZNS1_14partition_implILS5_5ELb0ES3_mN6hipcub16HIPCUB_304000_NS21CountingInputIteratorIllEEPS6_NSA_22TransformInputIteratorIb7NonZeroIdEPdlEENS0_5tupleIJPlS6_EEENSJ_IJSD_SD_EEES6_SK_JS6_EEE10hipError_tPvRmT3_T4_T5_T6_T7_T9_mT8_P12ihipStream_tbDpT10_ENKUlT_T0_E_clISt17integral_constantIbLb1EES16_EEDaS11_S12_EUlS11_E_NS1_11comp_targetILNS1_3genE10ELNS1_11target_archE1200ELNS1_3gpuE4ELNS1_3repE0EEENS1_30default_config_static_selectorELNS0_4arch9wavefront6targetE1EEEvT1_.kd
    .uniform_work_group_size: 1
    .uses_dynamic_stack: false
    .vgpr_count:     0
    .vgpr_spill_count: 0
    .wavefront_size: 64
  - .agpr_count:     0
    .args:
      - .offset:         0
        .size:           136
        .value_kind:     by_value
    .group_segment_fixed_size: 0
    .kernarg_segment_align: 8
    .kernarg_segment_size: 136
    .language:       OpenCL C
    .language_version:
      - 2
      - 0
    .max_flat_workgroup_size: 128
    .name:           _ZN7rocprim17ROCPRIM_400000_NS6detail17trampoline_kernelINS0_14default_configENS1_25partition_config_selectorILNS1_17partition_subalgoE5ElNS0_10empty_typeEbEEZZNS1_14partition_implILS5_5ELb0ES3_mN6hipcub16HIPCUB_304000_NS21CountingInputIteratorIllEEPS6_NSA_22TransformInputIteratorIb7NonZeroIdEPdlEENS0_5tupleIJPlS6_EEENSJ_IJSD_SD_EEES6_SK_JS6_EEE10hipError_tPvRmT3_T4_T5_T6_T7_T9_mT8_P12ihipStream_tbDpT10_ENKUlT_T0_E_clISt17integral_constantIbLb1EES16_EEDaS11_S12_EUlS11_E_NS1_11comp_targetILNS1_3genE9ELNS1_11target_archE1100ELNS1_3gpuE3ELNS1_3repE0EEENS1_30default_config_static_selectorELNS0_4arch9wavefront6targetE1EEEvT1_
    .private_segment_fixed_size: 0
    .sgpr_count:     6
    .sgpr_spill_count: 0
    .symbol:         _ZN7rocprim17ROCPRIM_400000_NS6detail17trampoline_kernelINS0_14default_configENS1_25partition_config_selectorILNS1_17partition_subalgoE5ElNS0_10empty_typeEbEEZZNS1_14partition_implILS5_5ELb0ES3_mN6hipcub16HIPCUB_304000_NS21CountingInputIteratorIllEEPS6_NSA_22TransformInputIteratorIb7NonZeroIdEPdlEENS0_5tupleIJPlS6_EEENSJ_IJSD_SD_EEES6_SK_JS6_EEE10hipError_tPvRmT3_T4_T5_T6_T7_T9_mT8_P12ihipStream_tbDpT10_ENKUlT_T0_E_clISt17integral_constantIbLb1EES16_EEDaS11_S12_EUlS11_E_NS1_11comp_targetILNS1_3genE9ELNS1_11target_archE1100ELNS1_3gpuE3ELNS1_3repE0EEENS1_30default_config_static_selectorELNS0_4arch9wavefront6targetE1EEEvT1_.kd
    .uniform_work_group_size: 1
    .uses_dynamic_stack: false
    .vgpr_count:     0
    .vgpr_spill_count: 0
    .wavefront_size: 64
  - .agpr_count:     0
    .args:
      - .offset:         0
        .size:           136
        .value_kind:     by_value
    .group_segment_fixed_size: 0
    .kernarg_segment_align: 8
    .kernarg_segment_size: 136
    .language:       OpenCL C
    .language_version:
      - 2
      - 0
    .max_flat_workgroup_size: 512
    .name:           _ZN7rocprim17ROCPRIM_400000_NS6detail17trampoline_kernelINS0_14default_configENS1_25partition_config_selectorILNS1_17partition_subalgoE5ElNS0_10empty_typeEbEEZZNS1_14partition_implILS5_5ELb0ES3_mN6hipcub16HIPCUB_304000_NS21CountingInputIteratorIllEEPS6_NSA_22TransformInputIteratorIb7NonZeroIdEPdlEENS0_5tupleIJPlS6_EEENSJ_IJSD_SD_EEES6_SK_JS6_EEE10hipError_tPvRmT3_T4_T5_T6_T7_T9_mT8_P12ihipStream_tbDpT10_ENKUlT_T0_E_clISt17integral_constantIbLb1EES16_EEDaS11_S12_EUlS11_E_NS1_11comp_targetILNS1_3genE8ELNS1_11target_archE1030ELNS1_3gpuE2ELNS1_3repE0EEENS1_30default_config_static_selectorELNS0_4arch9wavefront6targetE1EEEvT1_
    .private_segment_fixed_size: 0
    .sgpr_count:     6
    .sgpr_spill_count: 0
    .symbol:         _ZN7rocprim17ROCPRIM_400000_NS6detail17trampoline_kernelINS0_14default_configENS1_25partition_config_selectorILNS1_17partition_subalgoE5ElNS0_10empty_typeEbEEZZNS1_14partition_implILS5_5ELb0ES3_mN6hipcub16HIPCUB_304000_NS21CountingInputIteratorIllEEPS6_NSA_22TransformInputIteratorIb7NonZeroIdEPdlEENS0_5tupleIJPlS6_EEENSJ_IJSD_SD_EEES6_SK_JS6_EEE10hipError_tPvRmT3_T4_T5_T6_T7_T9_mT8_P12ihipStream_tbDpT10_ENKUlT_T0_E_clISt17integral_constantIbLb1EES16_EEDaS11_S12_EUlS11_E_NS1_11comp_targetILNS1_3genE8ELNS1_11target_archE1030ELNS1_3gpuE2ELNS1_3repE0EEENS1_30default_config_static_selectorELNS0_4arch9wavefront6targetE1EEEvT1_.kd
    .uniform_work_group_size: 1
    .uses_dynamic_stack: false
    .vgpr_count:     0
    .vgpr_spill_count: 0
    .wavefront_size: 64
  - .agpr_count:     0
    .args:
      - .offset:         0
        .size:           120
        .value_kind:     by_value
    .group_segment_fixed_size: 0
    .kernarg_segment_align: 8
    .kernarg_segment_size: 120
    .language:       OpenCL C
    .language_version:
      - 2
      - 0
    .max_flat_workgroup_size: 128
    .name:           _ZN7rocprim17ROCPRIM_400000_NS6detail17trampoline_kernelINS0_14default_configENS1_25partition_config_selectorILNS1_17partition_subalgoE5ElNS0_10empty_typeEbEEZZNS1_14partition_implILS5_5ELb0ES3_mN6hipcub16HIPCUB_304000_NS21CountingInputIteratorIllEEPS6_NSA_22TransformInputIteratorIb7NonZeroIdEPdlEENS0_5tupleIJPlS6_EEENSJ_IJSD_SD_EEES6_SK_JS6_EEE10hipError_tPvRmT3_T4_T5_T6_T7_T9_mT8_P12ihipStream_tbDpT10_ENKUlT_T0_E_clISt17integral_constantIbLb1EES15_IbLb0EEEEDaS11_S12_EUlS11_E_NS1_11comp_targetILNS1_3genE0ELNS1_11target_archE4294967295ELNS1_3gpuE0ELNS1_3repE0EEENS1_30default_config_static_selectorELNS0_4arch9wavefront6targetE1EEEvT1_
    .private_segment_fixed_size: 0
    .sgpr_count:     6
    .sgpr_spill_count: 0
    .symbol:         _ZN7rocprim17ROCPRIM_400000_NS6detail17trampoline_kernelINS0_14default_configENS1_25partition_config_selectorILNS1_17partition_subalgoE5ElNS0_10empty_typeEbEEZZNS1_14partition_implILS5_5ELb0ES3_mN6hipcub16HIPCUB_304000_NS21CountingInputIteratorIllEEPS6_NSA_22TransformInputIteratorIb7NonZeroIdEPdlEENS0_5tupleIJPlS6_EEENSJ_IJSD_SD_EEES6_SK_JS6_EEE10hipError_tPvRmT3_T4_T5_T6_T7_T9_mT8_P12ihipStream_tbDpT10_ENKUlT_T0_E_clISt17integral_constantIbLb1EES15_IbLb0EEEEDaS11_S12_EUlS11_E_NS1_11comp_targetILNS1_3genE0ELNS1_11target_archE4294967295ELNS1_3gpuE0ELNS1_3repE0EEENS1_30default_config_static_selectorELNS0_4arch9wavefront6targetE1EEEvT1_.kd
    .uniform_work_group_size: 1
    .uses_dynamic_stack: false
    .vgpr_count:     0
    .vgpr_spill_count: 0
    .wavefront_size: 64
  - .agpr_count:     0
    .args:
      - .offset:         0
        .size:           120
        .value_kind:     by_value
    .group_segment_fixed_size: 0
    .kernarg_segment_align: 8
    .kernarg_segment_size: 120
    .language:       OpenCL C
    .language_version:
      - 2
      - 0
    .max_flat_workgroup_size: 512
    .name:           _ZN7rocprim17ROCPRIM_400000_NS6detail17trampoline_kernelINS0_14default_configENS1_25partition_config_selectorILNS1_17partition_subalgoE5ElNS0_10empty_typeEbEEZZNS1_14partition_implILS5_5ELb0ES3_mN6hipcub16HIPCUB_304000_NS21CountingInputIteratorIllEEPS6_NSA_22TransformInputIteratorIb7NonZeroIdEPdlEENS0_5tupleIJPlS6_EEENSJ_IJSD_SD_EEES6_SK_JS6_EEE10hipError_tPvRmT3_T4_T5_T6_T7_T9_mT8_P12ihipStream_tbDpT10_ENKUlT_T0_E_clISt17integral_constantIbLb1EES15_IbLb0EEEEDaS11_S12_EUlS11_E_NS1_11comp_targetILNS1_3genE5ELNS1_11target_archE942ELNS1_3gpuE9ELNS1_3repE0EEENS1_30default_config_static_selectorELNS0_4arch9wavefront6targetE1EEEvT1_
    .private_segment_fixed_size: 0
    .sgpr_count:     6
    .sgpr_spill_count: 0
    .symbol:         _ZN7rocprim17ROCPRIM_400000_NS6detail17trampoline_kernelINS0_14default_configENS1_25partition_config_selectorILNS1_17partition_subalgoE5ElNS0_10empty_typeEbEEZZNS1_14partition_implILS5_5ELb0ES3_mN6hipcub16HIPCUB_304000_NS21CountingInputIteratorIllEEPS6_NSA_22TransformInputIteratorIb7NonZeroIdEPdlEENS0_5tupleIJPlS6_EEENSJ_IJSD_SD_EEES6_SK_JS6_EEE10hipError_tPvRmT3_T4_T5_T6_T7_T9_mT8_P12ihipStream_tbDpT10_ENKUlT_T0_E_clISt17integral_constantIbLb1EES15_IbLb0EEEEDaS11_S12_EUlS11_E_NS1_11comp_targetILNS1_3genE5ELNS1_11target_archE942ELNS1_3gpuE9ELNS1_3repE0EEENS1_30default_config_static_selectorELNS0_4arch9wavefront6targetE1EEEvT1_.kd
    .uniform_work_group_size: 1
    .uses_dynamic_stack: false
    .vgpr_count:     0
    .vgpr_spill_count: 0
    .wavefront_size: 64
  - .agpr_count:     0
    .args:
      - .offset:         0
        .size:           120
        .value_kind:     by_value
    .group_segment_fixed_size: 0
    .kernarg_segment_align: 8
    .kernarg_segment_size: 120
    .language:       OpenCL C
    .language_version:
      - 2
      - 0
    .max_flat_workgroup_size: 192
    .name:           _ZN7rocprim17ROCPRIM_400000_NS6detail17trampoline_kernelINS0_14default_configENS1_25partition_config_selectorILNS1_17partition_subalgoE5ElNS0_10empty_typeEbEEZZNS1_14partition_implILS5_5ELb0ES3_mN6hipcub16HIPCUB_304000_NS21CountingInputIteratorIllEEPS6_NSA_22TransformInputIteratorIb7NonZeroIdEPdlEENS0_5tupleIJPlS6_EEENSJ_IJSD_SD_EEES6_SK_JS6_EEE10hipError_tPvRmT3_T4_T5_T6_T7_T9_mT8_P12ihipStream_tbDpT10_ENKUlT_T0_E_clISt17integral_constantIbLb1EES15_IbLb0EEEEDaS11_S12_EUlS11_E_NS1_11comp_targetILNS1_3genE4ELNS1_11target_archE910ELNS1_3gpuE8ELNS1_3repE0EEENS1_30default_config_static_selectorELNS0_4arch9wavefront6targetE1EEEvT1_
    .private_segment_fixed_size: 0
    .sgpr_count:     6
    .sgpr_spill_count: 0
    .symbol:         _ZN7rocprim17ROCPRIM_400000_NS6detail17trampoline_kernelINS0_14default_configENS1_25partition_config_selectorILNS1_17partition_subalgoE5ElNS0_10empty_typeEbEEZZNS1_14partition_implILS5_5ELb0ES3_mN6hipcub16HIPCUB_304000_NS21CountingInputIteratorIllEEPS6_NSA_22TransformInputIteratorIb7NonZeroIdEPdlEENS0_5tupleIJPlS6_EEENSJ_IJSD_SD_EEES6_SK_JS6_EEE10hipError_tPvRmT3_T4_T5_T6_T7_T9_mT8_P12ihipStream_tbDpT10_ENKUlT_T0_E_clISt17integral_constantIbLb1EES15_IbLb0EEEEDaS11_S12_EUlS11_E_NS1_11comp_targetILNS1_3genE4ELNS1_11target_archE910ELNS1_3gpuE8ELNS1_3repE0EEENS1_30default_config_static_selectorELNS0_4arch9wavefront6targetE1EEEvT1_.kd
    .uniform_work_group_size: 1
    .uses_dynamic_stack: false
    .vgpr_count:     0
    .vgpr_spill_count: 0
    .wavefront_size: 64
  - .agpr_count:     0
    .args:
      - .offset:         0
        .size:           120
        .value_kind:     by_value
    .group_segment_fixed_size: 0
    .kernarg_segment_align: 8
    .kernarg_segment_size: 120
    .language:       OpenCL C
    .language_version:
      - 2
      - 0
    .max_flat_workgroup_size: 128
    .name:           _ZN7rocprim17ROCPRIM_400000_NS6detail17trampoline_kernelINS0_14default_configENS1_25partition_config_selectorILNS1_17partition_subalgoE5ElNS0_10empty_typeEbEEZZNS1_14partition_implILS5_5ELb0ES3_mN6hipcub16HIPCUB_304000_NS21CountingInputIteratorIllEEPS6_NSA_22TransformInputIteratorIb7NonZeroIdEPdlEENS0_5tupleIJPlS6_EEENSJ_IJSD_SD_EEES6_SK_JS6_EEE10hipError_tPvRmT3_T4_T5_T6_T7_T9_mT8_P12ihipStream_tbDpT10_ENKUlT_T0_E_clISt17integral_constantIbLb1EES15_IbLb0EEEEDaS11_S12_EUlS11_E_NS1_11comp_targetILNS1_3genE3ELNS1_11target_archE908ELNS1_3gpuE7ELNS1_3repE0EEENS1_30default_config_static_selectorELNS0_4arch9wavefront6targetE1EEEvT1_
    .private_segment_fixed_size: 0
    .sgpr_count:     6
    .sgpr_spill_count: 0
    .symbol:         _ZN7rocprim17ROCPRIM_400000_NS6detail17trampoline_kernelINS0_14default_configENS1_25partition_config_selectorILNS1_17partition_subalgoE5ElNS0_10empty_typeEbEEZZNS1_14partition_implILS5_5ELb0ES3_mN6hipcub16HIPCUB_304000_NS21CountingInputIteratorIllEEPS6_NSA_22TransformInputIteratorIb7NonZeroIdEPdlEENS0_5tupleIJPlS6_EEENSJ_IJSD_SD_EEES6_SK_JS6_EEE10hipError_tPvRmT3_T4_T5_T6_T7_T9_mT8_P12ihipStream_tbDpT10_ENKUlT_T0_E_clISt17integral_constantIbLb1EES15_IbLb0EEEEDaS11_S12_EUlS11_E_NS1_11comp_targetILNS1_3genE3ELNS1_11target_archE908ELNS1_3gpuE7ELNS1_3repE0EEENS1_30default_config_static_selectorELNS0_4arch9wavefront6targetE1EEEvT1_.kd
    .uniform_work_group_size: 1
    .uses_dynamic_stack: false
    .vgpr_count:     0
    .vgpr_spill_count: 0
    .wavefront_size: 64
  - .agpr_count:     0
    .args:
      - .offset:         0
        .size:           120
        .value_kind:     by_value
    .group_segment_fixed_size: 0
    .kernarg_segment_align: 8
    .kernarg_segment_size: 120
    .language:       OpenCL C
    .language_version:
      - 2
      - 0
    .max_flat_workgroup_size: 256
    .name:           _ZN7rocprim17ROCPRIM_400000_NS6detail17trampoline_kernelINS0_14default_configENS1_25partition_config_selectorILNS1_17partition_subalgoE5ElNS0_10empty_typeEbEEZZNS1_14partition_implILS5_5ELb0ES3_mN6hipcub16HIPCUB_304000_NS21CountingInputIteratorIllEEPS6_NSA_22TransformInputIteratorIb7NonZeroIdEPdlEENS0_5tupleIJPlS6_EEENSJ_IJSD_SD_EEES6_SK_JS6_EEE10hipError_tPvRmT3_T4_T5_T6_T7_T9_mT8_P12ihipStream_tbDpT10_ENKUlT_T0_E_clISt17integral_constantIbLb1EES15_IbLb0EEEEDaS11_S12_EUlS11_E_NS1_11comp_targetILNS1_3genE2ELNS1_11target_archE906ELNS1_3gpuE6ELNS1_3repE0EEENS1_30default_config_static_selectorELNS0_4arch9wavefront6targetE1EEEvT1_
    .private_segment_fixed_size: 0
    .sgpr_count:     6
    .sgpr_spill_count: 0
    .symbol:         _ZN7rocprim17ROCPRIM_400000_NS6detail17trampoline_kernelINS0_14default_configENS1_25partition_config_selectorILNS1_17partition_subalgoE5ElNS0_10empty_typeEbEEZZNS1_14partition_implILS5_5ELb0ES3_mN6hipcub16HIPCUB_304000_NS21CountingInputIteratorIllEEPS6_NSA_22TransformInputIteratorIb7NonZeroIdEPdlEENS0_5tupleIJPlS6_EEENSJ_IJSD_SD_EEES6_SK_JS6_EEE10hipError_tPvRmT3_T4_T5_T6_T7_T9_mT8_P12ihipStream_tbDpT10_ENKUlT_T0_E_clISt17integral_constantIbLb1EES15_IbLb0EEEEDaS11_S12_EUlS11_E_NS1_11comp_targetILNS1_3genE2ELNS1_11target_archE906ELNS1_3gpuE6ELNS1_3repE0EEENS1_30default_config_static_selectorELNS0_4arch9wavefront6targetE1EEEvT1_.kd
    .uniform_work_group_size: 1
    .uses_dynamic_stack: false
    .vgpr_count:     0
    .vgpr_spill_count: 0
    .wavefront_size: 64
  - .agpr_count:     0
    .args:
      - .offset:         0
        .size:           120
        .value_kind:     by_value
    .group_segment_fixed_size: 0
    .kernarg_segment_align: 8
    .kernarg_segment_size: 120
    .language:       OpenCL C
    .language_version:
      - 2
      - 0
    .max_flat_workgroup_size: 256
    .name:           _ZN7rocprim17ROCPRIM_400000_NS6detail17trampoline_kernelINS0_14default_configENS1_25partition_config_selectorILNS1_17partition_subalgoE5ElNS0_10empty_typeEbEEZZNS1_14partition_implILS5_5ELb0ES3_mN6hipcub16HIPCUB_304000_NS21CountingInputIteratorIllEEPS6_NSA_22TransformInputIteratorIb7NonZeroIdEPdlEENS0_5tupleIJPlS6_EEENSJ_IJSD_SD_EEES6_SK_JS6_EEE10hipError_tPvRmT3_T4_T5_T6_T7_T9_mT8_P12ihipStream_tbDpT10_ENKUlT_T0_E_clISt17integral_constantIbLb1EES15_IbLb0EEEEDaS11_S12_EUlS11_E_NS1_11comp_targetILNS1_3genE10ELNS1_11target_archE1200ELNS1_3gpuE4ELNS1_3repE0EEENS1_30default_config_static_selectorELNS0_4arch9wavefront6targetE1EEEvT1_
    .private_segment_fixed_size: 0
    .sgpr_count:     6
    .sgpr_spill_count: 0
    .symbol:         _ZN7rocprim17ROCPRIM_400000_NS6detail17trampoline_kernelINS0_14default_configENS1_25partition_config_selectorILNS1_17partition_subalgoE5ElNS0_10empty_typeEbEEZZNS1_14partition_implILS5_5ELb0ES3_mN6hipcub16HIPCUB_304000_NS21CountingInputIteratorIllEEPS6_NSA_22TransformInputIteratorIb7NonZeroIdEPdlEENS0_5tupleIJPlS6_EEENSJ_IJSD_SD_EEES6_SK_JS6_EEE10hipError_tPvRmT3_T4_T5_T6_T7_T9_mT8_P12ihipStream_tbDpT10_ENKUlT_T0_E_clISt17integral_constantIbLb1EES15_IbLb0EEEEDaS11_S12_EUlS11_E_NS1_11comp_targetILNS1_3genE10ELNS1_11target_archE1200ELNS1_3gpuE4ELNS1_3repE0EEENS1_30default_config_static_selectorELNS0_4arch9wavefront6targetE1EEEvT1_.kd
    .uniform_work_group_size: 1
    .uses_dynamic_stack: false
    .vgpr_count:     0
    .vgpr_spill_count: 0
    .wavefront_size: 64
  - .agpr_count:     0
    .args:
      - .offset:         0
        .size:           120
        .value_kind:     by_value
    .group_segment_fixed_size: 0
    .kernarg_segment_align: 8
    .kernarg_segment_size: 120
    .language:       OpenCL C
    .language_version:
      - 2
      - 0
    .max_flat_workgroup_size: 128
    .name:           _ZN7rocprim17ROCPRIM_400000_NS6detail17trampoline_kernelINS0_14default_configENS1_25partition_config_selectorILNS1_17partition_subalgoE5ElNS0_10empty_typeEbEEZZNS1_14partition_implILS5_5ELb0ES3_mN6hipcub16HIPCUB_304000_NS21CountingInputIteratorIllEEPS6_NSA_22TransformInputIteratorIb7NonZeroIdEPdlEENS0_5tupleIJPlS6_EEENSJ_IJSD_SD_EEES6_SK_JS6_EEE10hipError_tPvRmT3_T4_T5_T6_T7_T9_mT8_P12ihipStream_tbDpT10_ENKUlT_T0_E_clISt17integral_constantIbLb1EES15_IbLb0EEEEDaS11_S12_EUlS11_E_NS1_11comp_targetILNS1_3genE9ELNS1_11target_archE1100ELNS1_3gpuE3ELNS1_3repE0EEENS1_30default_config_static_selectorELNS0_4arch9wavefront6targetE1EEEvT1_
    .private_segment_fixed_size: 0
    .sgpr_count:     6
    .sgpr_spill_count: 0
    .symbol:         _ZN7rocprim17ROCPRIM_400000_NS6detail17trampoline_kernelINS0_14default_configENS1_25partition_config_selectorILNS1_17partition_subalgoE5ElNS0_10empty_typeEbEEZZNS1_14partition_implILS5_5ELb0ES3_mN6hipcub16HIPCUB_304000_NS21CountingInputIteratorIllEEPS6_NSA_22TransformInputIteratorIb7NonZeroIdEPdlEENS0_5tupleIJPlS6_EEENSJ_IJSD_SD_EEES6_SK_JS6_EEE10hipError_tPvRmT3_T4_T5_T6_T7_T9_mT8_P12ihipStream_tbDpT10_ENKUlT_T0_E_clISt17integral_constantIbLb1EES15_IbLb0EEEEDaS11_S12_EUlS11_E_NS1_11comp_targetILNS1_3genE9ELNS1_11target_archE1100ELNS1_3gpuE3ELNS1_3repE0EEENS1_30default_config_static_selectorELNS0_4arch9wavefront6targetE1EEEvT1_.kd
    .uniform_work_group_size: 1
    .uses_dynamic_stack: false
    .vgpr_count:     0
    .vgpr_spill_count: 0
    .wavefront_size: 64
  - .agpr_count:     0
    .args:
      - .offset:         0
        .size:           120
        .value_kind:     by_value
    .group_segment_fixed_size: 0
    .kernarg_segment_align: 8
    .kernarg_segment_size: 120
    .language:       OpenCL C
    .language_version:
      - 2
      - 0
    .max_flat_workgroup_size: 512
    .name:           _ZN7rocprim17ROCPRIM_400000_NS6detail17trampoline_kernelINS0_14default_configENS1_25partition_config_selectorILNS1_17partition_subalgoE5ElNS0_10empty_typeEbEEZZNS1_14partition_implILS5_5ELb0ES3_mN6hipcub16HIPCUB_304000_NS21CountingInputIteratorIllEEPS6_NSA_22TransformInputIteratorIb7NonZeroIdEPdlEENS0_5tupleIJPlS6_EEENSJ_IJSD_SD_EEES6_SK_JS6_EEE10hipError_tPvRmT3_T4_T5_T6_T7_T9_mT8_P12ihipStream_tbDpT10_ENKUlT_T0_E_clISt17integral_constantIbLb1EES15_IbLb0EEEEDaS11_S12_EUlS11_E_NS1_11comp_targetILNS1_3genE8ELNS1_11target_archE1030ELNS1_3gpuE2ELNS1_3repE0EEENS1_30default_config_static_selectorELNS0_4arch9wavefront6targetE1EEEvT1_
    .private_segment_fixed_size: 0
    .sgpr_count:     6
    .sgpr_spill_count: 0
    .symbol:         _ZN7rocprim17ROCPRIM_400000_NS6detail17trampoline_kernelINS0_14default_configENS1_25partition_config_selectorILNS1_17partition_subalgoE5ElNS0_10empty_typeEbEEZZNS1_14partition_implILS5_5ELb0ES3_mN6hipcub16HIPCUB_304000_NS21CountingInputIteratorIllEEPS6_NSA_22TransformInputIteratorIb7NonZeroIdEPdlEENS0_5tupleIJPlS6_EEENSJ_IJSD_SD_EEES6_SK_JS6_EEE10hipError_tPvRmT3_T4_T5_T6_T7_T9_mT8_P12ihipStream_tbDpT10_ENKUlT_T0_E_clISt17integral_constantIbLb1EES15_IbLb0EEEEDaS11_S12_EUlS11_E_NS1_11comp_targetILNS1_3genE8ELNS1_11target_archE1030ELNS1_3gpuE2ELNS1_3repE0EEENS1_30default_config_static_selectorELNS0_4arch9wavefront6targetE1EEEvT1_.kd
    .uniform_work_group_size: 1
    .uses_dynamic_stack: false
    .vgpr_count:     0
    .vgpr_spill_count: 0
    .wavefront_size: 64
  - .agpr_count:     0
    .args:
      - .offset:         0
        .size:           136
        .value_kind:     by_value
    .group_segment_fixed_size: 7184
    .kernarg_segment_align: 8
    .kernarg_segment_size: 136
    .language:       OpenCL C
    .language_version:
      - 2
      - 0
    .max_flat_workgroup_size: 128
    .name:           _ZN7rocprim17ROCPRIM_400000_NS6detail17trampoline_kernelINS0_14default_configENS1_25partition_config_selectorILNS1_17partition_subalgoE5ElNS0_10empty_typeEbEEZZNS1_14partition_implILS5_5ELb0ES3_mN6hipcub16HIPCUB_304000_NS21CountingInputIteratorIllEEPS6_NSA_22TransformInputIteratorIb7NonZeroIdEPdlEENS0_5tupleIJPlS6_EEENSJ_IJSD_SD_EEES6_SK_JS6_EEE10hipError_tPvRmT3_T4_T5_T6_T7_T9_mT8_P12ihipStream_tbDpT10_ENKUlT_T0_E_clISt17integral_constantIbLb0EES15_IbLb1EEEEDaS11_S12_EUlS11_E_NS1_11comp_targetILNS1_3genE0ELNS1_11target_archE4294967295ELNS1_3gpuE0ELNS1_3repE0EEENS1_30default_config_static_selectorELNS0_4arch9wavefront6targetE1EEEvT1_
    .private_segment_fixed_size: 0
    .sgpr_count:     34
    .sgpr_spill_count: 0
    .symbol:         _ZN7rocprim17ROCPRIM_400000_NS6detail17trampoline_kernelINS0_14default_configENS1_25partition_config_selectorILNS1_17partition_subalgoE5ElNS0_10empty_typeEbEEZZNS1_14partition_implILS5_5ELb0ES3_mN6hipcub16HIPCUB_304000_NS21CountingInputIteratorIllEEPS6_NSA_22TransformInputIteratorIb7NonZeroIdEPdlEENS0_5tupleIJPlS6_EEENSJ_IJSD_SD_EEES6_SK_JS6_EEE10hipError_tPvRmT3_T4_T5_T6_T7_T9_mT8_P12ihipStream_tbDpT10_ENKUlT_T0_E_clISt17integral_constantIbLb0EES15_IbLb1EEEEDaS11_S12_EUlS11_E_NS1_11comp_targetILNS1_3genE0ELNS1_11target_archE4294967295ELNS1_3gpuE0ELNS1_3repE0EEENS1_30default_config_static_selectorELNS0_4arch9wavefront6targetE1EEEvT1_.kd
    .uniform_work_group_size: 1
    .uses_dynamic_stack: false
    .vgpr_count:     72
    .vgpr_spill_count: 0
    .wavefront_size: 64
  - .agpr_count:     0
    .args:
      - .offset:         0
        .size:           136
        .value_kind:     by_value
    .group_segment_fixed_size: 0
    .kernarg_segment_align: 8
    .kernarg_segment_size: 136
    .language:       OpenCL C
    .language_version:
      - 2
      - 0
    .max_flat_workgroup_size: 512
    .name:           _ZN7rocprim17ROCPRIM_400000_NS6detail17trampoline_kernelINS0_14default_configENS1_25partition_config_selectorILNS1_17partition_subalgoE5ElNS0_10empty_typeEbEEZZNS1_14partition_implILS5_5ELb0ES3_mN6hipcub16HIPCUB_304000_NS21CountingInputIteratorIllEEPS6_NSA_22TransformInputIteratorIb7NonZeroIdEPdlEENS0_5tupleIJPlS6_EEENSJ_IJSD_SD_EEES6_SK_JS6_EEE10hipError_tPvRmT3_T4_T5_T6_T7_T9_mT8_P12ihipStream_tbDpT10_ENKUlT_T0_E_clISt17integral_constantIbLb0EES15_IbLb1EEEEDaS11_S12_EUlS11_E_NS1_11comp_targetILNS1_3genE5ELNS1_11target_archE942ELNS1_3gpuE9ELNS1_3repE0EEENS1_30default_config_static_selectorELNS0_4arch9wavefront6targetE1EEEvT1_
    .private_segment_fixed_size: 0
    .sgpr_count:     6
    .sgpr_spill_count: 0
    .symbol:         _ZN7rocprim17ROCPRIM_400000_NS6detail17trampoline_kernelINS0_14default_configENS1_25partition_config_selectorILNS1_17partition_subalgoE5ElNS0_10empty_typeEbEEZZNS1_14partition_implILS5_5ELb0ES3_mN6hipcub16HIPCUB_304000_NS21CountingInputIteratorIllEEPS6_NSA_22TransformInputIteratorIb7NonZeroIdEPdlEENS0_5tupleIJPlS6_EEENSJ_IJSD_SD_EEES6_SK_JS6_EEE10hipError_tPvRmT3_T4_T5_T6_T7_T9_mT8_P12ihipStream_tbDpT10_ENKUlT_T0_E_clISt17integral_constantIbLb0EES15_IbLb1EEEEDaS11_S12_EUlS11_E_NS1_11comp_targetILNS1_3genE5ELNS1_11target_archE942ELNS1_3gpuE9ELNS1_3repE0EEENS1_30default_config_static_selectorELNS0_4arch9wavefront6targetE1EEEvT1_.kd
    .uniform_work_group_size: 1
    .uses_dynamic_stack: false
    .vgpr_count:     0
    .vgpr_spill_count: 0
    .wavefront_size: 64
  - .agpr_count:     0
    .args:
      - .offset:         0
        .size:           136
        .value_kind:     by_value
    .group_segment_fixed_size: 0
    .kernarg_segment_align: 8
    .kernarg_segment_size: 136
    .language:       OpenCL C
    .language_version:
      - 2
      - 0
    .max_flat_workgroup_size: 192
    .name:           _ZN7rocprim17ROCPRIM_400000_NS6detail17trampoline_kernelINS0_14default_configENS1_25partition_config_selectorILNS1_17partition_subalgoE5ElNS0_10empty_typeEbEEZZNS1_14partition_implILS5_5ELb0ES3_mN6hipcub16HIPCUB_304000_NS21CountingInputIteratorIllEEPS6_NSA_22TransformInputIteratorIb7NonZeroIdEPdlEENS0_5tupleIJPlS6_EEENSJ_IJSD_SD_EEES6_SK_JS6_EEE10hipError_tPvRmT3_T4_T5_T6_T7_T9_mT8_P12ihipStream_tbDpT10_ENKUlT_T0_E_clISt17integral_constantIbLb0EES15_IbLb1EEEEDaS11_S12_EUlS11_E_NS1_11comp_targetILNS1_3genE4ELNS1_11target_archE910ELNS1_3gpuE8ELNS1_3repE0EEENS1_30default_config_static_selectorELNS0_4arch9wavefront6targetE1EEEvT1_
    .private_segment_fixed_size: 0
    .sgpr_count:     6
    .sgpr_spill_count: 0
    .symbol:         _ZN7rocprim17ROCPRIM_400000_NS6detail17trampoline_kernelINS0_14default_configENS1_25partition_config_selectorILNS1_17partition_subalgoE5ElNS0_10empty_typeEbEEZZNS1_14partition_implILS5_5ELb0ES3_mN6hipcub16HIPCUB_304000_NS21CountingInputIteratorIllEEPS6_NSA_22TransformInputIteratorIb7NonZeroIdEPdlEENS0_5tupleIJPlS6_EEENSJ_IJSD_SD_EEES6_SK_JS6_EEE10hipError_tPvRmT3_T4_T5_T6_T7_T9_mT8_P12ihipStream_tbDpT10_ENKUlT_T0_E_clISt17integral_constantIbLb0EES15_IbLb1EEEEDaS11_S12_EUlS11_E_NS1_11comp_targetILNS1_3genE4ELNS1_11target_archE910ELNS1_3gpuE8ELNS1_3repE0EEENS1_30default_config_static_selectorELNS0_4arch9wavefront6targetE1EEEvT1_.kd
    .uniform_work_group_size: 1
    .uses_dynamic_stack: false
    .vgpr_count:     0
    .vgpr_spill_count: 0
    .wavefront_size: 64
  - .agpr_count:     0
    .args:
      - .offset:         0
        .size:           136
        .value_kind:     by_value
    .group_segment_fixed_size: 0
    .kernarg_segment_align: 8
    .kernarg_segment_size: 136
    .language:       OpenCL C
    .language_version:
      - 2
      - 0
    .max_flat_workgroup_size: 128
    .name:           _ZN7rocprim17ROCPRIM_400000_NS6detail17trampoline_kernelINS0_14default_configENS1_25partition_config_selectorILNS1_17partition_subalgoE5ElNS0_10empty_typeEbEEZZNS1_14partition_implILS5_5ELb0ES3_mN6hipcub16HIPCUB_304000_NS21CountingInputIteratorIllEEPS6_NSA_22TransformInputIteratorIb7NonZeroIdEPdlEENS0_5tupleIJPlS6_EEENSJ_IJSD_SD_EEES6_SK_JS6_EEE10hipError_tPvRmT3_T4_T5_T6_T7_T9_mT8_P12ihipStream_tbDpT10_ENKUlT_T0_E_clISt17integral_constantIbLb0EES15_IbLb1EEEEDaS11_S12_EUlS11_E_NS1_11comp_targetILNS1_3genE3ELNS1_11target_archE908ELNS1_3gpuE7ELNS1_3repE0EEENS1_30default_config_static_selectorELNS0_4arch9wavefront6targetE1EEEvT1_
    .private_segment_fixed_size: 0
    .sgpr_count:     6
    .sgpr_spill_count: 0
    .symbol:         _ZN7rocprim17ROCPRIM_400000_NS6detail17trampoline_kernelINS0_14default_configENS1_25partition_config_selectorILNS1_17partition_subalgoE5ElNS0_10empty_typeEbEEZZNS1_14partition_implILS5_5ELb0ES3_mN6hipcub16HIPCUB_304000_NS21CountingInputIteratorIllEEPS6_NSA_22TransformInputIteratorIb7NonZeroIdEPdlEENS0_5tupleIJPlS6_EEENSJ_IJSD_SD_EEES6_SK_JS6_EEE10hipError_tPvRmT3_T4_T5_T6_T7_T9_mT8_P12ihipStream_tbDpT10_ENKUlT_T0_E_clISt17integral_constantIbLb0EES15_IbLb1EEEEDaS11_S12_EUlS11_E_NS1_11comp_targetILNS1_3genE3ELNS1_11target_archE908ELNS1_3gpuE7ELNS1_3repE0EEENS1_30default_config_static_selectorELNS0_4arch9wavefront6targetE1EEEvT1_.kd
    .uniform_work_group_size: 1
    .uses_dynamic_stack: false
    .vgpr_count:     0
    .vgpr_spill_count: 0
    .wavefront_size: 64
  - .agpr_count:     0
    .args:
      - .offset:         0
        .size:           136
        .value_kind:     by_value
    .group_segment_fixed_size: 0
    .kernarg_segment_align: 8
    .kernarg_segment_size: 136
    .language:       OpenCL C
    .language_version:
      - 2
      - 0
    .max_flat_workgroup_size: 256
    .name:           _ZN7rocprim17ROCPRIM_400000_NS6detail17trampoline_kernelINS0_14default_configENS1_25partition_config_selectorILNS1_17partition_subalgoE5ElNS0_10empty_typeEbEEZZNS1_14partition_implILS5_5ELb0ES3_mN6hipcub16HIPCUB_304000_NS21CountingInputIteratorIllEEPS6_NSA_22TransformInputIteratorIb7NonZeroIdEPdlEENS0_5tupleIJPlS6_EEENSJ_IJSD_SD_EEES6_SK_JS6_EEE10hipError_tPvRmT3_T4_T5_T6_T7_T9_mT8_P12ihipStream_tbDpT10_ENKUlT_T0_E_clISt17integral_constantIbLb0EES15_IbLb1EEEEDaS11_S12_EUlS11_E_NS1_11comp_targetILNS1_3genE2ELNS1_11target_archE906ELNS1_3gpuE6ELNS1_3repE0EEENS1_30default_config_static_selectorELNS0_4arch9wavefront6targetE1EEEvT1_
    .private_segment_fixed_size: 0
    .sgpr_count:     6
    .sgpr_spill_count: 0
    .symbol:         _ZN7rocprim17ROCPRIM_400000_NS6detail17trampoline_kernelINS0_14default_configENS1_25partition_config_selectorILNS1_17partition_subalgoE5ElNS0_10empty_typeEbEEZZNS1_14partition_implILS5_5ELb0ES3_mN6hipcub16HIPCUB_304000_NS21CountingInputIteratorIllEEPS6_NSA_22TransformInputIteratorIb7NonZeroIdEPdlEENS0_5tupleIJPlS6_EEENSJ_IJSD_SD_EEES6_SK_JS6_EEE10hipError_tPvRmT3_T4_T5_T6_T7_T9_mT8_P12ihipStream_tbDpT10_ENKUlT_T0_E_clISt17integral_constantIbLb0EES15_IbLb1EEEEDaS11_S12_EUlS11_E_NS1_11comp_targetILNS1_3genE2ELNS1_11target_archE906ELNS1_3gpuE6ELNS1_3repE0EEENS1_30default_config_static_selectorELNS0_4arch9wavefront6targetE1EEEvT1_.kd
    .uniform_work_group_size: 1
    .uses_dynamic_stack: false
    .vgpr_count:     0
    .vgpr_spill_count: 0
    .wavefront_size: 64
  - .agpr_count:     0
    .args:
      - .offset:         0
        .size:           136
        .value_kind:     by_value
    .group_segment_fixed_size: 0
    .kernarg_segment_align: 8
    .kernarg_segment_size: 136
    .language:       OpenCL C
    .language_version:
      - 2
      - 0
    .max_flat_workgroup_size: 256
    .name:           _ZN7rocprim17ROCPRIM_400000_NS6detail17trampoline_kernelINS0_14default_configENS1_25partition_config_selectorILNS1_17partition_subalgoE5ElNS0_10empty_typeEbEEZZNS1_14partition_implILS5_5ELb0ES3_mN6hipcub16HIPCUB_304000_NS21CountingInputIteratorIllEEPS6_NSA_22TransformInputIteratorIb7NonZeroIdEPdlEENS0_5tupleIJPlS6_EEENSJ_IJSD_SD_EEES6_SK_JS6_EEE10hipError_tPvRmT3_T4_T5_T6_T7_T9_mT8_P12ihipStream_tbDpT10_ENKUlT_T0_E_clISt17integral_constantIbLb0EES15_IbLb1EEEEDaS11_S12_EUlS11_E_NS1_11comp_targetILNS1_3genE10ELNS1_11target_archE1200ELNS1_3gpuE4ELNS1_3repE0EEENS1_30default_config_static_selectorELNS0_4arch9wavefront6targetE1EEEvT1_
    .private_segment_fixed_size: 0
    .sgpr_count:     6
    .sgpr_spill_count: 0
    .symbol:         _ZN7rocprim17ROCPRIM_400000_NS6detail17trampoline_kernelINS0_14default_configENS1_25partition_config_selectorILNS1_17partition_subalgoE5ElNS0_10empty_typeEbEEZZNS1_14partition_implILS5_5ELb0ES3_mN6hipcub16HIPCUB_304000_NS21CountingInputIteratorIllEEPS6_NSA_22TransformInputIteratorIb7NonZeroIdEPdlEENS0_5tupleIJPlS6_EEENSJ_IJSD_SD_EEES6_SK_JS6_EEE10hipError_tPvRmT3_T4_T5_T6_T7_T9_mT8_P12ihipStream_tbDpT10_ENKUlT_T0_E_clISt17integral_constantIbLb0EES15_IbLb1EEEEDaS11_S12_EUlS11_E_NS1_11comp_targetILNS1_3genE10ELNS1_11target_archE1200ELNS1_3gpuE4ELNS1_3repE0EEENS1_30default_config_static_selectorELNS0_4arch9wavefront6targetE1EEEvT1_.kd
    .uniform_work_group_size: 1
    .uses_dynamic_stack: false
    .vgpr_count:     0
    .vgpr_spill_count: 0
    .wavefront_size: 64
  - .agpr_count:     0
    .args:
      - .offset:         0
        .size:           136
        .value_kind:     by_value
    .group_segment_fixed_size: 0
    .kernarg_segment_align: 8
    .kernarg_segment_size: 136
    .language:       OpenCL C
    .language_version:
      - 2
      - 0
    .max_flat_workgroup_size: 128
    .name:           _ZN7rocprim17ROCPRIM_400000_NS6detail17trampoline_kernelINS0_14default_configENS1_25partition_config_selectorILNS1_17partition_subalgoE5ElNS0_10empty_typeEbEEZZNS1_14partition_implILS5_5ELb0ES3_mN6hipcub16HIPCUB_304000_NS21CountingInputIteratorIllEEPS6_NSA_22TransformInputIteratorIb7NonZeroIdEPdlEENS0_5tupleIJPlS6_EEENSJ_IJSD_SD_EEES6_SK_JS6_EEE10hipError_tPvRmT3_T4_T5_T6_T7_T9_mT8_P12ihipStream_tbDpT10_ENKUlT_T0_E_clISt17integral_constantIbLb0EES15_IbLb1EEEEDaS11_S12_EUlS11_E_NS1_11comp_targetILNS1_3genE9ELNS1_11target_archE1100ELNS1_3gpuE3ELNS1_3repE0EEENS1_30default_config_static_selectorELNS0_4arch9wavefront6targetE1EEEvT1_
    .private_segment_fixed_size: 0
    .sgpr_count:     6
    .sgpr_spill_count: 0
    .symbol:         _ZN7rocprim17ROCPRIM_400000_NS6detail17trampoline_kernelINS0_14default_configENS1_25partition_config_selectorILNS1_17partition_subalgoE5ElNS0_10empty_typeEbEEZZNS1_14partition_implILS5_5ELb0ES3_mN6hipcub16HIPCUB_304000_NS21CountingInputIteratorIllEEPS6_NSA_22TransformInputIteratorIb7NonZeroIdEPdlEENS0_5tupleIJPlS6_EEENSJ_IJSD_SD_EEES6_SK_JS6_EEE10hipError_tPvRmT3_T4_T5_T6_T7_T9_mT8_P12ihipStream_tbDpT10_ENKUlT_T0_E_clISt17integral_constantIbLb0EES15_IbLb1EEEEDaS11_S12_EUlS11_E_NS1_11comp_targetILNS1_3genE9ELNS1_11target_archE1100ELNS1_3gpuE3ELNS1_3repE0EEENS1_30default_config_static_selectorELNS0_4arch9wavefront6targetE1EEEvT1_.kd
    .uniform_work_group_size: 1
    .uses_dynamic_stack: false
    .vgpr_count:     0
    .vgpr_spill_count: 0
    .wavefront_size: 64
  - .agpr_count:     0
    .args:
      - .offset:         0
        .size:           136
        .value_kind:     by_value
    .group_segment_fixed_size: 0
    .kernarg_segment_align: 8
    .kernarg_segment_size: 136
    .language:       OpenCL C
    .language_version:
      - 2
      - 0
    .max_flat_workgroup_size: 512
    .name:           _ZN7rocprim17ROCPRIM_400000_NS6detail17trampoline_kernelINS0_14default_configENS1_25partition_config_selectorILNS1_17partition_subalgoE5ElNS0_10empty_typeEbEEZZNS1_14partition_implILS5_5ELb0ES3_mN6hipcub16HIPCUB_304000_NS21CountingInputIteratorIllEEPS6_NSA_22TransformInputIteratorIb7NonZeroIdEPdlEENS0_5tupleIJPlS6_EEENSJ_IJSD_SD_EEES6_SK_JS6_EEE10hipError_tPvRmT3_T4_T5_T6_T7_T9_mT8_P12ihipStream_tbDpT10_ENKUlT_T0_E_clISt17integral_constantIbLb0EES15_IbLb1EEEEDaS11_S12_EUlS11_E_NS1_11comp_targetILNS1_3genE8ELNS1_11target_archE1030ELNS1_3gpuE2ELNS1_3repE0EEENS1_30default_config_static_selectorELNS0_4arch9wavefront6targetE1EEEvT1_
    .private_segment_fixed_size: 0
    .sgpr_count:     6
    .sgpr_spill_count: 0
    .symbol:         _ZN7rocprim17ROCPRIM_400000_NS6detail17trampoline_kernelINS0_14default_configENS1_25partition_config_selectorILNS1_17partition_subalgoE5ElNS0_10empty_typeEbEEZZNS1_14partition_implILS5_5ELb0ES3_mN6hipcub16HIPCUB_304000_NS21CountingInputIteratorIllEEPS6_NSA_22TransformInputIteratorIb7NonZeroIdEPdlEENS0_5tupleIJPlS6_EEENSJ_IJSD_SD_EEES6_SK_JS6_EEE10hipError_tPvRmT3_T4_T5_T6_T7_T9_mT8_P12ihipStream_tbDpT10_ENKUlT_T0_E_clISt17integral_constantIbLb0EES15_IbLb1EEEEDaS11_S12_EUlS11_E_NS1_11comp_targetILNS1_3genE8ELNS1_11target_archE1030ELNS1_3gpuE2ELNS1_3repE0EEENS1_30default_config_static_selectorELNS0_4arch9wavefront6targetE1EEEvT1_.kd
    .uniform_work_group_size: 1
    .uses_dynamic_stack: false
    .vgpr_count:     0
    .vgpr_spill_count: 0
    .wavefront_size: 64
amdhsa.target:   amdgcn-amd-amdhsa--gfx950
amdhsa.version:
  - 1
  - 2
...

	.end_amdgpu_metadata
